;; amdgpu-corpus repo=ggml-org/llama.cpp kind=compiled arch=gfx1201 opt=O3
	.amdgcn_target "amdgcn-amd-amdhsa--gfx1201"
	.amdhsa_code_object_version 6
	.section	.text._ZL15flash_attn_tileILi96ELi96ELi8ELi8ELb0EEvPKcS1_S1_S1_S1_PKiPfP15HIP_vector_typeIfLj2EEffffjfiS5_IjLj3EEiiiiiiiiiiiliiliiiiil,"axG",@progbits,_ZL15flash_attn_tileILi96ELi96ELi8ELi8ELb0EEvPKcS1_S1_S1_S1_PKiPfP15HIP_vector_typeIfLj2EEffffjfiS5_IjLj3EEiiiiiiiiiiiliiliiiiil,comdat
	.globl	_ZL15flash_attn_tileILi96ELi96ELi8ELi8ELb0EEvPKcS1_S1_S1_S1_PKiPfP15HIP_vector_typeIfLj2EEffffjfiS5_IjLj3EEiiiiiiiiiiiliiliiiiil ; -- Begin function _ZL15flash_attn_tileILi96ELi96ELi8ELi8ELb0EEvPKcS1_S1_S1_S1_PKiPfP15HIP_vector_typeIfLj2EEffffjfiS5_IjLj3EEiiiiiiiiiiiliiliiiiil
	.p2align	8
	.type	_ZL15flash_attn_tileILi96ELi96ELi8ELi8ELb0EEvPKcS1_S1_S1_S1_PKiPfP15HIP_vector_typeIfLj2EEffffjfiS5_IjLj3EEiiiiiiiiiiiliiliiiiil,@function
_ZL15flash_attn_tileILi96ELi96ELi8ELi8ELb0EEvPKcS1_S1_S1_S1_PKiPfP15HIP_vector_typeIfLj2EEffffjfiS5_IjLj3EEiiiiiiiiiiiliiliiiiil: ; @_ZL15flash_attn_tileILi96ELi96ELi8ELi8ELb0EEvPKcS1_S1_S1_S1_PKiPfP15HIP_vector_typeIfLj2EEffffjfiS5_IjLj3EEiiiiiiiiiiiliiliiiiil
; %bb.0:
	s_clause 0x1
	s_load_b128 s[36:39], s[0:1], 0x5c
	s_load_b64 s[40:41], s[0:1], 0x80
	s_lshr_b32 s5, ttmp7, 16
	s_load_b512 s[16:31], s[0:1], 0x0
	s_mov_b32 s9, 0
	s_mov_b64 s[42:43], 0
	s_wait_kmcnt 0x0
	s_ashr_i32 s2, s39, 31
	s_delay_alu instid0(SALU_CYCLE_1) | instskip(NEXT) | instid1(SALU_CYCLE_1)
	s_lshr_b32 s2, s2, 29
	s_add_co_i32 s2, s39, s2
	s_delay_alu instid0(SALU_CYCLE_1) | instskip(NEXT) | instid1(SALU_CYCLE_1)
	s_ashr_i32 s2, s2, 3
	s_cvt_f32_u32 s3, s2
	s_sub_co_i32 s4, 0, s2
	s_delay_alu instid0(SALU_CYCLE_2) | instskip(NEXT) | instid1(TRANS32_DEP_1)
	v_rcp_iflag_f32_e32 v1, s3
	v_readfirstlane_b32 s3, v1
	s_mul_f32 s3, s3, 0x4f7ffffe
	s_wait_alu 0xfffe
	s_delay_alu instid0(SALU_CYCLE_2) | instskip(SKIP_1) | instid1(SALU_CYCLE_2)
	s_cvt_u32_f32 s3, s3
	s_wait_alu 0xfffe
	s_mul_i32 s4, s4, s3
	s_delay_alu instid0(SALU_CYCLE_1) | instskip(NEXT) | instid1(SALU_CYCLE_1)
	s_mul_hi_u32 s4, s3, s4
	s_add_co_i32 s3, s3, s4
	s_wait_alu 0xfffe
	s_mul_hi_u32 s3, s5, s3
	s_wait_alu 0xfffe
	s_mul_i32 s4, s3, s2
	s_add_co_i32 s6, s3, 1
	s_sub_co_i32 s4, s5, s4
	s_delay_alu instid0(SALU_CYCLE_1)
	s_sub_co_i32 s7, s4, s2
	s_cmp_ge_u32 s4, s2
	s_cselect_b32 s3, s6, s3
	s_cselect_b32 s4, s7, s4
	s_wait_alu 0xfffe
	s_add_co_i32 s6, s3, 1
	s_cmp_ge_u32 s4, s2
	s_cselect_b32 s34, s6, s3
	s_abs_i32 s2, s41
	s_abs_i32 s6, s39
	s_wait_alu 0xfffe
	s_cvt_f32_u32 s3, s2
	s_sub_co_i32 s4, 0, s2
	s_wait_alu 0xfffe
	s_delay_alu instid0(SALU_CYCLE_1) | instskip(NEXT) | instid1(TRANS32_DEP_1)
	v_rcp_iflag_f32_e32 v1, s3
	v_readfirstlane_b32 s3, v1
	s_mul_f32 s3, s3, 0x4f7ffffe
	s_wait_alu 0xfffe
	s_delay_alu instid0(SALU_CYCLE_2) | instskip(SKIP_1) | instid1(SALU_CYCLE_2)
	s_cvt_u32_f32 s3, s3
	s_wait_alu 0xfffe
	s_mul_i32 s4, s4, s3
	s_delay_alu instid0(SALU_CYCLE_1) | instskip(NEXT) | instid1(SALU_CYCLE_1)
	s_mul_hi_u32 s4, s3, s4
	s_add_co_i32 s3, s3, s4
	s_lshl_b32 s4, s5, 3
	s_wait_alu 0xfffe
	s_mul_hi_u32 s3, s6, s3
	s_xor_b32 s5, s39, s41
	s_wait_alu 0xfffe
	s_mul_i32 s7, s3, s2
	s_ashr_i32 s5, s5, 31
	s_sub_co_i32 s6, s6, s7
	s_add_co_i32 s7, s3, 1
	s_sub_co_i32 s8, s6, s2
	s_cmp_ge_u32 s6, s2
	s_cselect_b32 s3, s7, s3
	s_cselect_b32 s6, s8, s6
	s_wait_alu 0xfffe
	s_add_co_i32 s7, s3, 1
	s_cmp_ge_u32 s6, s2
	s_cselect_b32 s2, s7, s3
	s_wait_alu 0xfffe
	s_xor_b32 s2, s2, s5
	s_wait_alu 0xfffe
	s_sub_co_i32 s11, s2, s5
	s_load_b64 s[2:3], s[0:1], 0xb8
	s_abs_i32 s10, s11
	s_cmp_eq_u64 s[22:23], 0
	s_cvt_f32_u32 s5, s10
	s_delay_alu instid0(SALU_CYCLE_3) | instskip(SKIP_1) | instid1(TRANS32_DEP_1)
	v_rcp_iflag_f32_e32 v1, s5
	s_mul_i32 s5, s34, s39
	v_readfirstlane_b32 s8, v1
	s_cbranch_scc1 .LBB0_2
; %bb.1:
	s_wait_kmcnt 0x0
	s_abs_i32 s2, s2
	s_wait_alu 0xfffe
	s_cvt_f32_u32 s6, s2
	s_delay_alu instid0(SALU_CYCLE_3) | instskip(NEXT) | instid1(TRANS32_DEP_1)
	v_rcp_iflag_f32_e32 v1, s6
	v_readfirstlane_b32 s6, v1
	s_mul_f32 s6, s6, 0x4f7ffffe
	s_wait_alu 0xfffe
	s_delay_alu instid0(SALU_CYCLE_2) | instskip(SKIP_2) | instid1(SALU_CYCLE_1)
	s_cvt_u32_f32 s12, s6
	s_sub_co_i32 s6, 0, s2
	s_wait_alu 0xfffe
	s_mul_i32 s6, s6, s12
	s_wait_alu 0xfffe
	s_mul_hi_u32 s13, s12, s6
	s_load_b64 s[6:7], s[0:1], 0xc8
	s_add_co_i32 s12, s12, s13
	s_delay_alu instid0(SALU_CYCLE_1) | instskip(NEXT) | instid1(SALU_CYCLE_1)
	s_mul_hi_u32 s12, s34, s12
	s_mul_i32 s12, s12, s2
	s_delay_alu instid0(SALU_CYCLE_1) | instskip(NEXT) | instid1(SALU_CYCLE_1)
	s_sub_co_i32 s12, s34, s12
	s_sub_co_i32 s13, s12, s2
	s_cmp_ge_u32 s12, s2
	s_cselect_b32 s12, s13, s12
	s_delay_alu instid0(SALU_CYCLE_1) | instskip(SKIP_2) | instid1(SALU_CYCLE_1)
	s_sub_co_i32 s13, s12, s2
	s_cmp_ge_u32 s12, s2
	s_cselect_b32 s12, s13, s12
	s_ashr_i32 s13, s12, 31
	s_wait_kmcnt 0x0
	s_mul_u64 s[6:7], s[6:7], s[12:13]
	s_wait_alu 0xfffe
	s_add_nc_u64 s[42:43], s[22:23], s[6:7]
.LBB0_2:
	v_bfe_u32 v1, v0, 10, 10
	v_and_b32_e32 v105, 0x3ff, v0
	s_delay_alu instid0(VALU_DEP_2) | instskip(SKIP_1) | instid1(VALU_DEP_2)
	v_lshl_add_u32 v106, ttmp9, 3, v1
	s_wait_kmcnt 0x0
	v_cmp_gt_u32_e64 s2, 24, v105
	v_lshlrev_b32_e32 v104, 2, v105
	v_lshlrev_b32_e32 v116, 3, v105
	v_mul_hi_u32 v2, s36, v106
	s_wait_alu 0xfffe
	s_sub_co_i32 s36, s4, s5
	s_delay_alu instid0(VALU_DEP_1) | instskip(NEXT) | instid1(VALU_DEP_1)
	v_add_nc_u32_e32 v2, v106, v2
	v_lshrrev_b32_e32 v2, s37, v2
	s_delay_alu instid0(VALU_DEP_1) | instskip(NEXT) | instid1(VALU_DEP_1)
	v_mul_lo_u32 v2, v2, s38
	v_sub_nc_u32_e32 v0, v106, v2
	s_and_saveexec_b32 s12, s2
	s_cbranch_execz .LBB0_4
; %bb.3:
	s_load_b96 s[4:6], s[0:1], 0x70
	v_mad_u32_u24 v34, 0x600, v1, v116
	s_wait_kmcnt 0x0
	s_ashr_i32 s15, s4, 31
	s_mov_b32 s14, s4
	s_lshr_b32 s4, s15, 2
	s_lshr_b64 s[22:23], s[14:15], 2
	s_mul_i32 s14, s34, s6
	v_mad_co_u64_u32 v[2:3], null, s22, v0, 0
	s_mul_i32 s22, s36, s5
	s_ashr_i32 s15, s14, 31
	s_wait_alu 0xfffe
	s_ashr_i32 s23, s22, 31
	s_add_nc_u64 s[14:15], s[16:17], s[14:15]
	s_ashr_i32 s7, s5, 31
	s_wait_alu 0xfffe
	s_add_nc_u64 s[14:15], s[14:15], s[22:23]
	v_mad_co_u64_u32 v[3:4], null, s4, v0, v[3:4]
	v_lshlrev_b32_e32 v4, 2, v104
	s_mov_b32 s6, s5
	s_delay_alu instid0(VALU_DEP_2) | instskip(NEXT) | instid1(VALU_DEP_1)
	v_lshlrev_b64_e32 v[2:3], 2, v[2:3]
	v_add_co_u32 v2, vcc_lo, s14, v2
	s_delay_alu instid0(VALU_DEP_1)
	v_add_co_ci_u32_e64 v3, null, s15, v3, vcc_lo
	s_and_b32 s14, s5, -4
	v_add_co_u32 v18, vcc_lo, v2, v4
	s_wait_alu 0xfffd
	v_add_co_ci_u32_e64 v19, null, 0, v3, vcc_lo
	s_wait_alu 0xfffe
	s_lshr_b64 s[4:5], s[6:7], 2
	v_add_co_u32 v6, vcc_lo, v18, s14
	global_load_b128 v[2:5], v[18:19], off
	s_wait_alu 0xfffe
	v_mad_co_u64_u32 v[20:21], null, s4, 12, v[18:19]
	v_mad_co_u64_u32 v[22:23], null, s4, 20, v[18:19]
	s_wait_alu 0xfffd
	v_add_co_ci_u32_e64 v7, null, s7, v19, vcc_lo
	v_mad_co_u64_u32 v[26:27], null, s4, 24, v[18:19]
	s_and_b32 s15, s7, 0x3fffffff
	s_lshl_b64 s[16:17], s[4:5], 3
	s_wait_alu 0xfffe
	s_lshl_b64 s[22:23], s[14:15], 2
	v_add_co_u32 v10, vcc_lo, v18, s16
	s_lshr_b32 s5, s7, 2
	s_wait_alu 0xfffd
	v_add_co_ci_u32_e64 v11, null, s17, v19, vcc_lo
	global_load_b128 v[6:9], v[6:7], off
	s_wait_alu 0xfffe
	v_add_co_u32 v14, vcc_lo, v18, s22
	v_mad_co_u64_u32 v[30:31], null, s4, 28, v[18:19]
	v_mov_b32_e32 v18, v23
	v_mad_co_u64_u32 v[23:24], null, s5, 12, v[21:22]
	s_wait_alu 0xfffd
	v_add_co_ci_u32_e64 v15, null, s23, v19, vcc_lo
	v_mov_b32_e32 v19, v27
	s_load_b32 s4, s[0:1], 0x40
	s_clause 0x1
	global_load_b128 v[10:13], v[10:11], off
	global_load_b128 v[14:17], v[14:15], off
	v_mov_b32_e32 v21, v23
	v_mad_co_u64_u32 v[24:25], null, s5, 20, v[18:19]
	v_mov_b32_e32 v18, v31
	v_mad_co_u64_u32 v[27:28], null, s5, 24, v[19:20]
	s_delay_alu instid0(VALU_DEP_3) | instskip(NEXT) | instid1(VALU_DEP_3)
	v_mov_b32_e32 v23, v24
	v_mad_co_u64_u32 v[28:29], null, s5, 28, v[18:19]
	s_clause 0x1
	global_load_b128 v[18:21], v[20:21], off
	global_load_b128 v[22:25], v[22:23], off
	s_wait_loadcnt 0x5
	s_wait_kmcnt 0x0
	v_fma_mixlo_f16 v2, s4, v2, 0
	v_mov_b32_e32 v31, v28
	v_fma_mixlo_f16 v3, s4, v3, 0
	v_fma_mixlo_f16 v5, s4, v5, 0
	;; [unrolled: 1-line block ×3, first 2 shown]
	v_and_b32_e32 v2, 0xffff, v2
	s_clause 0x1
	global_load_b128 v[26:29], v[26:27], off
	global_load_b128 v[30:33], v[30:31], off
	v_lshlrev_b32_e32 v3, 16, v3
	v_lshlrev_b32_e32 v5, 16, v5
	v_and_b32_e32 v4, 0xffff, v4
	s_delay_alu instid0(VALU_DEP_3) | instskip(NEXT) | instid1(VALU_DEP_2)
	v_or_b32_e32 v2, v3, v2
	v_or3_b32 v3, v5, v4, 0
	s_wait_loadcnt 0x6
	v_fma_mixlo_f16 v6, s4, v6, 0
	v_fma_mixlo_f16 v7, s4, v7, 0
	;; [unrolled: 1-line block ×4, first 2 shown]
	v_or3_b32 v2, 0, 0, v2
	v_and_b32_e32 v5, 0xffff, v6
	v_lshlrev_b32_e32 v4, 16, v7
	v_and_b32_e32 v7, 0xffff, v8
	v_lshlrev_b32_e32 v6, 16, v9
	s_wait_loadcnt 0x5
	v_fma_mixlo_f16 v10, s4, v10, 0
	v_fma_mixlo_f16 v11, s4, v11, 0
	;; [unrolled: 1-line block ×4, first 2 shown]
	s_wait_loadcnt 0x4
	v_fma_mixlo_f16 v14, s4, v14, 0
	v_fma_mixlo_f16 v15, s4, v15, 0
	;; [unrolled: 1-line block ×4, first 2 shown]
	v_lshlrev_b32_e32 v8, 16, v11
	v_and_b32_e32 v9, 0xffff, v10
	v_lshlrev_b32_e32 v10, 16, v13
	v_and_b32_e32 v11, 0xffff, v12
	v_lshlrev_b32_e32 v12, 16, v15
	v_and_b32_e32 v13, 0xffff, v14
	v_lshlrev_b32_e32 v14, 16, v17
	v_and_b32_e32 v15, 0xffff, v16
	v_or_b32_e32 v4, v4, v5
	v_or3_b32 v5, v6, v7, 0
	v_or3_b32 v7, v10, v11, 0
	s_wait_loadcnt 0x3
	v_fma_mixlo_f16 v10, s4, v18, 0
	v_fma_mixlo_f16 v11, s4, v19, 0
	v_or_b32_e32 v6, v8, v9
	v_or_b32_e32 v8, v12, v13
	v_or3_b32 v9, v14, v15, 0
	v_fma_mixlo_f16 v12, s4, v20, 0
	v_fma_mixlo_f16 v13, s4, v21, 0
	s_wait_loadcnt 0x2
	v_fma_mixlo_f16 v14, s4, v22, 0
	v_fma_mixlo_f16 v15, s4, v23, 0
	;; [unrolled: 1-line block ×4, first 2 shown]
	v_lshlrev_b32_e32 v11, 16, v11
	v_and_b32_e32 v10, 0xffff, v10
	v_lshlrev_b32_e32 v13, 16, v13
	v_and_b32_e32 v12, 0xffff, v12
	;; [unrolled: 2-line block ×4, first 2 shown]
	v_or_b32_e32 v10, v11, v10
	v_or3_b32 v11, v13, v12, 0
	v_or_b32_e32 v12, v15, v14
	v_or3_b32 v4, 0, 0, v4
	v_or3_b32 v13, v17, v16, 0
	;; [unrolled: 1-line block ×6, first 2 shown]
	s_wait_loadcnt 0x1
	v_fma_mixlo_f16 v18, s4, v26, 0
	v_fma_mixlo_f16 v19, s4, v27, 0
	s_wait_loadcnt 0x0
	v_fma_mixlo_f16 v22, s4, v30, 0
	v_fma_mixlo_f16 v23, s4, v31, 0
	;; [unrolled: 1-line block ×6, first 2 shown]
	v_lshlrev_b32_e32 v19, 16, v19
	v_and_b32_e32 v18, 0xffff, v18
	v_lshlrev_b32_e32 v23, 16, v23
	v_and_b32_e32 v22, 0xffff, v22
	;; [unrolled: 2-line block ×4, first 2 shown]
	v_or_b32_e32 v14, v19, v18
	v_or_b32_e32 v16, v23, v22
	v_or3_b32 v15, v21, v20, 0
	s_delay_alu instid0(VALU_DEP_4) | instskip(NEXT) | instid1(VALU_DEP_4)
	v_or3_b32 v17, v25, v24, 0
	v_or3_b32 v14, 0, 0, v14
	s_delay_alu instid0(VALU_DEP_4)
	v_or3_b32 v16, 0, 0, v16
	ds_store_2addr_b64 v34, v[2:3], v[4:5] offset1:24
	ds_store_2addr_b64 v34, v[6:7], v[10:11] offset0:48 offset1:72
	ds_store_2addr_b64 v34, v[8:9], v[12:13] offset0:96 offset1:120
	;; [unrolled: 1-line block ×3, first 2 shown]
.LBB0_4:
	s_or_b32 exec_lo, exec_lo, s12
	s_cmp_eq_u64 s[26:27], 0
	s_wait_dscnt 0x0
	s_barrier_signal -1
	s_barrier_wait -1
	global_inv scope:SCOPE_SE
	s_cbranch_scc1 .LBB0_6
; %bb.5:
	s_load_b32 s4, s[0:1], 0xd0
	s_mov_b32 s5, 0
	s_wait_kmcnt 0x0
	s_mul_i32 s4, s4, s34
	s_wait_alu 0xfffe
	s_add_co_i32 s4, s4, ttmp9
	s_wait_alu 0xfffe
	s_lshl_b64 s[4:5], s[4:5], 2
	s_wait_alu 0xfffe
	s_add_nc_u64 s[4:5], s[26:27], s[4:5]
	s_load_b32 s40, s[4:5], 0x0
.LBB0_6:
	s_and_b32 s33, ttmp7, 0xffff
	v_mbcnt_lo_u32_b32 v120, -1, 0
	s_lshl_b32 s26, s33, 5
	s_wait_kmcnt 0x0
	s_cmp_lt_i32 s26, s40
	s_cbranch_scc1 .LBB0_9
; %bb.7:
	v_mbcnt_lo_u32_b32 v8, -1, 0
	v_mov_b32_e32 v119, 32
	s_delay_alu instid0(VALU_DEP_2)
	v_xor_b32_e32 v154, 16, v8
	v_xor_b32_e32 v155, 8, v8
	;; [unrolled: 1-line block ×5, first 2 shown]
	s_mov_b32 s35, 0
	s_cbranch_execz .LBB0_10
; %bb.8:
	v_dual_mov_b32 v144, 0 :: v_dual_mov_b32 v159, 0
	v_dual_mov_b32 v7, 0xfeffffff :: v_dual_mov_b32 v6, 0xfeffffff
	;; [unrolled: 1-line block ×16, first 2 shown]
	s_branch .LBB0_30
.LBB0_9:
                                        ; implicit-def: $vgpr8
                                        ; implicit-def: $vgpr119
                                        ; implicit-def: $vgpr154
                                        ; implicit-def: $vgpr155
                                        ; implicit-def: $vgpr156
                                        ; implicit-def: $vgpr157
                                        ; implicit-def: $vgpr158
	s_mov_b32 s35, 0
.LBB0_10:
	s_clause 0x1
	s_load_b128 s[4:7], s[0:1], 0x98
	s_load_b64 s[12:13], s[0:1], 0x8c
	s_mul_f32 s8, s8, 0x4f7ffffe
	v_lshrrev_b32_e32 v3, 2, v105
	s_sub_co_i32 s16, 0, s10
	v_dual_mov_b32 v117, 0 :: v_dual_and_b32 v10, 12, v104
	s_cvt_u32_f32 s14, s8
	s_delay_alu instid0(VALU_DEP_2)
	v_lshl_add_u32 v7, v1, 3, v3
	s_abs_i32 s8, s36
	s_mov_b32 s15, s9
	s_wait_alu 0xfffe
	s_mul_i32 s16, s16, s14
	v_dual_mov_b32 v119, 32 :: v_dual_lshlrev_b32 v8, 2, v10
	s_wait_alu 0xfffe
	s_mul_hi_u32 s16, s14, s16
	v_mul_u32_u24_e32 v6, 0x70, v7
	s_wait_alu 0xfffe
	s_add_co_i32 s14, s14, s16
	s_ashr_i32 s22, s36, 31
	s_wait_alu 0xfffe
	s_mul_u64 s[14:15], s[8:9], s[14:15]
	s_ashr_i32 s11, s11, 31
	s_wait_alu 0xfffe
	s_mul_i32 s9, s15, s10
	s_wait_kmcnt 0x0
	s_ashr_i32 s44, s6, 2
	s_sub_co_i32 s6, s8, s9
	v_add3_u32 v130, v6, v8, 0x4000
	v_lshrrev_b32_e32 v6, 3, v105
	s_ashr_i32 s14, s3, 1
	v_lshrrev_b32_e32 v2, 1, v105
	s_xor_b32 s3, s22, s11
	s_add_co_i32 s11, s15, 1
	s_ashr_i32 s46, s12, 2
	s_wait_alu 0xfffe
	s_sub_co_i32 s8, s6, s10
	s_cmp_ge_u32 s6, s10
	s_load_b64 s[16:17], s[0:1], 0xa8
	s_cselect_b32 s9, s11, s15
	v_mul_u32_u24_e32 v12, 0xc0, v7
	v_lshl_add_u32 v13, v1, 2, v6
	v_dual_mov_b32 v121, 0 :: v_dual_and_b32 v132, 28, v104
	s_cselect_b32 s6, s8, s6
	v_lshl_add_u32 v4, v1, 4, v2
	s_add_co_i32 s8, s9, 1
	s_wait_alu 0xfffe
	s_cmp_ge_u32 s6, s10
	v_and_b32_e32 v9, 4, v104
	s_cselect_b32 s6, s8, s9
	v_mul_u32_u24_e32 v128, 0x600, v1
	v_lshl_add_u32 v131, v1, 9, 0x3000
	v_or_b32_e32 v1, v12, v8
	v_mul_u32_u24_e32 v8, 0xc0, v13
	v_dual_mov_b32 v123, 0 :: v_dual_lshlrev_b32 v12, 2, v132
	s_wait_alu 0xfffe
	s_xor_b32 s6, s6, s3
	v_cmp_gt_u32_e32 vcc_lo, 32, v4
	v_mul_lo_u32 v2, s46, v4
	v_mul_u32_u24_e32 v3, 0x70, v4
	v_mul_lo_u32 v4, s46, v7
	v_mad_co_u64_u32 v[107:108], null, v0, s14, v[105:106]
	v_mul_lo_u32 v0, s44, v7
	v_mul_lo_u32 v6, s44, v13
	s_wait_alu 0xfffe
	s_sub_co_i32 s3, s6, s3
	v_add3_u32 v134, v8, v12, 0x4000
	v_dual_mov_b32 v8, 0xfeffffff :: v_dual_lshlrev_b32 v5, 2, v9
	v_mov_b32_e32 v118, 0
	s_mul_u64 s[4:5], s[4:5], s[34:35]
	s_wait_alu 0xfffe
	s_mul_i32 s6, s3, s13
	s_add_nc_u64 s[4:5], s[18:19], s[4:5]
	s_mul_i32 s10, s3, s7
	s_wait_alu 0xfffe
	s_ashr_i32 s7, s6, 31
	v_cmp_gt_u32_e64 s3, 32, v7
	s_wait_alu 0xfffe
	s_add_nc_u64 s[48:49], s[4:5], s[6:7]
	v_add3_u32 v129, v3, v5, 0x4040
	v_ashrrev_i32_e32 v3, 31, v2
	v_ashrrev_i32_e32 v5, 31, v4
	v_cmp_gt_u32_e64 s4, 16, v7
	v_dual_mov_b32 v124, 0 :: v_dual_add_nc_u32 v133, 0x4080, v1
	v_ashrrev_i32_e32 v1, 31, v0
	v_ashrrev_i32_e32 v7, 31, v6
	v_dual_mov_b32 v122, 0 :: v_dual_lshlrev_b32 v11, 4, v105
	s_wait_kmcnt 0x0
	s_mul_u64 s[8:9], s[16:17], s[34:35]
	v_lshlrev_b64_e32 v[108:109], 2, v[2:3]
	v_lshlrev_b64_e32 v[110:111], 2, v[4:5]
	;; [unrolled: 1-line block ×4, first 2 shown]
	v_mul_u32_u24_e32 v125, 0x70, v105
	v_cmp_gt_u32_e64 s5, 16, v13
	v_dual_mov_b32 v126, 0 :: v_dual_add_nc_u32 v135, v131, v11
	v_dual_mov_b32 v127, 0 :: v_dual_lshlrev_b32 v136, 2, v9
	v_dual_mov_b32 v138, 0 :: v_dual_lshlrev_b32 v137, 2, v10
	v_dual_mov_b32 v139, 0 :: v_dual_mov_b32 v140, 0
	v_dual_mov_b32 v141, 0 :: v_dual_mov_b32 v142, 0
	;; [unrolled: 1-line block ×10, first 2 shown]
	v_mov_b32_e32 v149, 0
	v_mov_b32_e32 v147, 0
	s_add_nc_u64 s[8:9], s[20:21], s[8:9]
	s_ashr_i32 s11, s10, 31
	s_ashr_i32 s47, s46, 31
	s_add_nc_u64 s[50:51], s[8:9], s[10:11]
	s_ashr_i32 s45, s44, 31
	s_add_nc_u64 s[52:53], s[0:1], 0xd0
.LBB0_11:                               ; =>This Inner Loop Header: Depth=1
	s_ashr_i32 s27, s26, 31
	s_wait_alu 0xfffe
	s_mul_u64 s[6:7], s[26:27], s[46:47]
	s_wait_alu 0xfffe
	s_lshl_b64 s[6:7], s[6:7], 2
	s_wait_alu 0xfffe
	s_add_nc_u64 s[8:9], s[48:49], s[6:7]
	s_and_saveexec_b32 s7, vcc_lo
	s_cbranch_execz .LBB0_13
; %bb.12:                               ;   in Loop: Header=BB0_11 Depth=1
	s_wait_alu 0xfffe
	v_add_co_u32 v0, s6, s8, v108
	s_wait_alu 0xf1ff
	v_add_co_ci_u32_e64 v1, null, s9, v109, s6
	s_delay_alu instid0(VALU_DEP_2) | instskip(SKIP_1) | instid1(VALU_DEP_2)
	v_add_co_u32 v0, s6, v0, v136
	s_wait_alu 0xf1ff
	v_add_co_ci_u32_e64 v1, null, 0, v1, s6
	global_load_b128 v[0:3], v[0:1], off offset:64
	s_wait_loadcnt 0x0
	ds_store_b128 v129, v[0:3]
.LBB0_13:                               ;   in Loop: Header=BB0_11 Depth=1
	s_wait_alu 0xfffe
	s_or_b32 exec_lo, exec_lo, s7
	s_and_saveexec_b32 s7, s3
	s_cbranch_execz .LBB0_15
; %bb.14:                               ;   in Loop: Header=BB0_11 Depth=1
	v_add_co_u32 v0, s6, s8, v110
	s_wait_alu 0xf1ff
	v_add_co_ci_u32_e64 v1, null, s9, v111, s6
	s_delay_alu instid0(VALU_DEP_2) | instskip(SKIP_1) | instid1(VALU_DEP_2)
	v_add_co_u32 v0, s6, v0, v137
	s_wait_alu 0xf1ff
	v_add_co_ci_u32_e64 v1, null, 0, v1, s6
	global_load_b128 v[0:3], v[0:1], off
	s_wait_loadcnt 0x0
	ds_store_b128 v130, v[0:3]
.LBB0_15:                               ;   in Loop: Header=BB0_11 Depth=1
	s_wait_alu 0xfffe
	s_or_b32 exec_lo, exec_lo, s7
	s_wait_loadcnt_dscnt 0x0
	s_barrier_signal -1
	s_barrier_wait -1
	global_inv scope:SCOPE_SE
	ds_load_b128 v[16:19], v125 offset:16384
	ds_load_b128 v[4:7], v128
	ds_load_b128 v[20:23], v128 offset:192
	ds_load_b128 v[24:27], v128 offset:384
	ds_load_b128 v[28:31], v128 offset:576
	ds_load_b128 v[32:35], v128 offset:768
	ds_load_b128 v[36:39], v128 offset:960
	ds_load_b128 v[40:43], v128 offset:1152
	v_dual_mov_b32 v0, 0 :: v_dual_mov_b32 v1, 0
	ds_load_b128 v[44:47], v128 offset:1344
	v_dual_mov_b32 v2, 0 :: v_dual_mov_b32 v3, 0
	s_wait_dscnt 0x7
	;;#ASMSTART
	v_dot2_f32_f16 v0, v16, v4, v0
	;;#ASMEND
	;;#ASMSTART
	v_dot2_f32_f16 v0, v17, v5, v0
	;;#ASMEND
	;;#ASMSTART
	v_dot2_f32_f16 v0, v18, v6, v0
	;;#ASMEND
	;;#ASMSTART
	v_dot2_f32_f16 v0, v19, v7, v0
	;;#ASMEND
	s_wait_dscnt 0x6
	;;#ASMSTART
	v_dot2_f32_f16 v1, v16, v20, v1
	;;#ASMEND
	;;#ASMSTART
	v_dot2_f32_f16 v1, v17, v21, v1
	;;#ASMEND
	;;#ASMSTART
	v_dot2_f32_f16 v1, v18, v22, v1
	;;#ASMEND
	;;#ASMSTART
	v_dot2_f32_f16 v1, v19, v23, v1
	;;#ASMEND
	;; [unrolled: 13-line block ×3, first 2 shown]
	s_wait_dscnt 0x4
	;;#ASMSTART
	v_dot2_f32_f16 v3, v16, v28, v3
	;;#ASMEND
	;;#ASMSTART
	v_dot2_f32_f16 v3, v17, v29, v3
	;;#ASMEND
	v_dual_mov_b32 v4, 0 :: v_dual_mov_b32 v5, 0
	;;#ASMSTART
	v_dot2_f32_f16 v3, v18, v30, v3
	;;#ASMEND
	;;#ASMSTART
	v_dot2_f32_f16 v3, v19, v31, v3
	;;#ASMEND
	s_wait_dscnt 0x3
	;;#ASMSTART
	v_dot2_f32_f16 v4, v16, v32, v4
	;;#ASMEND
	;;#ASMSTART
	v_dot2_f32_f16 v4, v17, v33, v4
	;;#ASMEND
	;; [unrolled: 3-line block ×4, first 2 shown]
	s_wait_dscnt 0x2
	;;#ASMSTART
	v_dot2_f32_f16 v5, v16, v36, v5
	;;#ASMEND
	;;#ASMSTART
	v_dot2_f32_f16 v5, v17, v37, v5
	;;#ASMEND
	v_dual_mov_b32 v6, 0 :: v_dual_mov_b32 v7, 0
	;;#ASMSTART
	v_dot2_f32_f16 v5, v18, v38, v5
	;;#ASMEND
	;;#ASMSTART
	v_dot2_f32_f16 v5, v19, v39, v5
	;;#ASMEND
	s_wait_dscnt 0x1
	;;#ASMSTART
	v_dot2_f32_f16 v6, v16, v40, v6
	;;#ASMEND
	;;#ASMSTART
	v_dot2_f32_f16 v6, v17, v41, v6
	;;#ASMEND
	;; [unrolled: 3-line block ×4, first 2 shown]
	s_wait_dscnt 0x0
	;;#ASMSTART
	v_dot2_f32_f16 v7, v16, v44, v7
	;;#ASMEND
	;;#ASMSTART
	v_dot2_f32_f16 v7, v17, v45, v7
	;;#ASMEND
	;; [unrolled: 3-line block ×4, first 2 shown]
	ds_load_b128 v[16:19], v125 offset:16400
	ds_load_b128 v[20:23], v128 offset:16
	;; [unrolled: 1-line block ×9, first 2 shown]
	s_wait_dscnt 0x7
	;;#ASMSTART
	v_dot2_f32_f16 v0, v16, v20, v0
	;;#ASMEND
	;;#ASMSTART
	v_dot2_f32_f16 v0, v17, v21, v0
	;;#ASMEND
	;;#ASMSTART
	v_dot2_f32_f16 v0, v18, v22, v0
	;;#ASMEND
	;;#ASMSTART
	v_dot2_f32_f16 v0, v19, v23, v0
	;;#ASMEND
	s_wait_dscnt 0x6
	;;#ASMSTART
	v_dot2_f32_f16 v1, v16, v24, v1
	;;#ASMEND
	;;#ASMSTART
	v_dot2_f32_f16 v1, v17, v25, v1
	;;#ASMEND
	;;#ASMSTART
	v_dot2_f32_f16 v1, v18, v26, v1
	;;#ASMEND
	;;#ASMSTART
	v_dot2_f32_f16 v1, v19, v27, v1
	;;#ASMEND
	;; [unrolled: 13-line block ×8, first 2 shown]
	ds_load_b128 v[16:19], v125 offset:16416
	ds_load_b128 v[20:23], v128 offset:32
	ds_load_b128 v[24:27], v128 offset:224
	ds_load_b128 v[28:31], v128 offset:416
	ds_load_b128 v[32:35], v128 offset:608
	ds_load_b128 v[36:39], v128 offset:800
	ds_load_b128 v[40:43], v128 offset:992
	ds_load_b128 v[44:47], v128 offset:1184
	ds_load_b128 v[48:51], v128 offset:1376
	s_wait_dscnt 0x7
	;;#ASMSTART
	v_dot2_f32_f16 v0, v16, v20, v0
	;;#ASMEND
	;;#ASMSTART
	v_dot2_f32_f16 v0, v17, v21, v0
	;;#ASMEND
	;;#ASMSTART
	v_dot2_f32_f16 v0, v18, v22, v0
	;;#ASMEND
	;;#ASMSTART
	v_dot2_f32_f16 v0, v19, v23, v0
	;;#ASMEND
	s_wait_dscnt 0x6
	;;#ASMSTART
	v_dot2_f32_f16 v1, v16, v24, v1
	;;#ASMEND
	;;#ASMSTART
	v_dot2_f32_f16 v1, v17, v25, v1
	;;#ASMEND
	;;#ASMSTART
	v_dot2_f32_f16 v1, v18, v26, v1
	;;#ASMEND
	;;#ASMSTART
	v_dot2_f32_f16 v1, v19, v27, v1
	;;#ASMEND
	;; [unrolled: 13-line block ×8, first 2 shown]
	ds_load_b128 v[16:19], v125 offset:16432
	ds_load_b128 v[20:23], v128 offset:48
	;; [unrolled: 1-line block ×9, first 2 shown]
	s_wait_dscnt 0x7
	;;#ASMSTART
	v_dot2_f32_f16 v0, v16, v20, v0
	;;#ASMEND
	;;#ASMSTART
	v_dot2_f32_f16 v0, v17, v21, v0
	;;#ASMEND
	;;#ASMSTART
	v_dot2_f32_f16 v0, v18, v22, v0
	;;#ASMEND
	;;#ASMSTART
	v_dot2_f32_f16 v0, v19, v23, v0
	;;#ASMEND
	s_wait_dscnt 0x6
	;;#ASMSTART
	v_dot2_f32_f16 v1, v16, v24, v1
	;;#ASMEND
	;;#ASMSTART
	v_dot2_f32_f16 v1, v17, v25, v1
	;;#ASMEND
	;;#ASMSTART
	v_dot2_f32_f16 v1, v18, v26, v1
	;;#ASMEND
	;;#ASMSTART
	v_dot2_f32_f16 v1, v19, v27, v1
	;;#ASMEND
	s_wait_dscnt 0x5
	;;#ASMSTART
	v_dot2_f32_f16 v2, v16, v28, v2
	;;#ASMEND
	;;#ASMSTART
	v_dot2_f32_f16 v2, v17, v29, v2
	;;#ASMEND
	;;#ASMSTART
	v_dot2_f32_f16 v2, v18, v30, v2
	;;#ASMEND
	;;#ASMSTART
	v_dot2_f32_f16 v2, v19, v31, v2
	;;#ASMEND
	s_wait_dscnt 0x4
	;;#ASMSTART
	v_dot2_f32_f16 v3, v16, v32, v3
	;;#ASMEND
	;;#ASMSTART
	v_dot2_f32_f16 v3, v17, v33, v3
	;;#ASMEND
	;;#ASMSTART
	v_dot2_f32_f16 v3, v18, v34, v3
	;;#ASMEND
	;;#ASMSTART
	v_dot2_f32_f16 v3, v19, v35, v3
	;;#ASMEND
	s_wait_dscnt 0x3
	;;#ASMSTART
	v_dot2_f32_f16 v4, v16, v36, v4
	;;#ASMEND
	;;#ASMSTART
	v_dot2_f32_f16 v4, v17, v37, v4
	;;#ASMEND
	;;#ASMSTART
	v_dot2_f32_f16 v4, v18, v38, v4
	;;#ASMEND
	;;#ASMSTART
	v_dot2_f32_f16 v4, v19, v39, v4
	;;#ASMEND
	s_wait_dscnt 0x2
	;;#ASMSTART
	v_dot2_f32_f16 v5, v16, v40, v5
	;;#ASMEND
	;;#ASMSTART
	v_dot2_f32_f16 v5, v17, v41, v5
	;;#ASMEND
	;;#ASMSTART
	v_dot2_f32_f16 v5, v18, v42, v5
	;;#ASMEND
	;;#ASMSTART
	v_dot2_f32_f16 v5, v19, v43, v5
	;;#ASMEND
	s_wait_dscnt 0x1
	;;#ASMSTART
	v_dot2_f32_f16 v6, v16, v44, v6
	;;#ASMEND
	;;#ASMSTART
	v_dot2_f32_f16 v6, v17, v45, v6
	;;#ASMEND
	;;#ASMSTART
	v_dot2_f32_f16 v6, v18, v46, v6
	;;#ASMEND
	;;#ASMSTART
	v_dot2_f32_f16 v6, v19, v47, v6
	;;#ASMEND
	s_wait_dscnt 0x0
	;;#ASMSTART
	v_dot2_f32_f16 v7, v16, v48, v7
	;;#ASMEND
	;;#ASMSTART
	v_dot2_f32_f16 v7, v17, v49, v7
	;;#ASMEND
	;;#ASMSTART
	v_dot2_f32_f16 v7, v18, v50, v7
	;;#ASMEND
	;;#ASMSTART
	v_dot2_f32_f16 v7, v19, v51, v7
	;;#ASMEND
	ds_load_b128 v[16:19], v125 offset:16448
	ds_load_b128 v[20:23], v128 offset:64
	;; [unrolled: 1-line block ×9, first 2 shown]
	s_wait_dscnt 0x7
	;;#ASMSTART
	v_dot2_f32_f16 v0, v16, v20, v0
	;;#ASMEND
	;;#ASMSTART
	v_dot2_f32_f16 v0, v17, v21, v0
	;;#ASMEND
	;;#ASMSTART
	v_dot2_f32_f16 v0, v18, v22, v0
	;;#ASMEND
	;;#ASMSTART
	v_dot2_f32_f16 v0, v19, v23, v0
	;;#ASMEND
	s_wait_dscnt 0x6
	;;#ASMSTART
	v_dot2_f32_f16 v1, v16, v24, v1
	;;#ASMEND
	;;#ASMSTART
	v_dot2_f32_f16 v1, v17, v25, v1
	;;#ASMEND
	;;#ASMSTART
	v_dot2_f32_f16 v1, v18, v26, v1
	;;#ASMEND
	;;#ASMSTART
	v_dot2_f32_f16 v1, v19, v27, v1
	;;#ASMEND
	;; [unrolled: 13-line block ×8, first 2 shown]
	ds_load_b128 v[16:19], v125 offset:16464
	ds_load_b128 v[20:23], v128 offset:80
	;; [unrolled: 1-line block ×9, first 2 shown]
	s_wait_dscnt 0x7
	;;#ASMSTART
	v_dot2_f32_f16 v0, v16, v20, v0
	;;#ASMEND
	;;#ASMSTART
	v_dot2_f32_f16 v0, v17, v21, v0
	;;#ASMEND
	;;#ASMSTART
	v_dot2_f32_f16 v0, v18, v22, v0
	;;#ASMEND
	;;#ASMSTART
	v_dot2_f32_f16 v0, v19, v23, v0
	;;#ASMEND
	s_wait_dscnt 0x6
	;;#ASMSTART
	v_dot2_f32_f16 v1, v16, v24, v1
	;;#ASMEND
	;;#ASMSTART
	v_dot2_f32_f16 v1, v17, v25, v1
	;;#ASMEND
	;;#ASMSTART
	v_dot2_f32_f16 v1, v18, v26, v1
	;;#ASMEND
	;;#ASMSTART
	v_dot2_f32_f16 v1, v19, v27, v1
	;;#ASMEND
	;; [unrolled: 13-line block ×8, first 2 shown]
	s_wait_loadcnt 0x0
	s_barrier_signal -1
	s_barrier_wait -1
	global_inv scope:SCOPE_SE
	s_and_saveexec_b32 s7, vcc_lo
	s_cbranch_execz .LBB0_17
; %bb.16:                               ;   in Loop: Header=BB0_11 Depth=1
	v_add_co_u32 v16, s6, s8, v108
	s_wait_alu 0xf1ff
	v_add_co_ci_u32_e64 v17, null, s9, v109, s6
	s_delay_alu instid0(VALU_DEP_2) | instskip(SKIP_1) | instid1(VALU_DEP_2)
	v_add_co_u32 v16, s6, v16, v136
	s_wait_alu 0xf1ff
	v_add_co_ci_u32_e64 v17, null, 0, v17, s6
	global_load_b128 v[16:19], v[16:17], off offset:160
	s_wait_loadcnt 0x0
	ds_store_b128 v129, v[16:19]
.LBB0_17:                               ;   in Loop: Header=BB0_11 Depth=1
	s_wait_alu 0xfffe
	s_or_b32 exec_lo, exec_lo, s7
	s_and_saveexec_b32 s7, s3
	s_cbranch_execz .LBB0_19
; %bb.18:                               ;   in Loop: Header=BB0_11 Depth=1
	v_add_co_u32 v16, s6, s8, v110
	s_wait_alu 0xf1ff
	v_add_co_ci_u32_e64 v17, null, s9, v111, s6
	s_delay_alu instid0(VALU_DEP_2) | instskip(SKIP_1) | instid1(VALU_DEP_2)
	v_add_co_u32 v16, s6, v16, v137
	s_wait_alu 0xf1ff
	v_add_co_ci_u32_e64 v17, null, 0, v17, s6
	global_load_b128 v[16:19], v[16:17], off offset:96
	s_wait_loadcnt 0x0
	ds_store_b128 v130, v[16:19]
.LBB0_19:                               ;   in Loop: Header=BB0_11 Depth=1
	s_wait_alu 0xfffe
	s_or_b32 exec_lo, exec_lo, s7
	s_wait_loadcnt_dscnt 0x0
	s_barrier_signal -1
	s_barrier_wait -1
	global_inv scope:SCOPE_SE
	ds_load_b128 v[16:19], v125 offset:16384
	ds_load_b128 v[20:23], v128 offset:96
	;; [unrolled: 1-line block ×9, first 2 shown]
	v_add_nc_u32_e32 v52, s26, v107
	v_xor_b32_e32 v154, 16, v120
	v_xor_b32_e32 v155, 8, v120
	;; [unrolled: 1-line block ×4, first 2 shown]
	v_ashrrev_i32_e32 v53, 31, v52
	v_xor_b32_e32 v158, 1, v120
	s_mul_u64 s[22:23], s[26:27], s[44:45]
	s_wait_dscnt 0x7
	;;#ASMSTART
	v_dot2_f32_f16 v0, v16, v20, v0
	;;#ASMEND
	;;#ASMSTART
	v_dot2_f32_f16 v0, v17, v21, v0
	;;#ASMEND
	;;#ASMSTART
	v_dot2_f32_f16 v0, v18, v22, v0
	;;#ASMEND
	;;#ASMSTART
	v_dot2_f32_f16 v0, v19, v23, v0
	;;#ASMEND
	s_wait_dscnt 0x6
	;;#ASMSTART
	v_dot2_f32_f16 v1, v16, v24, v1
	;;#ASMEND
	;;#ASMSTART
	v_dot2_f32_f16 v1, v17, v25, v1
	;;#ASMEND
	;;#ASMSTART
	v_dot2_f32_f16 v1, v18, v26, v1
	;;#ASMEND
	;;#ASMSTART
	v_dot2_f32_f16 v1, v19, v27, v1
	;;#ASMEND
	;; [unrolled: 13-line block ×8, first 2 shown]
	ds_load_b128 v[16:19], v125 offset:16400
	ds_load_b128 v[20:23], v128 offset:112
	;; [unrolled: 1-line block ×9, first 2 shown]
	s_wait_dscnt 0x7
	;;#ASMSTART
	v_dot2_f32_f16 v0, v16, v20, v0
	;;#ASMEND
	;;#ASMSTART
	v_dot2_f32_f16 v0, v17, v21, v0
	;;#ASMEND
	;;#ASMSTART
	v_dot2_f32_f16 v0, v18, v22, v0
	;;#ASMEND
	;;#ASMSTART
	v_dot2_f32_f16 v0, v19, v23, v0
	;;#ASMEND
	s_wait_dscnt 0x6
	;;#ASMSTART
	v_dot2_f32_f16 v1, v16, v24, v1
	;;#ASMEND
	;;#ASMSTART
	v_dot2_f32_f16 v1, v17, v25, v1
	;;#ASMEND
	;;#ASMSTART
	v_dot2_f32_f16 v1, v18, v26, v1
	;;#ASMEND
	;;#ASMSTART
	v_dot2_f32_f16 v1, v19, v27, v1
	;;#ASMEND
	;; [unrolled: 13-line block ×8, first 2 shown]
	ds_load_b128 v[16:19], v125 offset:16416
	ds_load_b128 v[20:23], v128 offset:128
	;; [unrolled: 1-line block ×9, first 2 shown]
	s_wait_dscnt 0x7
	;;#ASMSTART
	v_dot2_f32_f16 v0, v16, v20, v0
	;;#ASMEND
	;;#ASMSTART
	v_dot2_f32_f16 v0, v17, v21, v0
	;;#ASMEND
	;;#ASMSTART
	v_dot2_f32_f16 v0, v18, v22, v0
	;;#ASMEND
	;;#ASMSTART
	v_dot2_f32_f16 v0, v19, v23, v0
	;;#ASMEND
	s_wait_dscnt 0x6
	;;#ASMSTART
	v_dot2_f32_f16 v1, v16, v24, v1
	;;#ASMEND
	;;#ASMSTART
	v_dot2_f32_f16 v1, v17, v25, v1
	;;#ASMEND
	;;#ASMSTART
	v_dot2_f32_f16 v1, v18, v26, v1
	;;#ASMEND
	;;#ASMSTART
	v_dot2_f32_f16 v1, v19, v27, v1
	;;#ASMEND
	;; [unrolled: 13-line block ×8, first 2 shown]
	ds_load_b128 v[16:19], v125 offset:16432
	ds_load_b128 v[20:23], v128 offset:144
	;; [unrolled: 1-line block ×9, first 2 shown]
	s_wait_dscnt 0x7
	;;#ASMSTART
	v_dot2_f32_f16 v0, v16, v20, v0
	;;#ASMEND
	;;#ASMSTART
	v_dot2_f32_f16 v0, v17, v21, v0
	;;#ASMEND
	;;#ASMSTART
	v_dot2_f32_f16 v0, v18, v22, v0
	;;#ASMEND
	;;#ASMSTART
	v_dot2_f32_f16 v0, v19, v23, v0
	;;#ASMEND
	s_wait_dscnt 0x6
	;;#ASMSTART
	v_dot2_f32_f16 v1, v16, v24, v1
	;;#ASMEND
	;;#ASMSTART
	v_dot2_f32_f16 v1, v17, v25, v1
	;;#ASMEND
	;;#ASMSTART
	v_dot2_f32_f16 v1, v18, v26, v1
	;;#ASMEND
	;;#ASMSTART
	v_dot2_f32_f16 v1, v19, v27, v1
	;;#ASMEND
	;; [unrolled: 13-line block ×8, first 2 shown]
	ds_load_b128 v[16:19], v125 offset:16448
	ds_load_b128 v[20:23], v128 offset:160
	;; [unrolled: 1-line block ×9, first 2 shown]
	s_wait_dscnt 0x7
	;;#ASMSTART
	v_dot2_f32_f16 v0, v16, v20, v0
	;;#ASMEND
	;;#ASMSTART
	v_dot2_f32_f16 v0, v17, v21, v0
	;;#ASMEND
	;;#ASMSTART
	v_dot2_f32_f16 v0, v18, v22, v0
	;;#ASMEND
	;;#ASMSTART
	v_dot2_f32_f16 v0, v19, v23, v0
	;;#ASMEND
	s_wait_dscnt 0x6
	;;#ASMSTART
	v_dot2_f32_f16 v1, v16, v24, v1
	;;#ASMEND
	;;#ASMSTART
	v_dot2_f32_f16 v1, v17, v25, v1
	;;#ASMEND
	;;#ASMSTART
	v_dot2_f32_f16 v1, v18, v26, v1
	;;#ASMEND
	;;#ASMSTART
	v_dot2_f32_f16 v1, v19, v27, v1
	;;#ASMEND
	;; [unrolled: 13-line block ×8, first 2 shown]
	ds_load_b128 v[16:19], v125 offset:16464
	ds_load_b128 v[20:23], v128 offset:176
	;; [unrolled: 1-line block ×3, first 2 shown]
	v_lshlrev_b64_e32 v[36:37], 1, v[52:53]
	ds_load_b128 v[28:31], v128 offset:560
	ds_load_b128 v[32:35], v128 offset:752
	s_wait_alu 0xfffe
	s_lshl_b64 s[22:23], s[22:23], 2
	s_wait_alu 0xfffe
	s_add_nc_u64 s[54:55], s[50:51], s[22:23]
	v_add_co_u32 v52, s6, s42, v36
	s_wait_alu 0xf1ff
	v_add_co_ci_u32_e64 v53, null, s43, v37, s6
	ds_load_b128 v[36:39], v128 offset:944
	ds_load_b128 v[40:43], v128 offset:1136
	;; [unrolled: 1-line block ×4, first 2 shown]
	s_wait_dscnt 0x7
	;;#ASMSTART
	v_dot2_f32_f16 v0, v16, v20, v0
	;;#ASMEND
	;;#ASMSTART
	v_dot2_f32_f16 v0, v17, v21, v0
	;;#ASMEND
	;;#ASMSTART
	v_dot2_f32_f16 v0, v18, v22, v0
	;;#ASMEND
	;;#ASMSTART
	v_dot2_f32_f16 v0, v19, v23, v0
	;;#ASMEND
	s_wait_dscnt 0x6
	;;#ASMSTART
	v_dot2_f32_f16 v1, v16, v24, v1
	;;#ASMEND
	;;#ASMSTART
	v_dot2_f32_f16 v1, v17, v25, v1
	;;#ASMEND
	;;#ASMSTART
	v_dot2_f32_f16 v1, v18, v26, v1
	;;#ASMEND
	;;#ASMSTART
	v_dot2_f32_f16 v1, v19, v27, v1
	;;#ASMEND
	;; [unrolled: 13-line block ×8, first 2 shown]
	global_load_u16 v16, v[52:53], off
	v_dual_max_num_f32 v18, v9, v9 :: v_dual_max_num_f32 v19, v10, v10
	v_cmp_gt_i32_e64 s6, 32, v154
	v_dual_max_num_f32 v23, v13, v13 :: v_dual_max_num_f32 v24, v14, v14
	v_dual_max_num_f32 v20, v11, v11 :: v_dual_max_num_f32 v21, v12, v12
	s_wait_alu 0xf1ff
	s_delay_alu instid0(VALU_DEP_3)
	v_cndmask_b32_e64 v22, v120, v154, s6
	v_max_num_f32_e32 v25, v15, v15
	v_max_num_f32_e32 v17, v8, v8
	v_cmp_gt_i32_e64 s6, 32, v155
	s_wait_loadcnt 0x0
	v_lshlrev_b32_e32 v22, 2, v22
	s_barrier_signal -1
	s_barrier_wait -1
	global_inv scope:SCOPE_SE
	v_cvt_f32_f16_e32 v16, v16
	s_delay_alu instid0(VALU_DEP_1) | instskip(SKIP_2) | instid1(VALU_DEP_3)
	v_add_f32_e32 v31, v5, v16
	v_add_f32_e32 v30, v4, v16
	;; [unrolled: 1-line block ×3, first 2 shown]
	v_dual_add_f32 v26, v0, v16 :: v_dual_add_f32 v5, 0x40051340, v31
	s_delay_alu instid0(VALU_DEP_3) | instskip(NEXT) | instid1(VALU_DEP_3)
	v_dual_add_f32 v29, v3, v16 :: v_dual_add_f32 v4, 0x40051340, v30
	v_dual_add_f32 v28, v2, v16 :: v_dual_add_f32 v1, 0x40051340, v27
	s_delay_alu instid0(VALU_DEP_3) | instskip(NEXT) | instid1(VALU_DEP_3)
	v_max_num_f32_e32 v5, v23, v5
	v_dual_add_f32 v3, 0x40051340, v29 :: v_dual_add_f32 v32, v6, v16
	s_delay_alu instid0(VALU_DEP_3) | instskip(NEXT) | instid1(VALU_DEP_4)
	v_add_f32_e32 v2, 0x40051340, v28
	v_dual_add_f32 v16, v7, v16 :: v_dual_max_num_f32 v1, v18, v1
	s_delay_alu instid0(VALU_DEP_3) | instskip(NEXT) | instid1(VALU_DEP_2)
	v_dual_add_f32 v0, 0x40051340, v26 :: v_dual_max_num_f32 v3, v20, v3
	v_dual_max_num_f32 v2, v19, v2 :: v_dual_add_f32 v7, 0x40051340, v16
	v_add_f32_e32 v6, 0x40051340, v32
	ds_bpermute_b32 v18, v22, v1
	ds_bpermute_b32 v20, v22, v3
	;; [unrolled: 1-line block ×3, first 2 shown]
	v_max_num_f32_e32 v7, v25, v7
	s_wait_alu 0xf1ff
	v_cndmask_b32_e64 v25, v120, v155, s6
	v_max_num_f32_e32 v0, v17, v0
	v_max_num_f32_e32 v4, v21, v4
	;; [unrolled: 1-line block ×3, first 2 shown]
	ds_bpermute_b32 v23, v22, v5
	v_lshlrev_b32_e32 v25, 2, v25
	ds_bpermute_b32 v17, v22, v0
	v_cmp_gt_i32_e64 s6, 32, v156
	ds_bpermute_b32 v24, v22, v6
	s_wait_dscnt 0x3
	v_dual_max_num_f32 v18, v18, v18 :: v_dual_max_num_f32 v19, v19, v19
	ds_bpermute_b32 v21, v22, v4
	ds_bpermute_b32 v22, v22, v7
	v_dual_max_num_f32 v20, v20, v20 :: v_dual_max_num_f32 v1, v1, v18
	s_wait_dscnt 0x4
	v_max_num_f32_e32 v23, v23, v23
	s_wait_dscnt 0x3
	v_max_num_f32_e32 v17, v17, v17
	ds_bpermute_b32 v18, v25, v1
	s_wait_dscnt 0x3
	v_dual_max_num_f32 v24, v24, v24 :: v_dual_max_num_f32 v5, v5, v23
	v_max_num_f32_e32 v0, v0, v17
	s_delay_alu instid0(VALU_DEP_2)
	v_max_num_f32_e32 v6, v6, v24
	ds_bpermute_b32 v17, v25, v0
	ds_bpermute_b32 v23, v25, v6
	s_wait_dscnt 0x3
	v_dual_max_num_f32 v21, v21, v21 :: v_dual_max_num_f32 v22, v22, v22
	v_dual_max_num_f32 v3, v3, v20 :: v_dual_max_num_f32 v2, v2, v19
	s_delay_alu instid0(VALU_DEP_2)
	v_dual_max_num_f32 v4, v4, v21 :: v_dual_max_num_f32 v7, v7, v22
	ds_bpermute_b32 v22, v25, v5
	ds_bpermute_b32 v19, v25, v2
	;; [unrolled: 1-line block ×5, first 2 shown]
	s_wait_alu 0xf1ff
	v_cndmask_b32_e64 v25, v120, v156, s6
	s_wait_dscnt 0x7
	v_max_num_f32_e32 v18, v18, v18
	v_cmp_gt_i32_e64 s6, 32, v157
	s_wait_dscnt 0x6
	v_max_num_f32_e32 v17, v17, v17
	v_lshlrev_b32_e32 v25, 2, v25
	v_max_num_f32_e32 v1, v1, v18
	s_wait_dscnt 0x5
	s_delay_alu instid0(VALU_DEP_3)
	v_dual_max_num_f32 v23, v23, v23 :: v_dual_max_num_f32 v0, v0, v17
	ds_bpermute_b32 v18, v25, v1
	s_wait_dscnt 0x4
	v_dual_max_num_f32 v22, v22, v22 :: v_dual_max_num_f32 v19, v19, v19
	s_wait_dscnt 0x2
	v_dual_max_num_f32 v20, v20, v20 :: v_dual_max_num_f32 v21, v21, v21
	s_wait_dscnt 0x1
	s_delay_alu instid0(VALU_DEP_2) | instskip(NEXT) | instid1(VALU_DEP_2)
	v_dual_max_num_f32 v24, v24, v24 :: v_dual_max_num_f32 v5, v5, v22
	v_dual_max_num_f32 v2, v2, v19 :: v_dual_max_num_f32 v3, v3, v20
	s_delay_alu instid0(VALU_DEP_3) | instskip(NEXT) | instid1(VALU_DEP_3)
	v_max_num_f32_e32 v4, v4, v21
	v_dual_max_num_f32 v6, v6, v23 :: v_dual_max_num_f32 v7, v7, v24
	ds_bpermute_b32 v19, v25, v2
	ds_bpermute_b32 v22, v25, v5
	;; [unrolled: 1-line block ×7, first 2 shown]
	s_wait_alu 0xf1ff
	v_cndmask_b32_e64 v25, v120, v157, s6
	s_wait_dscnt 0x7
	v_max_num_f32_e32 v18, v18, v18
	v_cmp_gt_i32_e64 s6, 32, v158
	s_delay_alu instid0(VALU_DEP_3)
	v_lshlrev_b32_e32 v25, 2, v25
	s_wait_dscnt 0x5
	v_dual_max_num_f32 v19, v19, v19 :: v_dual_max_num_f32 v22, v22, v22
	v_max_num_f32_e32 v1, v1, v18
	s_wait_dscnt 0x3
	v_dual_max_num_f32 v17, v17, v17 :: v_dual_max_num_f32 v20, v20, v20
	s_wait_dscnt 0x2
	v_dual_max_num_f32 v2, v2, v19 :: v_dual_max_num_f32 v21, v21, v21
	s_wait_dscnt 0x0
	v_max_num_f32_e32 v24, v24, v24
	ds_bpermute_b32 v18, v25, v1
	v_dual_max_num_f32 v23, v23, v23 :: v_dual_max_num_f32 v0, v0, v17
	v_dual_max_num_f32 v3, v3, v20 :: v_dual_max_num_f32 v4, v4, v21
	s_delay_alu instid0(VALU_DEP_2)
	v_dual_max_num_f32 v5, v5, v22 :: v_dual_max_num_f32 v6, v6, v23
	v_max_num_f32_e32 v7, v7, v24
	ds_bpermute_b32 v17, v25, v0
	ds_bpermute_b32 v19, v25, v2
	;; [unrolled: 1-line block ×6, first 2 shown]
	s_wait_dscnt 0x6
	v_max_num_f32_e32 v18, v18, v18
	ds_bpermute_b32 v24, v25, v7
	s_wait_alu 0xf1ff
	v_cndmask_b32_e64 v25, v120, v158, s6
	s_delay_alu instid0(VALU_DEP_1)
	v_lshlrev_b32_e32 v25, 2, v25
	s_wait_dscnt 0x6
	v_max_num_f32_e32 v17, v17, v17
	s_wait_dscnt 0x4
	v_dual_max_num_f32 v19, v19, v19 :: v_dual_max_num_f32 v20, v20, v20
	s_wait_dscnt 0x1
	v_dual_max_num_f32 v22, v22, v22 :: v_dual_max_num_f32 v23, v23, v23
	s_delay_alu instid0(VALU_DEP_2) | instskip(NEXT) | instid1(VALU_DEP_2)
	v_dual_max_num_f32 v0, v0, v17 :: v_dual_max_num_f32 v3, v3, v20
	v_max_num_f32_e32 v6, v6, v23
	ds_bpermute_b32 v17, v25, v0
	ds_bpermute_b32 v20, v25, v3
	s_wait_dscnt 0x2
	v_dual_max_num_f32 v24, v24, v24 :: v_dual_max_num_f32 v21, v21, v21
	v_dual_max_num_f32 v2, v2, v19 :: v_dual_max_num_f32 v1, v1, v18
	v_max_num_f32_e32 v5, v5, v22
	ds_bpermute_b32 v23, v25, v6
	v_max_num_f32_e32 v4, v4, v21
	ds_bpermute_b32 v19, v25, v2
	ds_bpermute_b32 v18, v25, v1
	v_max_num_f32_e32 v7, v7, v24
	ds_bpermute_b32 v21, v25, v4
	s_wait_dscnt 0x4
	v_max_num_f32_e32 v20, v20, v20
	ds_bpermute_b32 v22, v25, v5
	s_wait_dscnt 0x2
	v_dual_max_num_f32 v17, v17, v17 :: v_dual_max_num_f32 v18, v18, v18
	ds_bpermute_b32 v24, v25, v7
	s_wait_dscnt 0x1
	v_dual_max_num_f32 v19, v19, v19 :: v_dual_max_num_f32 v22, v22, v22
	v_dual_max_num_f32 v23, v23, v23 :: v_dual_max_num_f32 v0, v0, v17
	v_max_num_f32_e32 v3, v3, v20
	s_delay_alu instid0(VALU_DEP_2) | instskip(NEXT) | instid1(VALU_DEP_2)
	v_dual_max_num_f32 v5, v5, v22 :: v_dual_max_num_f32 v6, v6, v23
	v_dual_sub_f32 v177, v8, v0 :: v_dual_sub_f32 v174, v11, v3
	s_wait_dscnt 0x0
	v_dual_max_num_f32 v24, v24, v24 :: v_dual_max_num_f32 v21, v21, v21
	v_dual_max_num_f32 v2, v2, v19 :: v_dual_max_num_f32 v1, v1, v18
	v_sub_f32_e32 v8, v26, v0
	s_delay_alu instid0(VALU_DEP_3) | instskip(NEXT) | instid1(VALU_DEP_3)
	v_dual_sub_f32 v171, v14, v6 :: v_dual_max_num_f32 v4, v4, v21
	v_dual_max_num_f32 v7, v7, v24 :: v_dual_sub_f32 v176, v9, v1
	v_sub_f32_e32 v9, v27, v1
	v_dual_sub_f32 v175, v10, v2 :: v_dual_sub_f32 v172, v13, v5
	v_sub_f32_e32 v10, v28, v2
	s_delay_alu instid0(VALU_DEP_4) | instskip(SKIP_4) | instid1(VALU_DEP_4)
	v_dual_sub_f32 v173, v12, v4 :: v_dual_sub_f32 v170, v15, v7
	v_dual_sub_f32 v15, v16, v7 :: v_dual_mul_f32 v16, 0x3fb8aa3b, v8
	v_dual_sub_f32 v11, v29, v3 :: v_dual_sub_f32 v12, v30, v4
	v_mul_f32_e32 v17, 0x3fb8aa3b, v9
	v_dual_sub_f32 v13, v31, v5 :: v_dual_sub_f32 v14, v32, v6
	v_fma_f32 v24, 0x3fb8aa3b, v8, -v16
	v_rndne_f32_e32 v25, v16
	v_dual_mul_f32 v18, 0x3fb8aa3b, v10 :: v_dual_mul_f32 v19, 0x3fb8aa3b, v11
	s_delay_alu instid0(VALU_DEP_4) | instskip(SKIP_1) | instid1(VALU_DEP_4)
	v_mul_f32_e32 v22, 0x3fb8aa3b, v14
	v_dual_mul_f32 v20, 0x3fb8aa3b, v12 :: v_dual_mul_f32 v23, 0x3fb8aa3b, v15
	v_sub_f32_e32 v16, v16, v25
	v_fma_f32 v26, 0x3fb8aa3b, v9, -v17
	v_rndne_f32_e32 v27, v17
	v_fmac_f32_e32 v24, 0x32a5705f, v8
	v_fma_f32 v28, 0x3fb8aa3b, v10, -v18
	v_rndne_f32_e32 v29, v18
	v_fma_f32 v30, 0x3fb8aa3b, v11, -v19
	v_rndne_f32_e32 v31, v19
	v_dual_fmac_f32 v26, 0x32a5705f, v9 :: v_dual_sub_f32 v17, v17, v27
	v_dual_mul_f32 v21, 0x3fb8aa3b, v13 :: v_dual_add_f32 v16, v16, v24
	v_fma_f32 v38, 0x3fb8aa3b, v15, -v23
	v_rndne_f32_e32 v39, v23
	v_sub_f32_e32 v18, v18, v29
	s_delay_alu instid0(VALU_DEP_4)
	v_rndne_f32_e32 v35, v21
	v_dual_fmac_f32 v28, 0x32a5705f, v10 :: v_dual_sub_f32 v19, v19, v31
	v_dual_fmac_f32 v30, 0x32a5705f, v11 :: v_dual_add_f32 v17, v17, v26
	v_exp_f32_e32 v16, v16
	v_fma_f32 v32, 0x3fb8aa3b, v12, -v20
	v_rndne_f32_e32 v33, v20
	v_fma_f32 v34, 0x3fb8aa3b, v13, -v21
	v_cvt_i32_f32_e32 v25, v25
	v_sub_f32_e32 v21, v21, v35
	v_fmac_f32_e32 v38, 0x32a5705f, v15
	v_dual_sub_f32 v23, v23, v39 :: v_dual_add_f32 v18, v18, v28
	v_exp_f32_e32 v17, v17
	v_cvt_i32_f32_e32 v27, v27
	v_dual_fmac_f32 v32, 0x32a5705f, v12 :: v_dual_add_f32 v19, v19, v30
	s_delay_alu instid0(VALU_DEP_3)
	v_dual_fmac_f32 v34, 0x32a5705f, v13 :: v_dual_add_f32 v23, v23, v38
	v_sub_f32_e32 v20, v20, v33
	v_exp_f32_e32 v18, v18
	v_ldexp_f32 v16, v16, v25
	v_cmp_ngt_f32_e64 s20, 0xc2ce8ed0, v8
	v_fma_f32 v36, 0x3fb8aa3b, v14, -v22
	v_rndne_f32_e32 v37, v22
	v_cvt_i32_f32_e32 v29, v29
	v_dual_add_f32 v21, v21, v34 :: v_dual_add_f32 v20, v20, v32
	v_exp_f32_e32 v19, v19
	v_ldexp_f32 v17, v17, v27
	s_wait_alu 0xf1ff
	v_cndmask_b32_e64 v16, 0, v16, s20
	v_cmp_ngt_f32_e64 s20, 0xc2ce8ed0, v9
	v_cvt_i32_f32_e32 v31, v31
	v_fmac_f32_e32 v36, 0x32a5705f, v14
	v_sub_f32_e32 v22, v22, v37
	v_exp_f32_e32 v20, v20
	v_ldexp_f32 v18, v18, v29
	s_wait_alu 0xf1ff
	v_cndmask_b32_e64 v17, 0, v17, s20
	v_cmp_ngt_f32_e64 s20, 0xc2ce8ed0, v10
	v_cvt_i32_f32_e32 v33, v33
	v_add_f32_e32 v22, v22, v36
	v_exp_f32_e32 v21, v21
	v_ldexp_f32 v19, v19, v31
	s_wait_alu 0xf1ff
	v_cndmask_b32_e64 v18, 0, v18, s20
	v_cmp_ngt_f32_e64 s20, 0xc2ce8ed0, v11
	v_cvt_i32_f32_e32 v35, v35
	v_exp_f32_e32 v22, v22
	v_ldexp_f32 v20, v20, v33
	v_exp_f32_e32 v23, v23
	s_wait_alu 0xf1ff
	v_cndmask_b32_e64 v19, 0, v19, s20
	v_cmp_ngt_f32_e64 s20, 0xc2ce8ed0, v12
	v_cvt_i32_f32_e32 v24, v37
	v_ldexp_f32 v21, v21, v35
	v_cvt_i32_f32_e32 v26, v39
	v_cmp_ngt_f32_e64 s18, 0xc2ce8ed0, v177
	s_wait_alu 0xf1ff
	v_cndmask_b32_e64 v20, 0, v20, s20
	v_cmp_ngt_f32_e64 s20, 0xc2ce8ed0, v13
	v_ldexp_f32 v22, v22, v24
	v_ldexp_f32 v23, v23, v26
	v_cmp_nlt_f32_e64 s17, 0x42b17218, v177
	v_cmp_ngt_f32_e64 s19, 0xc2ce8ed0, v176
	s_wait_alu 0xf1ff
	v_cndmask_b32_e64 v21, 0, v21, s20
	v_cmp_ngt_f32_e64 s20, 0xc2ce8ed0, v14
	v_cmp_nlt_f32_e64 s16, 0x42b17218, v176
	v_cmp_ngt_f32_e64 s15, 0xc2ce8ed0, v175
	v_cmp_nlt_f32_e64 s14, 0x42b17218, v175
	v_cmp_ngt_f32_e64 s13, 0xc2ce8ed0, v174
	s_wait_alu 0xf1ff
	v_cndmask_b32_e64 v22, 0, v22, s20
	v_cmp_ngt_f32_e64 s20, 0xc2ce8ed0, v15
	v_cmp_nlt_f32_e64 s9, 0x42b17218, v174
	v_cmp_ngt_f32_e64 s11, 0xc2ce8ed0, v173
	v_cmp_nlt_f32_e64 s7, 0x42b17218, v173
	v_cmp_ngt_f32_e64 s12, 0xc2ce8ed0, v172
	s_wait_alu 0xf1ff
	v_cndmask_b32_e64 v23, 0, v23, s20
	v_cmp_nlt_f32_e64 s20, 0x42b17218, v8
	v_cmp_nlt_f32_e64 s8, 0x42b17218, v172
	v_cmp_ngt_f32_e64 s10, 0xc2ce8ed0, v171
	v_cmp_nlt_f32_e64 s6, 0x42b17218, v171
	v_cmp_ngt_f32_e64 s21, 0xc2ce8ed0, v170
	s_wait_alu 0xf1ff
	v_cndmask_b32_e64 v166, 0x7f800000, v16, s20
	v_cmp_nlt_f32_e64 s20, 0x42b17218, v9
	s_delay_alu instid0(VALU_DEP_2) | instskip(SKIP_1) | instid1(VALU_DEP_2)
	v_cvt_f16_f32_e64 v8, v166
	s_wait_alu 0xf1ff
	v_cndmask_b32_e64 v165, 0x7f800000, v17, s20
	v_cmp_nlt_f32_e64 s20, 0x42b17218, v10
	s_wait_alu 0xf1ff
	s_delay_alu instid0(VALU_DEP_1) | instskip(SKIP_1) | instid1(VALU_DEP_2)
	v_cndmask_b32_e64 v164, 0x7f800000, v18, s20
	v_cmp_nlt_f32_e64 s20, 0x42b17218, v11
	v_cvt_f16_f32_e64 v9, v164
	s_wait_alu 0xf1ff
	s_delay_alu instid0(VALU_DEP_2) | instskip(SKIP_2) | instid1(VALU_DEP_1)
	v_cndmask_b32_e64 v163, 0x7f800000, v19, s20
	v_cmp_nlt_f32_e64 s20, 0x42b17218, v12
	s_wait_alu 0xf1ff
	v_cndmask_b32_e64 v162, 0x7f800000, v20, s20
	v_cmp_nlt_f32_e64 s20, 0x42b17218, v13
	s_delay_alu instid0(VALU_DEP_2) | instskip(SKIP_1) | instid1(VALU_DEP_2)
	v_cvt_f16_f32_e64 v10, v162
	s_wait_alu 0xf1ff
	v_cndmask_b32_e64 v161, 0x7f800000, v21, s20
	v_cmp_nlt_f32_e64 s20, 0x42b17218, v14
	v_cvt_f16_f32_e64 v14, v163
	s_delay_alu instid0(VALU_DEP_3) | instskip(SKIP_1) | instid1(VALU_DEP_3)
	v_cvt_f16_f32_e64 v13, v161
	s_wait_alu 0xf1ff
	v_cndmask_b32_e64 v160, 0x7f800000, v22, s20
	v_cmp_nlt_f32_e64 s20, 0x42b17218, v15
	v_cvt_f16_f32_e64 v15, v165
	v_pack_b32_f16 v9, v9, v14
	v_pack_b32_f16 v10, v10, v13
	v_cvt_f16_f32_e64 v11, v160
	s_wait_alu 0xf1ff
	v_cndmask_b32_e64 v159, 0x7f800000, v23, s20
	v_pack_b32_f16 v8, v8, v15
	v_cmp_nlt_f32_e64 s20, 0x42b17218, v170
	s_delay_alu instid0(VALU_DEP_3) | instskip(NEXT) | instid1(VALU_DEP_1)
	v_cvt_f16_f32_e64 v12, v159
	v_pack_b32_f16 v11, v11, v12
	ds_store_b128 v135, v[8:11]
	s_and_saveexec_b32 s23, s4
	s_cbranch_execz .LBB0_21
; %bb.20:                               ;   in Loop: Header=BB0_11 Depth=1
	s_wait_alu 0xfffe
	v_add_co_u32 v8, s22, s54, v112
	s_wait_alu 0xf1ff
	v_add_co_ci_u32_e64 v9, null, s55, v113, s22
	s_delay_alu instid0(VALU_DEP_2) | instskip(SKIP_1) | instid1(VALU_DEP_2)
	v_add_co_u32 v8, s22, v8, v137
	s_wait_alu 0xf1ff
	v_add_co_ci_u32_e64 v9, null, 0, v9, s22
	global_load_b128 v[8:11], v[8:9], off offset:128
	s_wait_loadcnt 0x0
	ds_store_b128 v133, v[8:11]
.LBB0_21:                               ;   in Loop: Header=BB0_11 Depth=1
	s_wait_alu 0xfffe
	s_or_b32 exec_lo, exec_lo, s23
	v_lshlrev_b32_e32 v178, 2, v132
	s_and_saveexec_b32 s23, s5
	s_cbranch_execz .LBB0_23
; %bb.22:                               ;   in Loop: Header=BB0_11 Depth=1
	v_add_co_u32 v8, s22, s54, v114
	s_wait_alu 0xf1ff
	v_add_co_ci_u32_e64 v9, null, s55, v115, s22
	s_delay_alu instid0(VALU_DEP_2) | instskip(SKIP_1) | instid1(VALU_DEP_2)
	v_add_co_u32 v8, s22, v8, v178
	s_wait_alu 0xf1ff
	v_add_co_ci_u32_e64 v9, null, 0, v9, s22
	global_load_b128 v[8:11], v[8:9], off
	s_wait_loadcnt 0x0
	ds_store_b128 v134, v[8:11]
.LBB0_23:                               ;   in Loop: Header=BB0_11 Depth=1
	s_wait_alu 0xfffe
	s_or_b32 exec_lo, exec_lo, s23
	v_add_nc_u32_e32 v169, 0x4000, v116
	v_add_nc_u32_e32 v168, 0x4400, v116
	s_wait_loadcnt_dscnt 0x0
	s_barrier_signal -1
	s_barrier_wait -1
	global_inv scope:SCOPE_SE
	ds_load_2addr_b64 v[36:39], v169 offset1:24
	ds_load_b128 v[100:103], v131
	ds_load_b128 v[96:99], v131 offset:16
	ds_load_b128 v[92:95], v131 offset:32
	;; [unrolled: 1-line block ×3, first 2 shown]
	ds_load_2addr_b64 v[32:35], v169 offset0:48 offset1:72
	ds_load_2addr_b64 v[28:31], v169 offset0:96 offset1:120
	ds_load_b128 v[84:87], v131 offset:64
	ds_load_b128 v[80:83], v131 offset:80
	ds_load_2addr_b64 v[24:27], v169 offset0:144 offset1:168
	ds_load_b128 v[76:79], v131 offset:96
	ds_load_b128 v[72:75], v131 offset:112
	ds_load_2addr_b64 v[20:23], v169 offset0:192 offset1:216
	v_add_nc_u32_e32 v167, 0x4800, v116
	ds_load_b128 v[68:71], v131 offset:128
	ds_load_b128 v[64:67], v131 offset:144
	ds_load_2addr_b64 v[16:19], v168 offset0:112 offset1:136
	ds_load_b128 v[60:63], v131 offset:160
	ds_load_b128 v[56:59], v131 offset:176
	ds_load_2addr_b64 v[12:15], v167 offset0:32 offset1:56
	;; [unrolled: 3-line block ×3, first 2 shown]
	ds_load_b128 v[44:47], v131 offset:224
	ds_load_b128 v[40:43], v131 offset:240
	s_or_b32 s22, s26, 16
	s_wait_loadcnt_dscnt 0x0
	s_wait_alu 0xfffe
	s_ashr_i32 s23, s22, 31
	s_barrier_signal -1
	s_wait_alu 0xfffe
	s_mul_u64 s[22:23], s[22:23], s[44:45]
	s_barrier_wait -1
	s_wait_alu 0xfffe
	s_lshl_b64 s[22:23], s[22:23], 2
	global_inv scope:SCOPE_SE
	s_wait_alu 0xfffe
	s_add_nc_u64 s[54:55], s[50:51], s[22:23]
	s_and_saveexec_b32 s23, s4
	s_cbranch_execz .LBB0_25
; %bb.24:                               ;   in Loop: Header=BB0_11 Depth=1
	s_wait_alu 0xfffe
	v_add_co_u32 v179, s22, s54, v112
	s_wait_alu 0xf1ff
	v_add_co_ci_u32_e64 v180, null, s55, v113, s22
	s_delay_alu instid0(VALU_DEP_2) | instskip(SKIP_1) | instid1(VALU_DEP_2)
	v_add_co_u32 v179, s22, v179, v137
	s_wait_alu 0xf1ff
	v_add_co_ci_u32_e64 v180, null, 0, v180, s22
	global_load_b128 v[179:182], v[179:180], off offset:128
	s_wait_loadcnt 0x0
	ds_store_b128 v133, v[179:182]
.LBB0_25:                               ;   in Loop: Header=BB0_11 Depth=1
	s_wait_alu 0xfffe
	s_or_b32 exec_lo, exec_lo, s23
	s_and_saveexec_b32 s23, s5
	s_cbranch_execz .LBB0_27
; %bb.26:                               ;   in Loop: Header=BB0_11 Depth=1
	v_add_co_u32 v179, s22, s54, v114
	s_wait_alu 0xf1ff
	v_add_co_ci_u32_e64 v180, null, s55, v115, s22
	s_delay_alu instid0(VALU_DEP_2) | instskip(SKIP_1) | instid1(VALU_DEP_2)
	v_add_co_u32 v178, s22, v179, v178
	s_wait_alu 0xf1ff
	v_add_co_ci_u32_e64 v179, null, 0, v180, s22
	global_load_b128 v[178:181], v[178:179], off
	s_wait_loadcnt 0x0
	ds_store_b128 v134, v[178:181]
.LBB0_27:                               ;   in Loop: Header=BB0_11 Depth=1
	s_wait_alu 0xfffe
	s_or_b32 exec_lo, exec_lo, s23
	v_dual_mul_f32 v237, 0x3fb8aa3b, v177 :: v_dual_mul_f32 v240, 0x3fb8aa3b, v176
	v_lshrrev_b32_e32 v178, 16, v100
	v_lshrrev_b32_e32 v179, 16, v101
	;; [unrolled: 1-line block ×3, first 2 shown]
	s_delay_alu instid0(VALU_DEP_4)
	v_fma_f32 v239, 0x3fb8aa3b, v177, -v237
	v_rndne_f32_e32 v241, v237
	v_and_b32_e32 v100, 0xffff, v100
	v_rndne_f32_e32 v243, v240
	v_and_b32_e32 v101, 0xffff, v101
	v_fmac_f32_e32 v239, 0x32a5705f, v177
	v_fma_f32 v177, 0x3fb8aa3b, v176, -v240
	v_dual_sub_f32 v237, v237, v241 :: v_dual_and_b32 v102, 0xffff, v102
	v_lshrrev_b32_e32 v181, 16, v103
	v_mul_f32_e32 v247, 0x3fb8aa3b, v174
	s_delay_alu instid0(VALU_DEP_4) | instskip(NEXT) | instid1(VALU_DEP_4)
	v_dual_fmac_f32 v177, 0x32a5705f, v176 :: v_dual_sub_f32 v176, v240, v243
	v_add_f32_e32 v237, v237, v239
	v_mul_f32_e32 v239, 0x3fb8aa3b, v175
	v_and_b32_e32 v103, 0xffff, v103
	v_lshrrev_b32_e32 v182, 16, v96
	v_add_f32_e32 v176, v176, v177
	v_exp_f32_e32 v177, v237
	v_fma_f32 v237, 0x3fb8aa3b, v175, -v239
	v_rndne_f32_e32 v246, v239
	v_and_b32_e32 v96, 0xffff, v96
	v_cvt_i32_f32_e32 v241, v241
	v_exp_f32_e32 v176, v176
	v_fmac_f32_e32 v237, 0x32a5705f, v175
	v_sub_f32_e32 v175, v239, v246
	v_fma_f32 v239, 0x3fb8aa3b, v174, -v247
	v_rndne_f32_e32 v248, v247
	v_lshrrev_b32_e32 v183, 16, v97
	v_lshrrev_b32_e32 v184, 16, v98
	v_and_b32_e32 v97, 0xffff, v97
	v_dual_add_f32 v175, v175, v237 :: v_dual_and_b32 v98, 0xffff, v98
	v_ldexp_f32 v177, v177, v241
	v_cvt_i32_f32_e32 v241, v243
	v_dual_fmac_f32 v239, 0x32a5705f, v174 :: v_dual_sub_f32 v174, v247, v248
	v_lshrrev_b32_e32 v187, 16, v93
	v_and_b32_e32 v93, 0xffff, v93
	s_delay_alu instid0(VALU_DEP_4)
	v_ldexp_f32 v176, v176, v241
	v_exp_f32_e32 v175, v175
	v_cndmask_b32_e64 v177, 0, v177, s18
	v_add_f32_e32 v174, v174, v239
	v_cvt_i32_f32_e32 v237, v246
	v_cndmask_b32_e64 v176, 0, v176, s19
	v_lshrrev_b32_e32 v185, 16, v99
	v_cndmask_b32_e64 v177, 0x7f800000, v177, s17
	v_exp_f32_e32 v174, v174
	v_and_b32_e32 v99, 0xffff, v99
	v_cndmask_b32_e64 v176, 0x7f800000, v176, s16
	v_ldexp_f32 v175, v175, v237
	v_fmac_f32_e32 v166, v153, v177
	v_cvt_i32_f32_e32 v153, v248
	v_mul_f32_e32 v237, 0x3fb8aa3b, v173
	v_lshrrev_b32_e32 v188, 16, v94
	v_dual_fmac_f32 v165, v152, v176 :: v_dual_and_b32 v94, 0xffff, v94
	v_cndmask_b32_e64 v152, 0, v175, s15
	v_mul_f32_e32 v175, 0x3fb8aa3b, v172
	v_ldexp_f32 v153, v174, v153
	v_fma_f32 v174, 0x3fb8aa3b, v173, -v237
	v_rndne_f32_e32 v239, v237
	v_lshrrev_b32_e32 v186, 16, v92
	v_and_b32_e32 v92, 0xffff, v92
	v_fma_f32 v241, 0x3fb8aa3b, v172, -v175
	v_rndne_f32_e32 v243, v175
	v_dual_fmac_f32 v174, 0x32a5705f, v173 :: v_dual_sub_f32 v173, v237, v239
	v_mul_f32_e32 v237, 0x3fb8aa3b, v171
	v_lshrrev_b32_e32 v190, 16, v88
	v_lshrrev_b32_e32 v191, 16, v89
	s_delay_alu instid0(VALU_DEP_4)
	v_dual_add_f32 v173, v173, v174 :: v_dual_and_b32 v88, 0xffff, v88
	v_and_b32_e32 v89, 0xffff, v89
	v_dual_fmac_f32 v241, 0x32a5705f, v172 :: v_dual_sub_f32 v172, v175, v243
	v_mul_f32_e32 v175, 0x3fb8aa3b, v170
	v_fma_f32 v174, 0x3fb8aa3b, v171, -v237
	v_rndne_f32_e32 v246, v237
	v_lshrrev_b32_e32 v189, 16, v95
	v_dual_add_f32 v172, v172, v241 :: v_dual_and_b32 v95, 0xffff, v95
	v_lshrrev_b32_e32 v194, 16, v84
	v_and_b32_e32 v84, 0xffff, v84
	v_fma_f32 v241, 0x3fb8aa3b, v170, -v175
	v_rndne_f32_e32 v247, v175
	v_dual_fmac_f32 v174, 0x32a5705f, v171 :: v_dual_sub_f32 v171, v237, v246
	v_lshrrev_b32_e32 v195, 16, v85
	v_and_b32_e32 v85, 0xffff, v85
	v_lshrrev_b32_e32 v198, 16, v80
	s_delay_alu instid0(VALU_DEP_4)
	v_dual_add_f32 v171, v171, v174 :: v_dual_and_b32 v80, 0xffff, v80
	v_cndmask_b32_e64 v152, 0x7f800000, v152, s14
	v_exp_f32_e32 v173, v173
	v_dual_fmac_f32 v241, 0x32a5705f, v170 :: v_dual_sub_f32 v170, v175, v247
	v_exp_f32_e32 v172, v172
	v_lshrrev_b32_e32 v192, 16, v90
	v_lshrrev_b32_e32 v193, 16, v91
	v_and_b32_e32 v90, 0xffff, v90
	v_dual_fmac_f32 v164, v151, v152 :: v_dual_and_b32 v91, 0xffff, v91
	v_cvt_i32_f32_e32 v174, v239
	v_add_f32_e32 v151, v170, v241
	v_cvt_i32_f32_e32 v170, v243
	v_exp_f32_e32 v171, v171
	v_cndmask_b32_e64 v153, 0, v153, s13
	v_ldexp_f32 v173, v173, v174
	v_exp_f32_e32 v151, v151
	v_ldexp_f32 v170, v172, v170
	v_cvt_i32_f32_e32 v172, v246
	v_cndmask_b32_e64 v153, 0x7f800000, v153, s9
	v_cndmask_b32_e64 v173, 0, v173, s11
	v_cvt_i32_f32_e32 v174, v247
	v_cndmask_b32_e64 v170, 0, v170, s12
	v_ldexp_f32 v171, v171, v172
	v_lshrrev_b32_e32 v196, 16, v86
	v_dual_fmac_f32 v163, v150, v153 :: v_dual_and_b32 v86, 0xffff, v86
	v_cndmask_b32_e64 v172, 0x7f800000, v173, s7
	v_ldexp_f32 v150, v151, v174
	v_cndmask_b32_e64 v151, 0x7f800000, v170, s8
	v_cndmask_b32_e64 v170, 0, v171, s10
	v_lshrrev_b32_e32 v197, 16, v87
	v_dual_fmac_f32 v162, v149, v172 :: v_dual_and_b32 v87, 0xffff, v87
	v_lshrrev_b32_e32 v200, 16, v82
	v_dual_fmac_f32 v161, v148, v151 :: v_dual_and_b32 v82, 0xffff, v82
	v_cvt_f16_f32_e64 v149, v177
	v_cndmask_b32_e64 v150, 0, v150, s21
	v_cndmask_b32_e64 v148, 0x7f800000, v170, s6
	v_cvt_f16_f32_e64 v170, v176
	v_lshrrev_b32_e32 v199, 16, v81
	v_and_b32_e32 v81, 0xffff, v81
	v_and_b32_e32 v149, 0xffff, v149
	v_cndmask_b32_e64 v150, 0x7f800000, v150, s20
	v_cvt_f16_f32_e64 v152, v152
	v_dual_fmac_f32 v160, v147, v148 :: v_dual_and_b32 v147, 0xffff, v170
	v_lshrrev_b32_e32 v202, 16, v76
	s_delay_alu instid0(VALU_DEP_4)
	v_dual_fmac_f32 v159, v146, v150 :: v_dual_and_b32 v76, 0xffff, v76
	v_mul_u32_u24_e32 v149, 0x10001, v149
	v_and_b32_e32 v146, 0xffff, v152
	v_cvt_f16_f32_e64 v152, v153
	v_mul_u32_u24_e32 v147, 0x10001, v147
	v_cvt_f16_f32_e64 v148, v148
	v_pk_mul_f16 v144, v144, v149
	v_pk_mul_f16 v145, v145, v149
	v_mul_u32_u24_e32 v146, 0x10001, v146
	v_and_b32_e32 v149, 0xffff, v152
	v_pk_mul_f16 v142, v142, v147
	v_pk_mul_f16 v143, v143, v147
	v_cvt_f16_f32_e64 v147, v172
	v_pk_mul_f16 v140, v140, v146
	v_mul_u32_u24_e32 v149, 0x10001, v149
	v_pk_mul_f16 v141, v141, v146
	v_cvt_f16_f32_e64 v146, v151
	v_and_b32_e32 v147, 0xffff, v147
	v_cvt_f16_f32_e64 v150, v150
	v_pk_mul_f16 v138, v138, v149
	v_and_b32_e32 v148, 0xffff, v148
	v_and_b32_e32 v146, 0xffff, v146
	v_mul_u32_u24_e32 v147, 0x10001, v147
	v_pk_mul_f16 v139, v139, v149
	v_and_b32_e32 v149, 0xffff, v150
	v_mul_u32_u24_e32 v148, 0x10001, v148
	v_mul_u32_u24_e32 v146, 0x10001, v146
	v_pk_mul_f16 v126, v126, v147
	v_pk_mul_f16 v127, v127, v147
	v_mul_u32_u24_e32 v147, 0x10001, v149
	v_mul_u32_u24_e32 v100, 0x10001, v100
	v_pk_mul_f16 v123, v123, v146
	v_pk_mul_f16 v124, v124, v146
	;; [unrolled: 1-line block ×6, first 2 shown]
	v_mul_u32_u24_e32 v146, 0x10001, v178
	v_mul_u32_u24_e32 v101, 0x10001, v101
	;; [unrolled: 1-line block ×8, first 2 shown]
	v_pk_fma_f16 v144, v36, v100, v144
	v_mul_u32_u24_e32 v150, 0x10001, v182
	v_mul_u32_u24_e32 v97, 0x10001, v97
	v_mul_u32_u24_e32 v151, 0x10001, v183
	v_mul_u32_u24_e32 v98, 0x10001, v98
	v_mul_u32_u24_e32 v152, 0x10001, v184
	v_mul_u32_u24_e32 v99, 0x10001, v99
	v_mul_u32_u24_e32 v153, 0x10001, v185
	v_mul_u32_u24_e32 v92, 0x10001, v92
	v_pk_fma_f16 v142, v36, v146, v142
	v_pk_fma_f16 v140, v36, v101, v140
	v_pk_fma_f16 v138, v36, v147, v138
	v_pk_fma_f16 v126, v36, v102, v126
	v_pk_fma_f16 v123, v36, v148, v123
	v_pk_fma_f16 v121, v36, v103, v121
	v_pk_fma_f16 v36, v36, v149, v118
	v_pk_fma_f16 v100, v37, v100, v145
	v_pk_fma_f16 v118, v37, v146, v143
	v_pk_fma_f16 v101, v37, v101, v141
	v_pk_fma_f16 v139, v37, v147, v139
	v_pk_fma_f16 v102, v37, v102, v127
	v_pk_fma_f16 v124, v37, v148, v124
	v_pk_fma_f16 v103, v37, v103, v122
	v_pk_fma_f16 v37, v37, v149, v117
	v_pk_fma_f16 v117, v38, v96, v144
	v_mul_u32_u24_e32 v170, 0x10001, v186
	v_mul_u32_u24_e32 v93, 0x10001, v93
	v_mul_u32_u24_e32 v171, 0x10001, v187
	v_mul_u32_u24_e32 v94, 0x10001, v94
	v_mul_u32_u24_e32 v172, 0x10001, v188
	v_mul_u32_u24_e32 v95, 0x10001, v95
	v_mul_u32_u24_e32 v173, 0x10001, v189
	v_mul_u32_u24_e32 v88, 0x10001, v88
	v_pk_fma_f16 v122, v38, v150, v142
	v_pk_fma_f16 v127, v38, v97, v140
	v_pk_fma_f16 v138, v38, v151, v138
	v_pk_fma_f16 v126, v38, v98, v126
	v_pk_fma_f16 v123, v38, v152, v123
	v_pk_fma_f16 v121, v38, v99, v121
	v_pk_fma_f16 v36, v38, v153, v36
	v_pk_fma_f16 v38, v39, v96, v100
	v_pk_fma_f16 v96, v39, v150, v118
	v_pk_fma_f16 v97, v39, v97, v101
	v_pk_fma_f16 v100, v39, v151, v139
	v_pk_fma_f16 v98, v39, v98, v102
	v_pk_fma_f16 v101, v39, v152, v124
	v_pk_fma_f16 v99, v39, v99, v103
	v_pk_fma_f16 v37, v39, v153, v37
	;; [unrolled: 24-line block ×3, first 2 shown]
	v_pk_fma_f16 v37, v34, v88, v39
	v_lshrrev_b32_e32 v201, 16, v83
	v_and_b32_e32 v83, 0xffff, v83
	v_mul_u32_u24_e32 v178, 0x10001, v194
	v_mul_u32_u24_e32 v85, 0x10001, v85
	v_mul_u32_u24_e32 v179, 0x10001, v195
	v_mul_u32_u24_e32 v86, 0x10001, v86
	v_mul_u32_u24_e32 v180, 0x10001, v196
	v_mul_u32_u24_e32 v87, 0x10001, v87
	v_mul_u32_u24_e32 v181, 0x10001, v197
	v_mul_u32_u24_e32 v80, 0x10001, v80
	v_pk_fma_f16 v39, v34, v174, v102
	v_pk_fma_f16 v97, v34, v89, v103
	v_pk_fma_f16 v98, v34, v175, v117
	v_pk_fma_f16 v99, v34, v90, v118
	v_pk_fma_f16 v100, v34, v176, v122
	v_pk_fma_f16 v101, v34, v91, v121
	v_pk_fma_f16 v32, v34, v177, v32
	v_pk_fma_f16 v34, v35, v88, v36
	v_pk_fma_f16 v36, v35, v174, v38
	v_pk_fma_f16 v38, v35, v89, v92
	v_pk_fma_f16 v88, v35, v175, v93
	v_pk_fma_f16 v89, v35, v90, v94
	v_pk_fma_f16 v90, v35, v176, v96
	v_pk_fma_f16 v91, v35, v91, v95
	v_pk_fma_f16 v33, v35, v177, v33
	v_pk_fma_f16 v35, v28, v84, v37
	v_lshrrev_b32_e32 v203, 16, v77
	v_lshrrev_b32_e32 v204, 16, v78
	v_lshrrev_b32_e32 v205, 16, v79
	v_and_b32_e32 v77, 0xffff, v77
	v_and_b32_e32 v78, 0xffff, v78
	v_and_b32_e32 v79, 0xffff, v79
	v_lshrrev_b32_e32 v206, 16, v72
	v_and_b32_e32 v72, 0xffff, v72
	v_mul_u32_u24_e32 v182, 0x10001, v198
	v_mul_u32_u24_e32 v81, 0x10001, v81
	v_mul_u32_u24_e32 v183, 0x10001, v199
	v_mul_u32_u24_e32 v82, 0x10001, v82
	v_mul_u32_u24_e32 v184, 0x10001, v200
	v_mul_u32_u24_e32 v83, 0x10001, v83
	v_mul_u32_u24_e32 v185, 0x10001, v201
	v_mul_u32_u24_e32 v76, 0x10001, v76
	v_pk_fma_f16 v37, v28, v178, v39
	v_pk_fma_f16 v39, v28, v85, v97
	v_pk_fma_f16 v92, v28, v179, v98
	v_pk_fma_f16 v93, v28, v86, v99
	v_pk_fma_f16 v94, v28, v180, v100
	v_pk_fma_f16 v95, v28, v87, v101
	v_pk_fma_f16 v28, v28, v181, v32
	v_pk_fma_f16 v32, v29, v84, v34
	v_pk_fma_f16 v34, v29, v178, v36
	v_pk_fma_f16 v36, v29, v85, v38
	v_pk_fma_f16 v38, v29, v179, v88
	v_pk_fma_f16 v84, v29, v86, v89
	v_pk_fma_f16 v85, v29, v180, v90
	v_pk_fma_f16 v86, v29, v87, v91
	v_pk_fma_f16 v29, v29, v181, v33
	v_pk_fma_f16 v33, v30, v80, v35
	v_lshrrev_b32_e32 v207, 16, v73
	v_lshrrev_b32_e32 v208, 16, v74
	v_lshrrev_b32_e32 v209, 16, v75
	v_and_b32_e32 v73, 0xffff, v73
	v_and_b32_e32 v74, 0xffff, v74
	v_and_b32_e32 v75, 0xffff, v75
	v_lshrrev_b32_e32 v210, 16, v68
	v_and_b32_e32 v68, 0xffff, v68
	v_mul_u32_u24_e32 v186, 0x10001, v202
	v_mul_u32_u24_e32 v77, 0x10001, v77
	v_mul_u32_u24_e32 v187, 0x10001, v203
	v_mul_u32_u24_e32 v78, 0x10001, v78
	v_mul_u32_u24_e32 v188, 0x10001, v204
	v_mul_u32_u24_e32 v79, 0x10001, v79
	v_mul_u32_u24_e32 v189, 0x10001, v205
	v_mul_u32_u24_e32 v72, 0x10001, v72
	v_pk_fma_f16 v35, v30, v182, v37
	v_pk_fma_f16 v37, v30, v81, v39
	v_pk_fma_f16 v39, v30, v183, v92
	v_pk_fma_f16 v87, v30, v82, v93
	v_pk_fma_f16 v88, v30, v184, v94
	v_pk_fma_f16 v89, v30, v83, v95
	v_pk_fma_f16 v28, v30, v185, v28
	v_pk_fma_f16 v30, v31, v80, v32
	v_pk_fma_f16 v32, v31, v182, v34
	v_pk_fma_f16 v34, v31, v81, v36
	v_pk_fma_f16 v36, v31, v183, v38
	v_pk_fma_f16 v38, v31, v82, v84
	v_pk_fma_f16 v80, v31, v184, v85
	v_pk_fma_f16 v81, v31, v83, v86
	v_pk_fma_f16 v29, v31, v185, v29
	v_pk_fma_f16 v31, v24, v76, v33
	v_lshrrev_b32_e32 v211, 16, v69
	v_lshrrev_b32_e32 v212, 16, v70
	v_lshrrev_b32_e32 v213, 16, v71
	v_and_b32_e32 v69, 0xffff, v69
	v_and_b32_e32 v70, 0xffff, v70
	v_and_b32_e32 v71, 0xffff, v71
	v_lshrrev_b32_e32 v214, 16, v64
	v_and_b32_e32 v64, 0xffff, v64
	v_mul_u32_u24_e32 v190, 0x10001, v206
	v_mul_u32_u24_e32 v73, 0x10001, v73
	v_mul_u32_u24_e32 v191, 0x10001, v207
	v_mul_u32_u24_e32 v74, 0x10001, v74
	v_mul_u32_u24_e32 v192, 0x10001, v208
	v_mul_u32_u24_e32 v75, 0x10001, v75
	v_mul_u32_u24_e32 v193, 0x10001, v209
	v_mul_u32_u24_e32 v68, 0x10001, v68
	v_pk_fma_f16 v33, v24, v186, v35
	v_pk_fma_f16 v35, v24, v77, v37
	v_pk_fma_f16 v37, v24, v187, v39
	v_pk_fma_f16 v39, v24, v78, v87
	v_pk_fma_f16 v82, v24, v188, v88
	v_pk_fma_f16 v83, v24, v79, v89
	v_pk_fma_f16 v24, v24, v189, v28
	v_pk_fma_f16 v28, v25, v76, v30
	v_pk_fma_f16 v30, v25, v186, v32
	v_pk_fma_f16 v32, v25, v77, v34
	v_pk_fma_f16 v34, v25, v187, v36
	v_pk_fma_f16 v36, v25, v78, v38
	v_pk_fma_f16 v38, v25, v188, v80
	v_pk_fma_f16 v76, v25, v79, v81
	v_pk_fma_f16 v25, v25, v189, v29
	v_pk_fma_f16 v29, v26, v72, v31
	v_lshrrev_b32_e32 v215, 16, v65
	v_lshrrev_b32_e32 v216, 16, v66
	v_lshrrev_b32_e32 v217, 16, v67
	v_and_b32_e32 v65, 0xffff, v65
	v_and_b32_e32 v66, 0xffff, v66
	v_and_b32_e32 v67, 0xffff, v67
	v_lshrrev_b32_e32 v218, 16, v60
	v_and_b32_e32 v60, 0xffff, v60
	v_mul_u32_u24_e32 v194, 0x10001, v210
	v_mul_u32_u24_e32 v69, 0x10001, v69
	v_mul_u32_u24_e32 v195, 0x10001, v211
	v_mul_u32_u24_e32 v70, 0x10001, v70
	v_mul_u32_u24_e32 v196, 0x10001, v212
	v_mul_u32_u24_e32 v71, 0x10001, v71
	v_mul_u32_u24_e32 v197, 0x10001, v213
	v_mul_u32_u24_e32 v64, 0x10001, v64
	v_pk_fma_f16 v31, v26, v190, v33
	v_pk_fma_f16 v33, v26, v73, v35
	v_pk_fma_f16 v35, v26, v191, v37
	v_pk_fma_f16 v37, v26, v74, v39
	v_pk_fma_f16 v39, v26, v192, v82
	v_pk_fma_f16 v77, v26, v75, v83
	v_pk_fma_f16 v24, v26, v193, v24
	v_pk_fma_f16 v26, v27, v72, v28
	v_pk_fma_f16 v28, v27, v190, v30
	v_pk_fma_f16 v30, v27, v73, v32
	v_pk_fma_f16 v32, v27, v191, v34
	v_pk_fma_f16 v34, v27, v74, v36
	v_pk_fma_f16 v36, v27, v192, v38
	v_pk_fma_f16 v38, v27, v75, v76
	v_pk_fma_f16 v25, v27, v193, v25
	v_pk_fma_f16 v27, v20, v68, v29
	v_lshrrev_b32_e32 v219, 16, v61
	v_lshrrev_b32_e32 v220, 16, v62
	v_lshrrev_b32_e32 v221, 16, v63
	v_and_b32_e32 v61, 0xffff, v61
	v_and_b32_e32 v62, 0xffff, v62
	v_and_b32_e32 v63, 0xffff, v63
	v_lshrrev_b32_e32 v222, 16, v56
	v_and_b32_e32 v56, 0xffff, v56
	v_mul_u32_u24_e32 v198, 0x10001, v214
	v_mul_u32_u24_e32 v65, 0x10001, v65
	v_mul_u32_u24_e32 v199, 0x10001, v215
	v_mul_u32_u24_e32 v66, 0x10001, v66
	v_mul_u32_u24_e32 v200, 0x10001, v216
	v_mul_u32_u24_e32 v67, 0x10001, v67
	v_mul_u32_u24_e32 v201, 0x10001, v217
	v_mul_u32_u24_e32 v60, 0x10001, v60
	v_pk_fma_f16 v29, v20, v194, v31
	v_pk_fma_f16 v31, v20, v69, v33
	v_pk_fma_f16 v33, v20, v195, v35
	v_pk_fma_f16 v35, v20, v70, v37
	v_pk_fma_f16 v37, v20, v196, v39
	v_pk_fma_f16 v39, v20, v71, v77
	v_pk_fma_f16 v20, v20, v197, v24
	v_pk_fma_f16 v24, v21, v68, v26
	v_pk_fma_f16 v26, v21, v194, v28
	v_pk_fma_f16 v28, v21, v69, v30
	v_pk_fma_f16 v30, v21, v195, v32
	v_pk_fma_f16 v32, v21, v70, v34
	v_pk_fma_f16 v34, v21, v196, v36
	v_pk_fma_f16 v36, v21, v71, v38
	v_pk_fma_f16 v21, v21, v197, v25
	v_pk_fma_f16 v25, v22, v64, v27
	v_lshrrev_b32_e32 v223, 16, v57
	v_lshrrev_b32_e32 v224, 16, v58
	v_lshrrev_b32_e32 v225, 16, v59
	v_and_b32_e32 v57, 0xffff, v57
	v_and_b32_e32 v58, 0xffff, v58
	v_and_b32_e32 v59, 0xffff, v59
	v_lshrrev_b32_e32 v226, 16, v52
	v_and_b32_e32 v52, 0xffff, v52
	v_mul_u32_u24_e32 v202, 0x10001, v218
	v_mul_u32_u24_e32 v61, 0x10001, v61
	v_mul_u32_u24_e32 v203, 0x10001, v219
	v_mul_u32_u24_e32 v62, 0x10001, v62
	v_mul_u32_u24_e32 v204, 0x10001, v220
	v_mul_u32_u24_e32 v63, 0x10001, v63
	v_mul_u32_u24_e32 v205, 0x10001, v221
	v_mul_u32_u24_e32 v56, 0x10001, v56
	v_pk_fma_f16 v27, v22, v198, v29
	v_pk_fma_f16 v29, v22, v65, v31
	v_pk_fma_f16 v31, v22, v199, v33
	v_pk_fma_f16 v33, v22, v66, v35
	v_pk_fma_f16 v35, v22, v200, v37
	v_pk_fma_f16 v37, v22, v67, v39
	v_pk_fma_f16 v20, v22, v201, v20
	v_pk_fma_f16 v22, v23, v64, v24
	v_pk_fma_f16 v24, v23, v198, v26
	v_pk_fma_f16 v26, v23, v65, v28
	v_pk_fma_f16 v28, v23, v199, v30
	v_pk_fma_f16 v30, v23, v66, v32
	v_pk_fma_f16 v32, v23, v200, v34
	v_pk_fma_f16 v34, v23, v67, v36
	v_pk_fma_f16 v21, v23, v201, v21
	v_pk_fma_f16 v23, v16, v60, v25
	v_lshrrev_b32_e32 v227, 16, v53
	v_lshrrev_b32_e32 v228, 16, v54
	v_lshrrev_b32_e32 v229, 16, v55
	v_and_b32_e32 v53, 0xffff, v53
	v_and_b32_e32 v54, 0xffff, v54
	v_and_b32_e32 v55, 0xffff, v55
	v_lshrrev_b32_e32 v230, 16, v48
	v_and_b32_e32 v48, 0xffff, v48
	v_mul_u32_u24_e32 v206, 0x10001, v222
	v_mul_u32_u24_e32 v57, 0x10001, v57
	v_mul_u32_u24_e32 v207, 0x10001, v223
	v_mul_u32_u24_e32 v58, 0x10001, v58
	v_mul_u32_u24_e32 v208, 0x10001, v224
	v_mul_u32_u24_e32 v59, 0x10001, v59
	v_mul_u32_u24_e32 v209, 0x10001, v225
	v_mul_u32_u24_e32 v52, 0x10001, v52
	v_pk_fma_f16 v25, v16, v202, v27
	v_pk_fma_f16 v27, v16, v61, v29
	v_pk_fma_f16 v29, v16, v203, v31
	v_pk_fma_f16 v31, v16, v62, v33
	v_pk_fma_f16 v33, v16, v204, v35
	v_pk_fma_f16 v35, v16, v63, v37
	v_pk_fma_f16 v16, v16, v205, v20
	v_pk_fma_f16 v20, v17, v60, v22
	v_pk_fma_f16 v22, v17, v202, v24
	v_pk_fma_f16 v24, v17, v61, v26
	v_pk_fma_f16 v26, v17, v203, v28
	v_pk_fma_f16 v28, v17, v62, v30
	v_pk_fma_f16 v30, v17, v204, v32
	v_pk_fma_f16 v32, v17, v63, v34
	v_pk_fma_f16 v17, v17, v205, v21
	v_pk_fma_f16 v21, v18, v56, v23
	v_lshrrev_b32_e32 v231, 16, v49
	v_lshrrev_b32_e32 v232, 16, v50
	v_lshrrev_b32_e32 v233, 16, v51
	v_and_b32_e32 v49, 0xffff, v49
	v_and_b32_e32 v50, 0xffff, v50
	v_and_b32_e32 v51, 0xffff, v51
	v_lshrrev_b32_e32 v234, 16, v44
	v_and_b32_e32 v44, 0xffff, v44
	v_mul_u32_u24_e32 v210, 0x10001, v226
	v_mul_u32_u24_e32 v53, 0x10001, v53
	v_mul_u32_u24_e32 v211, 0x10001, v227
	v_mul_u32_u24_e32 v54, 0x10001, v54
	v_mul_u32_u24_e32 v212, 0x10001, v228
	v_mul_u32_u24_e32 v55, 0x10001, v55
	v_mul_u32_u24_e32 v213, 0x10001, v229
	v_mul_u32_u24_e32 v48, 0x10001, v48
	v_pk_fma_f16 v23, v18, v206, v25
	v_pk_fma_f16 v25, v18, v57, v27
	v_pk_fma_f16 v27, v18, v207, v29
	v_pk_fma_f16 v29, v18, v58, v31
	v_pk_fma_f16 v31, v18, v208, v33
	v_pk_fma_f16 v33, v18, v59, v35
	v_pk_fma_f16 v16, v18, v209, v16
	v_pk_fma_f16 v18, v19, v56, v20
	v_pk_fma_f16 v20, v19, v206, v22
	v_pk_fma_f16 v22, v19, v57, v24
	v_pk_fma_f16 v24, v19, v207, v26
	v_pk_fma_f16 v26, v19, v58, v28
	v_pk_fma_f16 v28, v19, v208, v30
	v_pk_fma_f16 v30, v19, v59, v32
	v_pk_fma_f16 v17, v19, v209, v17
	v_pk_fma_f16 v19, v12, v52, v21
	v_lshrrev_b32_e32 v235, 16, v45
	v_lshrrev_b32_e32 v236, 16, v46
	v_lshrrev_b32_e32 v238, 16, v47
	v_and_b32_e32 v45, 0xffff, v45
	v_and_b32_e32 v46, 0xffff, v46
	v_and_b32_e32 v47, 0xffff, v47
	v_lshrrev_b32_e32 v242, 16, v40
	v_and_b32_e32 v40, 0xffff, v40
	v_mul_u32_u24_e32 v214, 0x10001, v230
	v_mul_u32_u24_e32 v49, 0x10001, v49
	;; [unrolled: 1-line block ×8, first 2 shown]
	v_pk_fma_f16 v21, v12, v210, v23
	v_pk_fma_f16 v23, v12, v53, v25
	;; [unrolled: 1-line block ×16, first 2 shown]
	v_mul_u32_u24_e32 v218, 0x10001, v234
	v_mul_u32_u24_e32 v45, 0x10001, v45
	;; [unrolled: 1-line block ×8, first 2 shown]
	v_pk_fma_f16 v19, v14, v214, v21
	v_pk_fma_f16 v21, v14, v49, v23
	;; [unrolled: 1-line block ×32, first 2 shown]
	s_wait_loadcnt_dscnt 0x0
	s_barrier_signal -1
	s_barrier_wait -1
	global_inv scope:SCOPE_SE
	ds_load_b128 v[12:15], v131 offset:256
	v_lshrrev_b32_e32 v244, 16, v41
	v_lshrrev_b32_e32 v245, 16, v42
	;; [unrolled: 1-line block ×3, first 2 shown]
	v_and_b32_e32 v41, 0xffff, v41
	v_and_b32_e32 v42, 0xffff, v42
	;; [unrolled: 1-line block ×3, first 2 shown]
	v_mul_u32_u24_e32 v222, 0x10001, v242
	v_mul_u32_u24_e32 v223, 0x10001, v244
	;; [unrolled: 1-line block ×7, first 2 shown]
	v_pk_fma_f16 v30, v10, v222, v17
	v_pk_fma_f16 v31, v10, v41, v19
	;; [unrolled: 1-line block ×15, first 2 shown]
	ds_load_2addr_b64 v[8:11], v169 offset1:24
	ds_load_b128 v[16:19], v131 offset:272
	ds_load_b128 v[20:23], v131 offset:288
	;; [unrolled: 1-line block ×3, first 2 shown]
	s_wait_dscnt 0x4
	v_lshrrev_b32_e32 v44, 16, v12
	v_and_b32_e32 v12, 0xffff, v12
	v_lshrrev_b32_e32 v45, 16, v13
	v_lshrrev_b32_e32 v46, 16, v14
	;; [unrolled: 1-line block ×3, first 2 shown]
	v_and_b32_e32 v13, 0xffff, v13
	v_and_b32_e32 v14, 0xffff, v14
	;; [unrolled: 1-line block ×3, first 2 shown]
	v_mul_u32_u24_e32 v12, 0x10001, v12
	v_mul_u32_u24_e32 v44, 0x10001, v44
	v_mul_u32_u24_e32 v13, 0x10001, v13
	v_mul_u32_u24_e32 v45, 0x10001, v45
	v_mul_u32_u24_e32 v14, 0x10001, v14
	v_mul_u32_u24_e32 v46, 0x10001, v46
	v_mul_u32_u24_e32 v15, 0x10001, v15
	v_mul_u32_u24_e32 v47, 0x10001, v47
	s_wait_dscnt 0x3
	v_pk_fma_f16 v29, v8, v12, v29
	v_pk_fma_f16 v30, v8, v44, v30
	;; [unrolled: 1-line block ×15, first 2 shown]
	s_wait_dscnt 0x2
	v_lshrrev_b32_e32 v15, 16, v16
	v_and_b32_e32 v16, 0xffff, v16
	v_lshrrev_b32_e32 v39, 16, v17
	v_lshrrev_b32_e32 v40, 16, v18
	;; [unrolled: 1-line block ×3, first 2 shown]
	v_and_b32_e32 v17, 0xffff, v17
	v_and_b32_e32 v18, 0xffff, v18
	;; [unrolled: 1-line block ×3, first 2 shown]
	v_mul_u32_u24_e32 v16, 0x10001, v16
	v_mul_u32_u24_e32 v15, 0x10001, v15
	;; [unrolled: 1-line block ×8, first 2 shown]
	v_pk_fma_f16 v29, v10, v16, v29
	v_pk_fma_f16 v30, v10, v15, v30
	;; [unrolled: 1-line block ×12, first 2 shown]
	ds_load_2addr_b64 v[12:15], v169 offset0:48 offset1:72
	v_pk_fma_f16 v9, v9, v47, v43
	v_pk_fma_f16 v28, v11, v39, v36
	;; [unrolled: 1-line block ×4, first 2 shown]
	s_wait_dscnt 0x2
	v_lshrrev_b32_e32 v37, 16, v21
	v_pk_fma_f16 v9, v11, v41, v9
	v_lshrrev_b32_e32 v11, 16, v20
	v_and_b32_e32 v20, 0xffff, v20
	v_lshrrev_b32_e32 v38, 16, v22
	v_lshrrev_b32_e32 v39, 16, v23
	v_and_b32_e32 v21, 0xffff, v21
	v_and_b32_e32 v22, 0xffff, v22
	;; [unrolled: 1-line block ×3, first 2 shown]
	v_mul_u32_u24_e32 v20, 0x10001, v20
	v_mul_u32_u24_e32 v11, 0x10001, v11
	;; [unrolled: 1-line block ×8, first 2 shown]
	s_wait_dscnt 0x0
	v_pk_fma_f16 v29, v12, v20, v29
	v_pk_fma_f16 v30, v12, v11, v30
	;; [unrolled: 1-line block ×16, first 2 shown]
	v_lshrrev_b32_e32 v8, 16, v24
	v_and_b32_e32 v9, 0xffff, v24
	v_lshrrev_b32_e32 v10, 16, v25
	v_lshrrev_b32_e32 v11, 16, v26
	v_and_b32_e32 v24, 0xffff, v25
	v_lshrrev_b32_e32 v19, 16, v27
	v_mul_u32_u24_e32 v25, 0x10001, v9
	v_and_b32_e32 v9, 0xffff, v26
	v_mul_u32_u24_e32 v26, 0x10001, v8
	v_and_b32_e32 v8, 0xffff, v27
	v_mul_u32_u24_e32 v27, 0x10001, v10
	v_mul_u32_u24_e32 v36, 0x10001, v11
	;; [unrolled: 1-line block ×5, first 2 shown]
	ds_load_b128 v[8:11], v131 offset:320
	v_mul_u32_u24_e32 v38, 0x10001, v19
	v_pk_fma_f16 v29, v14, v25, v29
	v_pk_fma_f16 v30, v14, v26, v30
	;; [unrolled: 1-line block ×14, first 2 shown]
	ds_load_2addr_b64 v[16:19], v169 offset0:96 offset1:120
	v_pk_fma_f16 v23, v15, v37, v23
	v_pk_fma_f16 v27, v15, v38, v13
	ds_load_b128 v[12:15], v131 offset:336
	s_wait_dscnt 0x2
	v_lshrrev_b32_e32 v28, 16, v8
	v_and_b32_e32 v8, 0xffff, v8
	v_lshrrev_b32_e32 v36, 16, v9
	v_and_b32_e32 v9, 0xffff, v9
	v_lshrrev_b32_e32 v37, 16, v10
	v_lshrrev_b32_e32 v38, 16, v11
	v_mul_u32_u24_e32 v8, 0x10001, v8
	v_and_b32_e32 v10, 0xffff, v10
	v_and_b32_e32 v11, 0xffff, v11
	v_mul_u32_u24_e32 v9, 0x10001, v9
	v_mul_u32_u24_e32 v28, 0x10001, v28
	;; [unrolled: 1-line block ×7, first 2 shown]
	s_wait_dscnt 0x1
	v_pk_fma_f16 v29, v16, v8, v29
	v_pk_fma_f16 v31, v16, v9, v31
	;; [unrolled: 1-line block ×4, first 2 shown]
	s_wait_dscnt 0x0
	v_lshrrev_b32_e32 v8, 16, v12
	v_and_b32_e32 v9, 0xffff, v12
	v_pk_fma_f16 v33, v16, v10, v33
	v_pk_fma_f16 v35, v16, v11, v35
	;; [unrolled: 1-line block ×8, first 2 shown]
	v_lshrrev_b32_e32 v10, 16, v13
	v_lshrrev_b32_e32 v11, 16, v14
	v_mul_u32_u24_e32 v27, 0x10001, v9
	v_and_b32_e32 v9, 0xffff, v14
	v_mul_u32_u24_e32 v14, 0x10001, v8
	v_and_b32_e32 v8, 0xffff, v15
	v_pk_fma_f16 v30, v16, v28, v30
	v_pk_fma_f16 v32, v16, v36, v32
	;; [unrolled: 1-line block ×3, first 2 shown]
	v_lshrrev_b32_e32 v12, 16, v15
	v_and_b32_e32 v13, 0xffff, v13
	v_mul_u32_u24_e32 v15, 0x10001, v10
	v_mul_u32_u24_e32 v28, 0x10001, v9
	;; [unrolled: 1-line block ×4, first 2 shown]
	ds_load_b128 v[8:11], v131 offset:352
	v_pk_fma_f16 v16, v16, v38, v39
	v_mul_u32_u24_e32 v13, 0x10001, v13
	v_mul_u32_u24_e32 v38, 0x10001, v12
	v_pk_fma_f16 v29, v18, v27, v29
	v_pk_fma_f16 v30, v18, v14, v30
	;; [unrolled: 1-line block ×14, first 2 shown]
	ds_load_2addr_b64 v[12:15], v169 offset0:144 offset1:168
	v_pk_fma_f16 v23, v19, v37, v23
	v_pk_fma_f16 v27, v19, v38, v17
	ds_load_b128 v[16:19], v131 offset:368
	s_wait_dscnt 0x2
	v_lshrrev_b32_e32 v28, 16, v8
	v_and_b32_e32 v8, 0xffff, v8
	v_lshrrev_b32_e32 v36, 16, v9
	v_and_b32_e32 v9, 0xffff, v9
	v_lshrrev_b32_e32 v37, 16, v10
	v_lshrrev_b32_e32 v38, 16, v11
	v_mul_u32_u24_e32 v8, 0x10001, v8
	v_and_b32_e32 v10, 0xffff, v10
	v_and_b32_e32 v11, 0xffff, v11
	v_mul_u32_u24_e32 v9, 0x10001, v9
	v_mul_u32_u24_e32 v28, 0x10001, v28
	;; [unrolled: 1-line block ×7, first 2 shown]
	s_wait_dscnt 0x1
	v_pk_fma_f16 v29, v12, v8, v29
	v_pk_fma_f16 v31, v12, v9, v31
	;; [unrolled: 1-line block ×4, first 2 shown]
	s_wait_dscnt 0x0
	v_lshrrev_b32_e32 v8, 16, v16
	v_and_b32_e32 v9, 0xffff, v16
	v_pk_fma_f16 v33, v12, v10, v33
	v_pk_fma_f16 v35, v12, v11, v35
	;; [unrolled: 1-line block ×8, first 2 shown]
	v_lshrrev_b32_e32 v10, 16, v17
	v_lshrrev_b32_e32 v11, 16, v18
	v_mul_u32_u24_e32 v27, 0x10001, v9
	v_and_b32_e32 v9, 0xffff, v18
	v_mul_u32_u24_e32 v18, 0x10001, v8
	v_and_b32_e32 v8, 0xffff, v19
	v_pk_fma_f16 v30, v12, v28, v30
	v_pk_fma_f16 v32, v12, v36, v32
	;; [unrolled: 1-line block ×3, first 2 shown]
	v_lshrrev_b32_e32 v16, 16, v19
	v_and_b32_e32 v17, 0xffff, v17
	v_mul_u32_u24_e32 v19, 0x10001, v10
	v_mul_u32_u24_e32 v28, 0x10001, v9
	;; [unrolled: 1-line block ×4, first 2 shown]
	ds_load_b128 v[8:11], v131 offset:384
	v_pk_fma_f16 v12, v12, v38, v39
	v_mul_u32_u24_e32 v17, 0x10001, v17
	v_mul_u32_u24_e32 v38, 0x10001, v16
	v_pk_fma_f16 v29, v14, v27, v29
	v_pk_fma_f16 v30, v14, v18, v30
	;; [unrolled: 1-line block ×14, first 2 shown]
	ds_load_2addr_b64 v[16:19], v169 offset0:192 offset1:216
	v_pk_fma_f16 v23, v15, v37, v23
	v_pk_fma_f16 v27, v15, v38, v13
	ds_load_b128 v[12:15], v131 offset:400
	s_wait_dscnt 0x2
	v_lshrrev_b32_e32 v28, 16, v8
	v_and_b32_e32 v8, 0xffff, v8
	v_lshrrev_b32_e32 v36, 16, v9
	v_and_b32_e32 v9, 0xffff, v9
	v_lshrrev_b32_e32 v37, 16, v10
	v_lshrrev_b32_e32 v38, 16, v11
	v_mul_u32_u24_e32 v8, 0x10001, v8
	v_and_b32_e32 v10, 0xffff, v10
	v_and_b32_e32 v11, 0xffff, v11
	v_mul_u32_u24_e32 v9, 0x10001, v9
	v_mul_u32_u24_e32 v28, 0x10001, v28
	;; [unrolled: 1-line block ×7, first 2 shown]
	s_wait_dscnt 0x1
	v_pk_fma_f16 v29, v16, v8, v29
	v_pk_fma_f16 v31, v16, v9, v31
	;; [unrolled: 1-line block ×4, first 2 shown]
	s_wait_dscnt 0x0
	v_lshrrev_b32_e32 v8, 16, v12
	v_and_b32_e32 v9, 0xffff, v12
	v_pk_fma_f16 v33, v16, v10, v33
	v_pk_fma_f16 v35, v16, v11, v35
	;; [unrolled: 1-line block ×8, first 2 shown]
	v_lshrrev_b32_e32 v10, 16, v13
	v_lshrrev_b32_e32 v11, 16, v14
	v_mul_u32_u24_e32 v27, 0x10001, v9
	v_and_b32_e32 v9, 0xffff, v14
	v_mul_u32_u24_e32 v14, 0x10001, v8
	v_and_b32_e32 v8, 0xffff, v15
	v_pk_fma_f16 v30, v16, v28, v30
	v_pk_fma_f16 v32, v16, v36, v32
	;; [unrolled: 1-line block ×3, first 2 shown]
	v_lshrrev_b32_e32 v12, 16, v15
	v_and_b32_e32 v13, 0xffff, v13
	v_mul_u32_u24_e32 v15, 0x10001, v10
	v_mul_u32_u24_e32 v28, 0x10001, v9
	;; [unrolled: 1-line block ×4, first 2 shown]
	ds_load_b128 v[8:11], v131 offset:416
	v_pk_fma_f16 v16, v16, v38, v39
	v_mul_u32_u24_e32 v13, 0x10001, v13
	v_mul_u32_u24_e32 v38, 0x10001, v12
	v_pk_fma_f16 v29, v18, v27, v29
	v_pk_fma_f16 v30, v18, v14, v30
	;; [unrolled: 1-line block ×14, first 2 shown]
	ds_load_2addr_b64 v[12:15], v168 offset0:112 offset1:136
	v_pk_fma_f16 v23, v19, v37, v23
	v_pk_fma_f16 v27, v19, v38, v17
	ds_load_b128 v[16:19], v131 offset:432
	s_wait_dscnt 0x2
	v_lshrrev_b32_e32 v28, 16, v8
	v_and_b32_e32 v8, 0xffff, v8
	v_lshrrev_b32_e32 v36, 16, v9
	v_and_b32_e32 v9, 0xffff, v9
	v_lshrrev_b32_e32 v37, 16, v10
	v_lshrrev_b32_e32 v38, 16, v11
	v_mul_u32_u24_e32 v8, 0x10001, v8
	v_and_b32_e32 v10, 0xffff, v10
	v_and_b32_e32 v11, 0xffff, v11
	v_mul_u32_u24_e32 v9, 0x10001, v9
	v_mul_u32_u24_e32 v28, 0x10001, v28
	;; [unrolled: 1-line block ×7, first 2 shown]
	s_wait_dscnt 0x1
	v_pk_fma_f16 v29, v12, v8, v29
	v_pk_fma_f16 v31, v12, v9, v31
	;; [unrolled: 1-line block ×4, first 2 shown]
	s_wait_dscnt 0x0
	v_lshrrev_b32_e32 v8, 16, v16
	v_and_b32_e32 v9, 0xffff, v16
	v_pk_fma_f16 v33, v12, v10, v33
	v_pk_fma_f16 v35, v12, v11, v35
	v_pk_fma_f16 v25, v13, v28, v25
	v_pk_fma_f16 v21, v13, v36, v21
	v_pk_fma_f16 v26, v13, v10, v26
	v_pk_fma_f16 v22, v13, v37, v22
	v_pk_fma_f16 v23, v13, v11, v23
	v_pk_fma_f16 v13, v13, v38, v27
	v_lshrrev_b32_e32 v10, 16, v17
	v_lshrrev_b32_e32 v11, 16, v18
	v_mul_u32_u24_e32 v27, 0x10001, v9
	v_and_b32_e32 v9, 0xffff, v18
	v_mul_u32_u24_e32 v18, 0x10001, v8
	v_and_b32_e32 v8, 0xffff, v19
	v_pk_fma_f16 v30, v12, v28, v30
	v_pk_fma_f16 v32, v12, v36, v32
	;; [unrolled: 1-line block ×3, first 2 shown]
	v_lshrrev_b32_e32 v16, 16, v19
	v_and_b32_e32 v17, 0xffff, v17
	v_mul_u32_u24_e32 v19, 0x10001, v10
	v_mul_u32_u24_e32 v28, 0x10001, v9
	;; [unrolled: 1-line block ×4, first 2 shown]
	ds_load_b128 v[8:11], v131 offset:448
	v_pk_fma_f16 v12, v12, v38, v39
	v_mul_u32_u24_e32 v17, 0x10001, v17
	v_mul_u32_u24_e32 v38, 0x10001, v16
	v_pk_fma_f16 v29, v14, v27, v29
	v_pk_fma_f16 v30, v14, v18, v30
	;; [unrolled: 1-line block ×14, first 2 shown]
	ds_load_2addr_b64 v[16:19], v167 offset0:32 offset1:56
	v_pk_fma_f16 v23, v15, v37, v23
	v_pk_fma_f16 v27, v15, v38, v13
	ds_load_b128 v[12:15], v131 offset:464
	s_wait_dscnt 0x2
	v_lshrrev_b32_e32 v28, 16, v8
	v_and_b32_e32 v8, 0xffff, v8
	v_lshrrev_b32_e32 v36, 16, v9
	v_and_b32_e32 v9, 0xffff, v9
	v_lshrrev_b32_e32 v37, 16, v10
	v_lshrrev_b32_e32 v38, 16, v11
	v_mul_u32_u24_e32 v8, 0x10001, v8
	v_and_b32_e32 v10, 0xffff, v10
	v_and_b32_e32 v11, 0xffff, v11
	v_mul_u32_u24_e32 v9, 0x10001, v9
	v_mul_u32_u24_e32 v28, 0x10001, v28
	;; [unrolled: 1-line block ×7, first 2 shown]
	s_wait_dscnt 0x1
	v_pk_fma_f16 v29, v16, v8, v29
	v_pk_fma_f16 v31, v16, v9, v31
	;; [unrolled: 1-line block ×4, first 2 shown]
	s_wait_dscnt 0x0
	v_lshrrev_b32_e32 v8, 16, v12
	v_and_b32_e32 v9, 0xffff, v12
	v_pk_fma_f16 v33, v16, v10, v33
	v_pk_fma_f16 v35, v16, v11, v35
	;; [unrolled: 1-line block ×8, first 2 shown]
	v_lshrrev_b32_e32 v10, 16, v13
	v_lshrrev_b32_e32 v11, 16, v14
	v_mul_u32_u24_e32 v27, 0x10001, v9
	v_and_b32_e32 v9, 0xffff, v14
	v_mul_u32_u24_e32 v14, 0x10001, v8
	v_and_b32_e32 v8, 0xffff, v15
	v_pk_fma_f16 v30, v16, v28, v30
	v_pk_fma_f16 v32, v16, v36, v32
	;; [unrolled: 1-line block ×3, first 2 shown]
	v_lshrrev_b32_e32 v12, 16, v15
	v_and_b32_e32 v13, 0xffff, v13
	v_mul_u32_u24_e32 v15, 0x10001, v10
	v_mul_u32_u24_e32 v28, 0x10001, v9
	;; [unrolled: 1-line block ×4, first 2 shown]
	ds_load_b128 v[8:11], v131 offset:480
	v_pk_fma_f16 v16, v16, v38, v39
	v_mul_u32_u24_e32 v13, 0x10001, v13
	v_mul_u32_u24_e32 v38, 0x10001, v12
	v_pk_fma_f16 v29, v18, v27, v29
	v_pk_fma_f16 v30, v18, v14, v30
	v_pk_fma_f16 v32, v18, v15, v32
	v_pk_fma_f16 v31, v18, v13, v31
	v_pk_fma_f16 v33, v18, v28, v33
	v_pk_fma_f16 v34, v18, v36, v34
	v_pk_fma_f16 v35, v18, v37, v35
	v_pk_fma_f16 v39, v18, v38, v16
	v_pk_fma_f16 v20, v19, v27, v20
	v_pk_fma_f16 v25, v19, v14, v25
	v_pk_fma_f16 v24, v19, v13, v24
	v_pk_fma_f16 v21, v19, v15, v21
	v_pk_fma_f16 v26, v19, v28, v26
	v_pk_fma_f16 v22, v19, v36, v22
	ds_load_2addr_b64 v[12:15], v167 offset0:80 offset1:104
	v_pk_fma_f16 v23, v19, v37, v23
	v_pk_fma_f16 v27, v19, v38, v17
	ds_load_b128 v[16:19], v131 offset:496
	s_wait_loadcnt_dscnt 0x0
	s_barrier_signal -1
	s_barrier_wait -1
	global_inv scope:SCOPE_SE
	s_load_b32 s6, s[52:53], 0x4
	v_lshrrev_b32_e32 v28, 16, v8
	v_and_b32_e32 v8, 0xffff, v8
	v_lshrrev_b32_e32 v36, 16, v9
	v_lshrrev_b32_e32 v37, 16, v10
	;; [unrolled: 1-line block ×3, first 2 shown]
	v_and_b32_e32 v9, 0xffff, v9
	v_and_b32_e32 v10, 0xffff, v10
	;; [unrolled: 1-line block ×3, first 2 shown]
	v_mul_u32_u24_e32 v8, 0x10001, v8
	v_mul_u32_u24_e32 v28, 0x10001, v28
	;; [unrolled: 1-line block ×8, first 2 shown]
	v_pk_fma_f16 v29, v12, v8, v29
	v_pk_fma_f16 v31, v12, v9, v31
	;; [unrolled: 1-line block ×9, first 2 shown]
	v_lshrrev_b32_e32 v23, 16, v16
	v_and_b32_e32 v16, 0xffff, v16
	v_lshrrev_b32_e32 v24, 16, v17
	v_and_b32_e32 v17, 0xffff, v17
	v_lshrrev_b32_e32 v25, 16, v18
	v_lshrrev_b32_e32 v26, 16, v19
	v_and_b32_e32 v18, 0xffff, v18
	v_and_b32_e32 v19, 0xffff, v19
	v_pk_fma_f16 v30, v12, v28, v30
	v_pk_fma_f16 v32, v12, v36, v32
	;; [unrolled: 1-line block ×7, first 2 shown]
	v_mul_u32_u24_e32 v16, 0x10001, v16
	v_mul_u32_u24_e32 v23, 0x10001, v23
	;; [unrolled: 1-line block ×8, first 2 shown]
	s_wait_kmcnt 0x0
	s_lshl_b32 s6, s6, 5
	v_pk_fma_f16 v144, v14, v16, v29
	v_pk_fma_f16 v142, v14, v23, v30
	;; [unrolled: 1-line block ×16, first 2 shown]
	s_wait_alu 0xfffe
	s_add_co_i32 s26, s6, s26
	s_wait_alu 0xfffe
	s_cmp_ge_i32 s26, s40
	s_cbranch_scc1 .LBB0_29
; %bb.28:                               ;   in Loop: Header=BB0_11 Depth=1
	v_dual_mov_b32 v8, v0 :: v_dual_mov_b32 v9, v1
	v_dual_mov_b32 v10, v2 :: v_dual_mov_b32 v11, v3
	;; [unrolled: 1-line block ×8, first 2 shown]
	s_branch .LBB0_11
.LBB0_29:
	v_mov_b32_e32 v8, v120
.LBB0_30:
	v_cmp_lt_i32_e32 vcc_lo, v154, v119
	s_cmp_lg_u64 s[24:25], 0
	s_cselect_b32 s3, -1, 0
	s_cmp_eq_u32 s33, 0
	s_wait_alu 0xfffd
	v_cndmask_b32_e32 v9, v8, v154, vcc_lo
	v_cmp_lt_i32_e32 vcc_lo, v155, v119
	s_cselect_b32 s4, -1, 0
	s_wait_alu 0xfffe
	s_and_b32 s3, s4, s3
	v_lshlrev_b32_e32 v9, 2, v9
	ds_bpermute_b32 v10, v9, v166
	s_wait_dscnt 0x0
	v_add_f32_e32 v10, v166, v10
	ds_bpermute_b32 v12, v9, v164
	ds_bpermute_b32 v14, v9, v162
	;; [unrolled: 1-line block ×4, first 2 shown]
	s_wait_alu 0xfffd
	v_cndmask_b32_e32 v17, v8, v155, vcc_lo
	ds_bpermute_b32 v15, v9, v161
	ds_bpermute_b32 v13, v9, v163
	;; [unrolled: 1-line block ×3, first 2 shown]
	v_cmp_lt_i32_e32 vcc_lo, v156, v119
	s_wait_dscnt 0x6
	v_add_f32_e32 v12, v164, v12
	s_wait_dscnt 0x5
	v_dual_add_f32 v14, v162, v14 :: v_dual_lshlrev_b32 v17, 2, v17
	s_wait_dscnt 0x3
	v_dual_add_f32 v11, v165, v11 :: v_dual_add_f32 v16, v160, v16
	ds_bpermute_b32 v20, v17, v12
	ds_bpermute_b32 v22, v17, v14
	s_wait_dscnt 0x4
	v_add_f32_e32 v15, v161, v15
	ds_bpermute_b32 v18, v17, v10
	ds_bpermute_b32 v24, v17, v16
	;; [unrolled: 1-line block ×3, first 2 shown]
	s_wait_dscnt 0x6
	v_add_f32_e32 v13, v163, v13
	s_wait_dscnt 0x4
	v_dual_add_f32 v9, v159, v9 :: v_dual_add_f32 v12, v12, v20
	ds_bpermute_b32 v23, v17, v15
	s_wait_dscnt 0x4
	s_wait_alu 0xfffd
	v_dual_add_f32 v14, v14, v22 :: v_dual_cndmask_b32 v25, v8, v156
	s_wait_dscnt 0x3
	v_add_f32_e32 v10, v10, v18
	ds_bpermute_b32 v21, v17, v13
	ds_bpermute_b32 v17, v17, v9
	s_wait_dscnt 0x4
	v_dual_add_f32 v16, v16, v24 :: v_dual_lshlrev_b32 v25, 2, v25
	s_wait_dscnt 0x3
	v_add_f32_e32 v11, v11, v19
	v_cmp_lt_i32_e32 vcc_lo, v157, v119
	ds_bpermute_b32 v19, v25, v12
	ds_bpermute_b32 v18, v25, v11
	s_wait_dscnt 0x4
	v_add_f32_e32 v15, v15, v23
	ds_bpermute_b32 v23, v25, v16
	s_wait_dscnt 0x4
	v_add_f32_e32 v13, v13, v21
	s_wait_dscnt 0x3
	v_add_f32_e32 v9, v9, v17
	ds_bpermute_b32 v17, v25, v10
	ds_bpermute_b32 v21, v25, v14
	;; [unrolled: 1-line block ×3, first 2 shown]
	s_wait_dscnt 0x5
	v_add_f32_e32 v12, v12, v19
	ds_bpermute_b32 v20, v25, v13
	s_wait_dscnt 0x4
	v_add_f32_e32 v16, v16, v23
	ds_bpermute_b32 v24, v25, v9
	s_wait_alu 0xfffd
	v_cndmask_b32_e32 v25, v8, v157, vcc_lo
	v_cmp_lt_i32_e32 vcc_lo, v158, v119
	s_wait_dscnt 0x4
	v_add_f32_e32 v10, v10, v17
	s_wait_dscnt 0x3
	v_add_f32_e32 v14, v14, v21
	s_wait_alu 0xfffd
	v_dual_cndmask_b32 v8, v8, v158 :: v_dual_lshlrev_b32 v25, 2, v25
	s_wait_alu 0xfffe
	s_and_b32 vcc_lo, exec_lo, s3
	ds_bpermute_b32 v19, v25, v12
	v_lshlrev_b32_e32 v8, 2, v8
	s_wait_dscnt 0x0
	v_add_f32_e32 v12, v12, v19
	ds_bpermute_b32 v17, v25, v10
	ds_bpermute_b32 v21, v25, v14
	;; [unrolled: 1-line block ×3, first 2 shown]
	v_add_f32_e32 v11, v11, v18
	v_add_f32_e32 v13, v13, v20
	;; [unrolled: 1-line block ×3, first 2 shown]
	ds_bpermute_b32 v19, v8, v12
	v_add_f32_e32 v9, v9, v24
	ds_bpermute_b32 v24, v25, v9
	s_wait_dscnt 0x4
	v_add_f32_e32 v10, v10, v17
	ds_bpermute_b32 v18, v25, v11
	s_wait_dscnt 0x4
	;; [unrolled: 3-line block ×3, first 2 shown]
	v_add_f32_e32 v16, v16, v23
	ds_bpermute_b32 v22, v25, v15
	ds_bpermute_b32 v21, v8, v14
	;; [unrolled: 1-line block ×3, first 2 shown]
	s_wait_dscnt 0x5
	v_add_f32_e32 v17, v9, v24
	ds_bpermute_b32 v9, v8, v10
	ds_bpermute_b32 v24, v8, v17
	s_wait_dscnt 0x6
	v_add_f32_e32 v11, v11, v18
	s_wait_dscnt 0x5
	v_add_f32_e32 v13, v13, v20
	;; [unrolled: 2-line block ×3, first 2 shown]
	ds_bpermute_b32 v18, v8, v11
	ds_bpermute_b32 v20, v8, v13
	;; [unrolled: 1-line block ×3, first 2 shown]
	s_wait_dscnt 0x4
	v_add_f32_e32 v8, v10, v9
	v_add_f32_e32 v10, v12, v19
	;; [unrolled: 1-line block ×3, first 2 shown]
	s_wait_dscnt 0x2
	v_dual_add_f32 v14, v16, v23 :: v_dual_add_f32 v9, v11, v18
	s_wait_dscnt 0x1
	v_add_f32_e32 v11, v13, v20
	s_wait_dscnt 0x0
	v_add_f32_e32 v13, v15, v22
	v_add_f32_e32 v15, v17, v24
	s_wait_alu 0xfffe
	s_cbranch_vccz .LBB0_33
; %bb.31:
	s_ashr_i32 s37, s36, 31
	v_dual_mov_b32 v16, 0 :: v_dual_max_num_f32 v17, v1, v1
	s_wait_alu 0xfffe
	s_lshl_b64 s[4:5], s[36:37], 2
	v_dual_max_num_f32 v18, v2, v2 :: v_dual_max_num_f32 v21, v5, v5
	s_wait_alu 0xfffe
	s_add_nc_u64 s[4:5], s[24:25], s[4:5]
	s_clause 0x1
	global_load_b128 v[24:27], v16, s[4:5]
	global_load_b128 v[28:31], v16, s[4:5] offset:16
	v_dual_max_num_f32 v16, v0, v0 :: v_dual_max_num_f32 v19, v3, v3
	v_dual_max_num_f32 v20, v4, v4 :: v_dual_max_num_f32 v23, v7, v7
	s_wait_loadcnt 0x1
	v_dual_max_num_f32 v22, v6, v6 :: v_dual_max_num_f32 v33, v25, v25
	v_dual_max_num_f32 v32, v24, v24 :: v_dual_max_num_f32 v35, v27, v27
	s_wait_loadcnt 0x0
	v_dual_max_num_f32 v34, v26, v26 :: v_dual_max_num_f32 v37, v29, v29
	v_dual_max_num_f32 v36, v28, v28 :: v_dual_max_num_f32 v39, v31, v31
	;; [unrolled: 1-line block ×4, first 2 shown]
	s_delay_alu instid0(VALU_DEP_4) | instskip(NEXT) | instid1(VALU_DEP_4)
	v_dual_max_num_f32 v18, v18, v34 :: v_dual_max_num_f32 v21, v21, v37
	v_dual_max_num_f32 v20, v20, v36 :: v_dual_max_num_f32 v23, v23, v39
	s_delay_alu instid0(VALU_DEP_4) | instskip(NEXT) | instid1(VALU_DEP_4)
	v_dual_max_num_f32 v22, v22, v38 :: v_dual_sub_f32 v33, v1, v17
	v_dual_sub_f32 v32, v0, v16 :: v_dual_sub_f32 v25, v25, v17
	v_dual_sub_f32 v24, v24, v16 :: v_dual_sub_f32 v35, v3, v19
	;; [unrolled: 1-line block ×7, first 2 shown]
	v_dual_mov_b32 v0, v16 :: v_dual_mov_b32 v3, v19
	v_dual_sub_f32 v30, v30, v22 :: v_dual_mov_b32 v1, v17
	v_dual_mov_b32 v2, v18 :: v_dual_mov_b32 v5, v21
	v_dual_mov_b32 v4, v20 :: v_dual_mov_b32 v7, v23
	v_dual_mov_b32 v6, v22 :: v_dual_mul_f32 v17, 0x3fb8aa3b, v24
	v_dual_mul_f32 v16, 0x3fb8aa3b, v32 :: v_dual_mul_f32 v19, 0x3fb8aa3b, v25
	v_dual_mul_f32 v18, 0x3fb8aa3b, v33 :: v_dual_mul_f32 v21, 0x3fb8aa3b, v26
	s_delay_alu instid0(VALU_DEP_3) | instskip(NEXT) | instid1(VALU_DEP_3)
	v_fma_f32 v50, 0x3fb8aa3b, v24, -v17
	v_fma_f32 v48, 0x3fb8aa3b, v32, -v16
	v_rndne_f32_e32 v49, v16
	v_rndne_f32_e32 v51, v17
	;; [unrolled: 1-line block ×3, first 2 shown]
	v_dual_mul_f32 v20, 0x3fb8aa3b, v34 :: v_dual_mul_f32 v23, 0x3fb8aa3b, v27
	s_delay_alu instid0(VALU_DEP_3)
	v_dual_fmac_f32 v48, 0x32a5705f, v32 :: v_dual_sub_f32 v17, v17, v51
	v_sub_f32_e32 v16, v16, v49
	v_dual_mul_f32 v22, 0x3fb8aa3b, v35 :: v_dual_mul_f32 v41, 0x3fb8aa3b, v28
	v_fma_f32 v52, 0x3fb8aa3b, v33, -v18
	v_rndne_f32_e32 v53, v18
	v_fma_f32 v54, 0x3fb8aa3b, v25, -v19
	v_rndne_f32_e32 v59, v21
	v_dual_fmac_f32 v50, 0x32a5705f, v24 :: v_dual_sub_f32 v19, v19, v55
	v_add_f32_e32 v16, v16, v48
	v_dual_mul_f32 v40, 0x3fb8aa3b, v36 :: v_dual_mul_f32 v43, 0x3fb8aa3b, v29
	v_fma_f32 v58, 0x3fb8aa3b, v26, -v21
	v_rndne_f32_e32 v63, v23
	v_rndne_f32_e32 v67, v41
	v_fmac_f32_e32 v52, 0x32a5705f, v33
	v_dual_sub_f32 v18, v18, v53 :: v_dual_sub_f32 v21, v21, v59
	v_dual_mul_f32 v46, 0x3fb8aa3b, v39 :: v_dual_add_f32 v17, v17, v50
	v_exp_f32_e32 v16, v16
	v_dual_mul_f32 v42, 0x3fb8aa3b, v37 :: v_dual_mul_f32 v45, 0x3fb8aa3b, v30
	v_dual_mul_f32 v44, 0x3fb8aa3b, v38 :: v_dual_mul_f32 v47, 0x3fb8aa3b, v31
	v_fma_f32 v56, 0x3fb8aa3b, v34, -v20
	v_rndne_f32_e32 v57, v20
	v_fma_f32 v60, 0x3fb8aa3b, v35, -v22
	v_fma_f32 v62, 0x3fb8aa3b, v27, -v23
	;; [unrolled: 1-line block ×3, first 2 shown]
	v_rndne_f32_e32 v71, v43
	v_cvt_i32_f32_e32 v49, v49
	v_dual_fmac_f32 v54, 0x32a5705f, v25 :: v_dual_sub_f32 v23, v23, v63
	v_dual_sub_f32 v41, v41, v67 :: v_dual_add_f32 v18, v18, v52
	v_exp_f32_e32 v17, v17
	v_fma_f32 v70, 0x3fb8aa3b, v29, -v43
	v_rndne_f32_e32 v75, v45
	v_rndne_f32_e32 v79, v47
	v_cvt_i32_f32_e32 v51, v51
	v_fmac_f32_e32 v56, 0x32a5705f, v34
	v_dual_sub_f32 v20, v20, v57 :: v_dual_sub_f32 v43, v43, v71
	v_dual_fmac_f32 v60, 0x32a5705f, v35 :: v_dual_add_f32 v19, v19, v54
	v_exp_f32_e32 v18, v18
	v_ldexp_f32 v16, v16, v49
	v_cmp_ngt_f32_e32 vcc_lo, 0xc2ce8ed0, v32
	v_rndne_f32_e32 v61, v22
	v_fma_f32 v74, 0x3fb8aa3b, v30, -v45
	v_fma_f32 v78, 0x3fb8aa3b, v31, -v47
	v_cvt_i32_f32_e32 v53, v53
	v_sub_f32_e32 v45, v45, v75
	v_dual_sub_f32 v47, v47, v79 :: v_dual_add_f32 v20, v20, v56
	v_exp_f32_e32 v19, v19
	v_ldexp_f32 v17, v17, v51
	s_wait_alu 0xfffd
	v_cndmask_b32_e32 v16, 0, v16, vcc_lo
	v_cmp_ngt_f32_e32 vcc_lo, 0xc2ce8ed0, v24
	v_fmac_f32_e32 v58, 0x32a5705f, v26
	v_cvt_i32_f32_e32 v55, v55
	v_fmac_f32_e32 v74, 0x32a5705f, v30
	v_exp_f32_e32 v20, v20
	v_ldexp_f32 v18, v18, v53
	s_wait_alu 0xfffd
	v_cndmask_b32_e32 v17, 0, v17, vcc_lo
	v_dual_sub_f32 v22, v22, v61 :: v_dual_add_f32 v21, v21, v58
	v_cmp_ngt_f32_e32 vcc_lo, 0xc2ce8ed0, v33
	v_fma_f32 v64, 0x3fb8aa3b, v36, -v40
	v_rndne_f32_e32 v69, v42
	v_cvt_i32_f32_e32 v57, v57
	v_dual_fmac_f32 v66, 0x32a5705f, v28 :: v_dual_add_f32 v45, v45, v74
	v_fmac_f32_e32 v62, 0x32a5705f, v27
	v_add_f32_e32 v22, v22, v60
	v_exp_f32_e32 v21, v21
	v_ldexp_f32 v19, v19, v55
	s_wait_alu 0xfffd
	v_cndmask_b32_e32 v18, 0, v18, vcc_lo
	v_cmp_ngt_f32_e32 vcc_lo, 0xc2ce8ed0, v25
	v_fma_f32 v68, 0x3fb8aa3b, v37, -v42
	v_cvt_i32_f32_e32 v59, v59
	v_dual_sub_f32 v42, v42, v69 :: v_dual_add_f32 v41, v41, v66
	v_dual_fmac_f32 v64, 0x32a5705f, v36 :: v_dual_add_f32 v23, v23, v62
	v_exp_f32_e32 v22, v22
	v_ldexp_f32 v20, v20, v57
	s_wait_alu 0xfffd
	v_cndmask_b32_e32 v19, 0, v19, vcc_lo
	v_cmp_ngt_f32_e32 vcc_lo, 0xc2ce8ed0, v34
	v_fma_f32 v72, 0x3fb8aa3b, v38, -v44
	v_cvt_i32_f32_e32 v61, v61
	v_exp_f32_e32 v23, v23
	v_ldexp_f32 v21, v21, v59
	s_wait_alu 0xfffd
	v_cndmask_b32_e32 v20, 0, v20, vcc_lo
	v_cmp_ngt_f32_e32 vcc_lo, 0xc2ce8ed0, v26
	v_cvt_i32_f32_e32 v63, v63
	v_fmac_f32_e32 v72, 0x32a5705f, v38
	v_ldexp_f32 v22, v22, v61
	v_rndne_f32_e32 v65, v40
	s_wait_alu 0xfffd
	v_cndmask_b32_e32 v21, 0, v21, vcc_lo
	v_cmp_ngt_f32_e32 vcc_lo, 0xc2ce8ed0, v35
	v_ldexp_f32 v23, v23, v63
	v_fmac_f32_e32 v78, 0x32a5705f, v31
	v_fmac_f32_e32 v68, 0x32a5705f, v37
	v_exp_f32_e32 v41, v41
	s_wait_alu 0xfffd
	v_cndmask_b32_e32 v22, 0, v22, vcc_lo
	v_cmp_ngt_f32_e32 vcc_lo, 0xc2ce8ed0, v27
	v_dual_fmac_f32 v70, 0x32a5705f, v29 :: v_dual_add_f32 v47, v47, v78
	v_add_f32_e32 v42, v42, v68
	v_cvt_i32_f32_e32 v67, v67
	s_wait_alu 0xfffd
	v_dual_cndmask_b32 v23, 0, v23 :: v_dual_sub_f32 v40, v40, v65
	v_add_f32_e32 v43, v43, v70
	v_cvt_i32_f32_e32 v65, v65
	v_exp_f32_e32 v42, v42
	v_cmp_ngt_f32_e32 vcc_lo, 0xc2ce8ed0, v36
	v_add_f32_e32 v40, v40, v64
	v_cvt_i32_f32_e32 v69, v69
	v_exp_f32_e32 v43, v43
	v_ldexp_f32 v41, v41, v67
	v_rndne_f32_e32 v73, v44
	v_exp_f32_e32 v40, v40
	v_cvt_i32_f32_e32 v71, v71
	v_exp_f32_e32 v45, v45
	v_ldexp_f32 v42, v42, v69
	v_exp_f32_e32 v47, v47
	v_fma_f32 v76, 0x3fb8aa3b, v39, -v46
	v_rndne_f32_e32 v77, v46
	v_ldexp_f32 v43, v43, v71
	v_cvt_i32_f32_e32 v75, v75
	v_cvt_i32_f32_e32 v79, v79
	v_ldexp_f32 v40, v40, v65
	s_delay_alu instid0(TRANS32_DEP_2) | instid1(VALU_DEP_3)
	v_ldexp_f32 v45, v45, v75
	s_delay_alu instid0(TRANS32_DEP_1) | instid1(VALU_DEP_3)
	v_ldexp_f32 v47, v47, v79
	s_wait_alu 0xfffd
	s_delay_alu instid0(VALU_DEP_3)
	v_cndmask_b32_e32 v40, 0, v40, vcc_lo
	v_cmp_ngt_f32_e32 vcc_lo, 0xc2ce8ed0, v28
	v_sub_f32_e32 v46, v46, v77
	v_cvt_i32_f32_e32 v77, v77
	s_wait_alu 0xfffd
	v_cndmask_b32_e32 v41, 0, v41, vcc_lo
	v_cmp_ngt_f32_e32 vcc_lo, 0xc2ce8ed0, v37
	s_wait_alu 0xfffd
	v_cndmask_b32_e32 v42, 0, v42, vcc_lo
	v_cmp_ngt_f32_e32 vcc_lo, 0xc2ce8ed0, v29
	v_sub_f32_e32 v44, v44, v73
	v_cvt_i32_f32_e32 v73, v73
	s_wait_alu 0xfffd
	s_delay_alu instid0(VALU_DEP_2) | instskip(SKIP_1) | instid1(VALU_DEP_2)
	v_dual_cndmask_b32 v43, 0, v43 :: v_dual_add_f32 v44, v44, v72
	v_cmp_ngt_f32_e32 vcc_lo, 0xc2ce8ed0, v38
	v_exp_f32_e32 v44, v44
	s_delay_alu instid0(TRANS32_DEP_1) | instskip(SKIP_1) | instid1(VALU_DEP_1)
	v_ldexp_f32 v44, v44, v73
	s_wait_alu 0xfffd
	v_cndmask_b32_e32 v44, 0, v44, vcc_lo
	v_cmp_ngt_f32_e32 vcc_lo, 0xc2ce8ed0, v30
	s_wait_alu 0xfffd
	v_dual_fmac_f32 v76, 0x32a5705f, v39 :: v_dual_cndmask_b32 v45, 0, v45
	s_delay_alu instid0(VALU_DEP_1) | instskip(SKIP_1) | instid1(VALU_DEP_2)
	v_add_f32_e32 v46, v46, v76
	v_cmp_ngt_f32_e32 vcc_lo, 0xc2ce8ed0, v39
	v_exp_f32_e32 v46, v46
	s_delay_alu instid0(TRANS32_DEP_1) | instskip(SKIP_1) | instid1(VALU_DEP_1)
	v_ldexp_f32 v46, v46, v77
	s_wait_alu 0xfffd
	v_cndmask_b32_e32 v46, 0, v46, vcc_lo
	v_cmp_ngt_f32_e32 vcc_lo, 0xc2ce8ed0, v31
	s_wait_alu 0xfffd
	v_cndmask_b32_e32 v47, 0, v47, vcc_lo
	v_cmp_nlt_f32_e32 vcc_lo, 0x42b17218, v32
	s_wait_alu 0xfffd
	v_cndmask_b32_e32 v32, 0x7f800000, v16, vcc_lo
	v_cmp_nlt_f32_e32 vcc_lo, 0x42b17218, v24
	;; [unrolled: 3-line block ×3, first 2 shown]
	s_delay_alu instid0(VALU_DEP_2)
	v_fmac_f32_e32 v16, v8, v32
	s_wait_alu 0xfffd
	v_cndmask_b32_e32 v24, 0x7f800000, v18, vcc_lo
	v_cmp_nlt_f32_e32 vcc_lo, 0x42b17218, v25
	v_cvt_f16_f32_e32 v8, v32
	s_wait_alu 0xfffd
	v_cndmask_b32_e32 v17, 0x7f800000, v19, vcc_lo
	v_cmp_nlt_f32_e32 vcc_lo, 0x42b17218, v34
	s_delay_alu instid0(VALU_DEP_2)
	v_fmac_f32_e32 v17, v9, v24
	s_wait_alu 0xfffd
	v_cndmask_b32_e32 v25, 0x7f800000, v20, vcc_lo
	v_cmp_nlt_f32_e32 vcc_lo, 0x42b17218, v26
	v_cvt_f16_f32_e32 v9, v24
	v_and_b32_e32 v24, 0xffff, v8
	v_mov_b32_e32 v8, v16
	s_wait_alu 0xfffd
	v_cndmask_b32_e32 v18, 0x7f800000, v21, vcc_lo
	v_cmp_nlt_f32_e32 vcc_lo, 0x42b17218, v35
	v_mul_u32_u24_e32 v24, 0x10001, v24
	s_delay_alu instid0(VALU_DEP_3)
	v_fmac_f32_e32 v18, v10, v25
	v_cvt_f16_f32_e32 v10, v25
	v_and_b32_e32 v25, 0xffff, v9
	s_wait_alu 0xfffd
	v_dual_mov_b32 v9, v17 :: v_dual_cndmask_b32 v26, 0x7f800000, v22
	v_cmp_nlt_f32_e32 vcc_lo, 0x42b17218, v27
	v_pk_mul_f16 v144, v144, v24
	v_mul_u32_u24_e32 v25, 0x10001, v25
	v_pk_mul_f16 v145, v145, v24
	s_wait_alu 0xfffd
	v_cndmask_b32_e32 v19, 0x7f800000, v23, vcc_lo
	v_cmp_nlt_f32_e32 vcc_lo, 0x42b17218, v36
	v_pk_mul_f16 v142, v142, v25
	v_pk_mul_f16 v143, v143, v25
	s_delay_alu instid0(VALU_DEP_4)
	v_fmac_f32_e32 v19, v11, v26
	s_wait_alu 0xfffd
	v_cndmask_b32_e32 v27, 0x7f800000, v40, vcc_lo
	v_cmp_nlt_f32_e32 vcc_lo, 0x42b17218, v28
	v_cvt_f16_f32_e32 v11, v26
	v_and_b32_e32 v26, 0xffff, v10
	v_mov_b32_e32 v10, v18
	s_wait_alu 0xfffd
	v_cndmask_b32_e32 v20, 0x7f800000, v41, vcc_lo
	v_cmp_nlt_f32_e32 vcc_lo, 0x42b17218, v37
	v_mul_u32_u24_e32 v26, 0x10001, v26
	s_wait_alu 0xfffd
	v_cndmask_b32_e32 v28, 0x7f800000, v42, vcc_lo
	v_cmp_nlt_f32_e32 vcc_lo, 0x42b17218, v29
	s_delay_alu instid0(VALU_DEP_3) | instskip(SKIP_4) | instid1(VALU_DEP_2)
	v_pk_mul_f16 v140, v140, v26
	v_pk_mul_f16 v141, v141, v26
	s_wait_alu 0xfffd
	v_cndmask_b32_e32 v21, 0x7f800000, v43, vcc_lo
	v_cmp_nlt_f32_e32 vcc_lo, 0x42b17218, v38
	v_fmac_f32_e32 v21, v13, v28
	s_wait_alu 0xfffd
	v_cndmask_b32_e32 v29, 0x7f800000, v44, vcc_lo
	v_cmp_nlt_f32_e32 vcc_lo, 0x42b17218, v30
	v_cvt_f16_f32_e32 v13, v28
	s_wait_alu 0xfffd
	v_cndmask_b32_e32 v22, 0x7f800000, v45, vcc_lo
	v_cmp_nlt_f32_e32 vcc_lo, 0x42b17218, v39
	s_delay_alu instid0(VALU_DEP_2)
	v_fmac_f32_e32 v22, v14, v29
	s_wait_alu 0xfffd
	v_cndmask_b32_e32 v30, 0x7f800000, v46, vcc_lo
	v_cmp_nlt_f32_e32 vcc_lo, 0x42b17218, v31
	v_fmac_f32_e32 v20, v12, v27
	v_cvt_f16_f32_e32 v12, v27
	v_cvt_f16_f32_e32 v14, v29
	v_and_b32_e32 v27, 0xffff, v11
	s_wait_alu 0xfffd
	v_cndmask_b32_e32 v23, 0x7f800000, v47, vcc_lo
	v_and_b32_e32 v29, 0xffff, v13
	v_dual_mov_b32 v11, v19 :: v_dual_and_b32 v28, 0xffff, v12
	v_mul_u32_u24_e32 v27, 0x10001, v27
	s_delay_alu instid0(VALU_DEP_4) | instskip(SKIP_4) | instid1(VALU_DEP_4)
	v_fmac_f32_e32 v23, v15, v30
	v_cvt_f16_f32_e32 v15, v30
	v_and_b32_e32 v30, 0xffff, v14
	v_mul_u32_u24_e32 v28, 0x10001, v28
	v_mul_u32_u24_e32 v29, 0x10001, v29
	v_dual_mov_b32 v12, v20 :: v_dual_and_b32 v15, 0xffff, v15
	s_delay_alu instid0(VALU_DEP_4) | instskip(SKIP_2) | instid1(VALU_DEP_4)
	v_mul_u32_u24_e32 v30, 0x10001, v30
	v_dual_mov_b32 v13, v21 :: v_dual_mov_b32 v14, v22
	v_pk_mul_f16 v138, v138, v27
	v_mul_u32_u24_e32 v15, 0x10001, v15
	v_pk_mul_f16 v139, v139, v27
	v_pk_mul_f16 v126, v126, v28
	;; [unrolled: 1-line block ×9, first 2 shown]
	v_mov_b32_e32 v15, v23
	s_mov_b32 s3, exec_lo
	v_cmpx_gt_i32_e64 s38, v106
	s_cbranch_execnz .LBB0_34
.LBB0_32:
	s_nop 0
	s_sendmsg sendmsg(MSG_DEALLOC_VGPRS)
	s_endpgm
.LBB0_33:
	s_delay_alu instid0(VALU_DEP_1)
	v_dual_mov_b32 v23, v15 :: v_dual_mov_b32 v22, v14
	v_dual_mov_b32 v21, v13 :: v_dual_mov_b32 v20, v12
	;; [unrolled: 1-line block ×4, first 2 shown]
	s_mov_b32 s3, exec_lo
	v_cmpx_gt_i32_e64 s38, v106
	s_cbranch_execz .LBB0_32
.LBB0_34:
	s_load_b32 s0, s[0:1], 0xd4
	v_mov_b32_e32 v25, 1.0
	s_wait_kmcnt 0x0
	s_cmp_lg_u32 s0, 1
	s_cselect_b32 s1, -1, 0
	s_cmp_eq_u32 s0, 1
	s_cselect_b32 s3, -1, 0
	s_wait_alu 0xfffe
	s_and_b32 vcc_lo, exec_lo, s1
	s_wait_alu 0xfffe
	s_cbranch_vccnz .LBB0_36
; %bb.35:
	v_div_scale_f32 v24, null, v8, v8, 1.0
	s_delay_alu instid0(VALU_DEP_1) | instskip(NEXT) | instid1(TRANS32_DEP_1)
	v_rcp_f32_e32 v25, v24
	v_fma_f32 v26, -v24, v25, 1.0
	s_delay_alu instid0(VALU_DEP_1) | instskip(SKIP_1) | instid1(VALU_DEP_1)
	v_fmac_f32_e32 v25, v26, v25
	v_div_scale_f32 v26, vcc_lo, 1.0, v8, 1.0
	v_mul_f32_e32 v27, v26, v25
	s_delay_alu instid0(VALU_DEP_1) | instskip(NEXT) | instid1(VALU_DEP_1)
	v_fma_f32 v28, -v24, v27, v26
	v_fmac_f32_e32 v27, v28, v25
	s_delay_alu instid0(VALU_DEP_1) | instskip(SKIP_1) | instid1(VALU_DEP_1)
	v_fma_f32 v24, -v24, v27, v26
	s_wait_alu 0xfffd
	v_div_fmas_f32 v24, v24, v25, v27
	s_delay_alu instid0(VALU_DEP_1)
	v_div_fixup_f32 v25, v24, v8, 1.0
.LBB0_36:
	v_mad_co_u64_u32 v[26:27], null, s34, s38, v[106:107]
	s_delay_alu instid0(VALU_DEP_1) | instskip(NEXT) | instid1(VALU_DEP_1)
	v_mad_co_u64_u32 v[26:27], null, v26, s39, s[36:37]
	v_mul_lo_u32 v8, s0, v26
	s_delay_alu instid0(VALU_DEP_1)
	v_add_nc_u32_e32 v24, s33, v8
	s_and_saveexec_b32 s4, s2
	s_cbranch_execz .LBB0_38
; %bb.37:
	v_lshrrev_b32_e32 v28, 16, v145
	s_delay_alu instid0(VALU_DEP_2) | instskip(SKIP_2) | instid1(VALU_DEP_4)
	v_mad_co_u64_u32 v[26:27], null, 0x60, v24, v[104:105]
	v_lshrrev_b32_e32 v29, 16, v144
	v_cvt_f32_f16_e64 v31, v145
	v_cvt_f32_f16_e32 v28, v28
	v_mov_b32_e32 v27, 0
	v_cvt_f32_f16_e64 v32, v144
	v_cvt_f32_f16_e32 v33, v29
	s_delay_alu instid0(VALU_DEP_4) | instskip(NEXT) | instid1(VALU_DEP_4)
	v_mul_f32_e32 v28, v25, v28
	v_lshlrev_b64_e32 v[26:27], 2, v[26:27]
	s_delay_alu instid0(VALU_DEP_1) | instskip(SKIP_1) | instid1(VALU_DEP_2)
	v_add_co_u32 v29, vcc_lo, s28, v26
	s_wait_alu 0xfffd
	v_add_co_ci_u32_e64 v30, null, s29, v27, vcc_lo
	v_mul_f32_e32 v27, v25, v31
	v_mul_f32_e32 v26, v25, v33
	;; [unrolled: 1-line block ×3, first 2 shown]
	global_store_b128 v[29:30], v[25:28], off
.LBB0_38:
	s_wait_alu 0xfffe
	s_or_b32 exec_lo, exec_lo, s4
	v_cmp_eq_u32_e32 vcc_lo, 0, v105
	s_and_b32 s1, vcc_lo, s1
	s_wait_alu 0xfffe
	s_and_saveexec_b32 s4, s1
	s_cbranch_execz .LBB0_40
; %bb.39:
	v_ashrrev_i32_e32 v25, 31, v24
	v_dual_mov_b32 v26, v0 :: v_dual_mov_b32 v27, v16
	s_delay_alu instid0(VALU_DEP_2) | instskip(NEXT) | instid1(VALU_DEP_1)
	v_lshlrev_b64_e32 v[24:25], 3, v[24:25]
	v_add_co_u32 v24, vcc_lo, s30, v24
	s_wait_alu 0xfffd
	s_delay_alu instid0(VALU_DEP_2)
	v_add_co_ci_u32_e64 v25, null, s31, v25, vcc_lo
	global_store_b64 v[24:25], v[26:27], off
.LBB0_40:
	s_wait_alu 0xfffe
	s_or_b32 exec_lo, exec_lo, s4
	v_cndmask_b32_e64 v24, 0, 1, s3
	v_mov_b32_e32 v16, 1.0
	s_and_not1_b32 vcc_lo, exec_lo, s3
	s_wait_alu 0xfffe
	s_cbranch_vccz .LBB0_67
; %bb.41:
	v_add_nc_u32_e32 v0, s0, v8
	s_delay_alu instid0(VALU_DEP_1)
	v_add_nc_u32_e32 v8, s33, v0
	s_and_saveexec_b32 s3, s2
	s_cbranch_execnz .LBB0_68
.LBB0_42:
	s_wait_alu 0xfffe
	s_or_b32 exec_lo, exec_lo, s3
	s_and_saveexec_b32 s3, s1
	s_cbranch_execz .LBB0_44
.LBB0_43:
	v_ashrrev_i32_e32 v9, 31, v8
	v_mov_b32_e32 v16, v1
	s_delay_alu instid0(VALU_DEP_2) | instskip(NEXT) | instid1(VALU_DEP_1)
	v_lshlrev_b64_e32 v[8:9], 3, v[8:9]
	v_add_co_u32 v8, vcc_lo, s30, v8
	s_wait_alu 0xfffd
	s_delay_alu instid0(VALU_DEP_2)
	v_add_co_ci_u32_e64 v9, null, s31, v9, vcc_lo
	global_store_b64 v[8:9], v[16:17], off
.LBB0_44:
	s_wait_alu 0xfffe
	s_or_b32 exec_lo, exec_lo, s3
	v_cmp_ne_u32_e32 vcc_lo, 1, v24
	v_mov_b32_e32 v1, 1.0
	s_cbranch_vccz .LBB0_69
; %bb.45:
	v_add_nc_u32_e32 v8, s0, v0
	s_delay_alu instid0(VALU_DEP_1)
	v_add_nc_u32_e32 v0, s33, v8
	s_and_saveexec_b32 s3, s2
	s_cbranch_execnz .LBB0_70
.LBB0_46:
	s_wait_alu 0xfffe
	s_or_b32 exec_lo, exec_lo, s3
	s_and_saveexec_b32 s3, s1
	s_cbranch_execz .LBB0_48
.LBB0_47:
	v_ashrrev_i32_e32 v1, 31, v0
	v_mov_b32_e32 v17, v2
	s_delay_alu instid0(VALU_DEP_2) | instskip(NEXT) | instid1(VALU_DEP_1)
	v_lshlrev_b64_e32 v[0:1], 3, v[0:1]
	v_add_co_u32 v0, vcc_lo, s30, v0
	s_wait_alu 0xfffd
	s_delay_alu instid0(VALU_DEP_2)
	v_add_co_ci_u32_e64 v1, null, s31, v1, vcc_lo
	global_store_b64 v[0:1], v[17:18], off
.LBB0_48:
	s_wait_alu 0xfffe
	s_or_b32 exec_lo, exec_lo, s3
	v_cmp_ne_u32_e32 vcc_lo, 1, v24
	v_mov_b32_e32 v1, 1.0
	s_cbranch_vccz .LBB0_71
; %bb.49:
	v_add_nc_u32_e32 v2, s0, v8
	s_delay_alu instid0(VALU_DEP_1)
	v_add_nc_u32_e32 v0, s33, v2
	s_and_saveexec_b32 s3, s2
	s_cbranch_execnz .LBB0_72
.LBB0_50:
	s_wait_alu 0xfffe
	s_or_b32 exec_lo, exec_lo, s3
	s_and_saveexec_b32 s3, s1
	s_cbranch_execz .LBB0_52
.LBB0_51:
	v_ashrrev_i32_e32 v1, 31, v0
	v_mov_b32_e32 v18, v3
	s_delay_alu instid0(VALU_DEP_2) | instskip(NEXT) | instid1(VALU_DEP_1)
	v_lshlrev_b64_e32 v[0:1], 3, v[0:1]
	v_add_co_u32 v0, vcc_lo, s30, v0
	s_wait_alu 0xfffd
	s_delay_alu instid0(VALU_DEP_2)
	v_add_co_ci_u32_e64 v1, null, s31, v1, vcc_lo
	global_store_b64 v[0:1], v[18:19], off
.LBB0_52:
	s_wait_alu 0xfffe
	s_or_b32 exec_lo, exec_lo, s3
	v_cmp_ne_u32_e32 vcc_lo, 1, v24
	v_mov_b32_e32 v1, 1.0
	s_cbranch_vccz .LBB0_73
; %bb.53:
	v_add_nc_u32_e32 v2, s0, v2
	s_delay_alu instid0(VALU_DEP_1)
	v_add_nc_u32_e32 v0, s33, v2
	s_and_saveexec_b32 s3, s2
	s_cbranch_execnz .LBB0_74
.LBB0_54:
	s_wait_alu 0xfffe
	s_or_b32 exec_lo, exec_lo, s3
	s_and_saveexec_b32 s3, s1
	s_cbranch_execz .LBB0_56
.LBB0_55:
	v_ashrrev_i32_e32 v1, 31, v0
	v_mov_b32_e32 v19, v4
	s_delay_alu instid0(VALU_DEP_2) | instskip(NEXT) | instid1(VALU_DEP_1)
	v_lshlrev_b64_e32 v[0:1], 3, v[0:1]
	v_add_co_u32 v0, vcc_lo, s30, v0
	s_wait_alu 0xfffd
	s_delay_alu instid0(VALU_DEP_2)
	v_add_co_ci_u32_e64 v1, null, s31, v1, vcc_lo
	global_store_b64 v[0:1], v[19:20], off
.LBB0_56:
	s_wait_alu 0xfffe
	s_or_b32 exec_lo, exec_lo, s3
	v_cmp_ne_u32_e32 vcc_lo, 1, v24
	v_mov_b32_e32 v1, 1.0
	s_cbranch_vccz .LBB0_75
; %bb.57:
	v_add_nc_u32_e32 v2, s0, v2
	s_delay_alu instid0(VALU_DEP_1)
	v_add_nc_u32_e32 v0, s33, v2
	s_and_saveexec_b32 s3, s2
	s_cbranch_execnz .LBB0_76
.LBB0_58:
	s_wait_alu 0xfffe
	s_or_b32 exec_lo, exec_lo, s3
	s_and_saveexec_b32 s3, s1
	s_cbranch_execz .LBB0_60
.LBB0_59:
	v_ashrrev_i32_e32 v1, 31, v0
	v_mov_b32_e32 v20, v5
	s_delay_alu instid0(VALU_DEP_2) | instskip(NEXT) | instid1(VALU_DEP_1)
	v_lshlrev_b64_e32 v[0:1], 3, v[0:1]
	v_add_co_u32 v0, vcc_lo, s30, v0
	s_wait_alu 0xfffd
	s_delay_alu instid0(VALU_DEP_2)
	v_add_co_ci_u32_e64 v1, null, s31, v1, vcc_lo
	global_store_b64 v[0:1], v[20:21], off
.LBB0_60:
	s_wait_alu 0xfffe
	s_or_b32 exec_lo, exec_lo, s3
	v_cmp_ne_u32_e32 vcc_lo, 1, v24
	v_mov_b32_e32 v1, 1.0
	s_cbranch_vccz .LBB0_77
; %bb.61:
	v_add_nc_u32_e32 v2, s0, v2
	s_delay_alu instid0(VALU_DEP_1)
	v_add_nc_u32_e32 v0, s33, v2
	s_and_saveexec_b32 s3, s2
	s_cbranch_execnz .LBB0_78
.LBB0_62:
	s_wait_alu 0xfffe
	s_or_b32 exec_lo, exec_lo, s3
	s_and_saveexec_b32 s3, s1
	s_cbranch_execz .LBB0_64
.LBB0_63:
	v_ashrrev_i32_e32 v1, 31, v0
	v_mov_b32_e32 v21, v6
	s_delay_alu instid0(VALU_DEP_2) | instskip(NEXT) | instid1(VALU_DEP_1)
	v_lshlrev_b64_e32 v[0:1], 3, v[0:1]
	v_add_co_u32 v0, vcc_lo, s30, v0
	s_wait_alu 0xfffd
	s_delay_alu instid0(VALU_DEP_2)
	v_add_co_ci_u32_e64 v1, null, s31, v1, vcc_lo
	global_store_b64 v[0:1], v[21:22], off
.LBB0_64:
	s_wait_alu 0xfffe
	s_or_b32 exec_lo, exec_lo, s3
	v_cmp_ne_u32_e32 vcc_lo, 1, v24
	v_mov_b32_e32 v1, 1.0
	s_cbranch_vccz .LBB0_79
; %bb.65:
	v_add3_u32 v0, s33, s0, v2
	s_and_saveexec_b32 s0, s2
	s_cbranch_execnz .LBB0_80
.LBB0_66:
	s_wait_alu 0xfffe
	s_or_b32 exec_lo, exec_lo, s0
	s_delay_alu instid0(SALU_CYCLE_1)
	s_and_b32 exec_lo, exec_lo, s1
	s_cbranch_execz .LBB0_32
	s_branch .LBB0_81
.LBB0_67:
	v_div_scale_f32 v0, null, v9, v9, 1.0
	s_delay_alu instid0(VALU_DEP_1) | instskip(NEXT) | instid1(TRANS32_DEP_1)
	v_rcp_f32_e32 v16, v0
	v_fma_f32 v25, -v0, v16, 1.0
	s_delay_alu instid0(VALU_DEP_1) | instskip(SKIP_1) | instid1(VALU_DEP_1)
	v_fmac_f32_e32 v16, v25, v16
	v_div_scale_f32 v25, vcc_lo, 1.0, v9, 1.0
	v_mul_f32_e32 v26, v25, v16
	s_delay_alu instid0(VALU_DEP_1) | instskip(NEXT) | instid1(VALU_DEP_1)
	v_fma_f32 v27, -v0, v26, v25
	v_fmac_f32_e32 v26, v27, v16
	s_delay_alu instid0(VALU_DEP_1) | instskip(SKIP_1) | instid1(VALU_DEP_1)
	v_fma_f32 v0, -v0, v26, v25
	s_wait_alu 0xfffd
	v_div_fmas_f32 v0, v0, v16, v26
	s_delay_alu instid0(VALU_DEP_1) | instskip(SKIP_1) | instid1(VALU_DEP_1)
	v_div_fixup_f32 v16, v0, v9, 1.0
	v_add_nc_u32_e32 v0, s0, v8
	v_add_nc_u32_e32 v8, s33, v0
	s_and_saveexec_b32 s3, s2
	s_cbranch_execz .LBB0_42
.LBB0_68:
	s_delay_alu instid0(VALU_DEP_1)
	v_mad_co_u64_u32 v[25:26], null, 0x60, v8, v[104:105]
	v_lshrrev_b32_e32 v27, 16, v142
	v_cvt_f32_f16_e64 v31, v143
	v_mov_b32_e32 v26, 0
	v_lshrrev_b32_e32 v9, 16, v143
	v_cvt_f32_f16_e64 v32, v142
	v_cvt_f32_f16_e32 v33, v27
	v_mul_f32_e32 v27, v16, v31
	v_lshlrev_b64_e32 v[25:26], 2, v[25:26]
	v_cvt_f32_f16_e32 v9, v9
	s_delay_alu instid0(VALU_DEP_1) | instskip(NEXT) | instid1(VALU_DEP_3)
	v_mul_f32_e32 v28, v16, v9
	v_add_co_u32 v29, vcc_lo, s28, v25
	s_wait_alu 0xfffd
	s_delay_alu instid0(VALU_DEP_4)
	v_add_co_ci_u32_e64 v30, null, s29, v26, vcc_lo
	v_mul_f32_e32 v26, v16, v33
	v_mul_f32_e32 v25, v16, v32
	global_store_b128 v[29:30], v[25:28], off
	s_wait_alu 0xfffe
	s_or_b32 exec_lo, exec_lo, s3
	s_and_saveexec_b32 s3, s1
	s_cbranch_execnz .LBB0_43
	s_branch .LBB0_44
.LBB0_69:
	v_div_scale_f32 v1, null, v10, v10, 1.0
	s_delay_alu instid0(VALU_DEP_1) | instskip(NEXT) | instid1(TRANS32_DEP_1)
	v_rcp_f32_e32 v8, v1
	v_fma_f32 v9, -v1, v8, 1.0
	s_delay_alu instid0(VALU_DEP_1) | instskip(SKIP_1) | instid1(VALU_DEP_1)
	v_fmac_f32_e32 v8, v9, v8
	v_div_scale_f32 v9, vcc_lo, 1.0, v10, 1.0
	v_mul_f32_e32 v16, v9, v8
	s_delay_alu instid0(VALU_DEP_1) | instskip(NEXT) | instid1(VALU_DEP_1)
	v_fma_f32 v17, -v1, v16, v9
	v_fmac_f32_e32 v16, v17, v8
	s_delay_alu instid0(VALU_DEP_1) | instskip(SKIP_1) | instid1(VALU_DEP_1)
	v_fma_f32 v1, -v1, v16, v9
	s_wait_alu 0xfffd
	v_div_fmas_f32 v1, v1, v8, v16
	s_delay_alu instid0(VALU_DEP_1) | instskip(SKIP_1) | instid1(VALU_DEP_1)
	v_div_fixup_f32 v1, v1, v10, 1.0
	v_add_nc_u32_e32 v8, s0, v0
	v_add_nc_u32_e32 v0, s33, v8
	s_and_saveexec_b32 s3, s2
	s_cbranch_execz .LBB0_46
.LBB0_70:
	s_delay_alu instid0(VALU_DEP_1)
	v_mad_co_u64_u32 v[9:10], null, 0x60, v0, v[104:105]
	v_cvt_f32_f16_e64 v25, v141
	v_mov_b32_e32 v10, 0
	v_lshrrev_b32_e32 v16, 16, v141
	v_lshrrev_b32_e32 v17, 16, v140
	v_cvt_f32_f16_e64 v29, v140
	v_mul_f32_e32 v27, v1, v25
	v_lshlrev_b64_e32 v[9:10], 2, v[9:10]
	v_cvt_f32_f16_e32 v16, v16
	v_cvt_f32_f16_e32 v17, v17
	v_mul_f32_e32 v25, v1, v29
	s_delay_alu instid0(VALU_DEP_3)
	v_mul_f32_e32 v28, v1, v16
	v_add_co_u32 v9, vcc_lo, s28, v9
	s_wait_alu 0xfffd
	v_add_co_ci_u32_e64 v10, null, s29, v10, vcc_lo
	v_mul_f32_e32 v26, v1, v17
	global_store_b128 v[9:10], v[25:28], off
	s_wait_alu 0xfffe
	s_or_b32 exec_lo, exec_lo, s3
	s_and_saveexec_b32 s3, s1
	s_cbranch_execnz .LBB0_47
	s_branch .LBB0_48
.LBB0_71:
	v_div_scale_f32 v0, null, v11, v11, 1.0
	s_delay_alu instid0(VALU_DEP_1) | instskip(NEXT) | instid1(TRANS32_DEP_1)
	v_rcp_f32_e32 v1, v0
	v_fma_f32 v2, -v0, v1, 1.0
	s_delay_alu instid0(VALU_DEP_1) | instskip(SKIP_1) | instid1(VALU_DEP_1)
	v_fmac_f32_e32 v1, v2, v1
	v_div_scale_f32 v2, vcc_lo, 1.0, v11, 1.0
	v_mul_f32_e32 v9, v2, v1
	s_delay_alu instid0(VALU_DEP_1) | instskip(NEXT) | instid1(VALU_DEP_1)
	v_fma_f32 v10, -v0, v9, v2
	v_fmac_f32_e32 v9, v10, v1
	s_delay_alu instid0(VALU_DEP_1) | instskip(SKIP_1) | instid1(VALU_DEP_1)
	v_fma_f32 v0, -v0, v9, v2
	s_wait_alu 0xfffd
	v_div_fmas_f32 v0, v0, v1, v9
	s_delay_alu instid0(VALU_DEP_1) | instskip(SKIP_1) | instid1(VALU_DEP_1)
	v_div_fixup_f32 v1, v0, v11, 1.0
	v_add_nc_u32_e32 v2, s0, v8
	v_add_nc_u32_e32 v0, s33, v2
	s_and_saveexec_b32 s3, s2
	s_cbranch_execz .LBB0_50
.LBB0_72:
	v_lshrrev_b32_e32 v10, 16, v139
	s_delay_alu instid0(VALU_DEP_2)
	v_mad_co_u64_u32 v[8:9], null, 0x60, v0, v[104:105]
	v_lshrrev_b32_e32 v11, 16, v138
	v_cvt_f32_f16_e64 v18, v139
	v_mov_b32_e32 v9, 0
	v_cvt_f32_f16_e32 v10, v10
	v_cvt_f32_f16_e64 v25, v138
	v_cvt_f32_f16_e32 v26, v11
	s_delay_alu instid0(VALU_DEP_3) | instskip(SKIP_2) | instid1(VALU_DEP_1)
	v_mul_f32_e32 v11, v1, v10
	v_mul_f32_e32 v10, v1, v18
	v_lshlrev_b64_e32 v[8:9], 2, v[8:9]
	v_add_co_u32 v16, vcc_lo, s28, v8
	s_wait_alu 0xfffd
	s_delay_alu instid0(VALU_DEP_2)
	v_add_co_ci_u32_e64 v17, null, s29, v9, vcc_lo
	v_mul_f32_e32 v9, v1, v26
	v_mul_f32_e32 v8, v1, v25
	global_store_b128 v[16:17], v[8:11], off
	s_wait_alu 0xfffe
	s_or_b32 exec_lo, exec_lo, s3
	s_and_saveexec_b32 s3, s1
	s_cbranch_execnz .LBB0_51
	s_branch .LBB0_52
.LBB0_73:
	v_div_scale_f32 v0, null, v12, v12, 1.0
	s_delay_alu instid0(VALU_DEP_1) | instskip(NEXT) | instid1(TRANS32_DEP_1)
	v_rcp_f32_e32 v1, v0
	v_fma_f32 v3, -v0, v1, 1.0
	s_delay_alu instid0(VALU_DEP_1) | instskip(SKIP_1) | instid1(VALU_DEP_1)
	v_fmac_f32_e32 v1, v3, v1
	v_div_scale_f32 v3, vcc_lo, 1.0, v12, 1.0
	v_mul_f32_e32 v8, v3, v1
	s_delay_alu instid0(VALU_DEP_1) | instskip(NEXT) | instid1(VALU_DEP_1)
	v_fma_f32 v9, -v0, v8, v3
	v_fmac_f32_e32 v8, v9, v1
	s_delay_alu instid0(VALU_DEP_1) | instskip(SKIP_1) | instid1(VALU_DEP_1)
	v_fma_f32 v0, -v0, v8, v3
	s_wait_alu 0xfffd
	v_div_fmas_f32 v0, v0, v1, v8
	s_delay_alu instid0(VALU_DEP_1) | instskip(SKIP_1) | instid1(VALU_DEP_1)
	v_div_fixup_f32 v1, v0, v12, 1.0
	v_add_nc_u32_e32 v2, s0, v2
	v_add_nc_u32_e32 v0, s33, v2
	s_and_saveexec_b32 s3, s2
	s_cbranch_execz .LBB0_54
.LBB0_74:
	s_delay_alu instid0(VALU_DEP_1)
	v_mad_co_u64_u32 v[8:9], null, 0x60, v0, v[104:105]
	v_lshrrev_b32_e32 v10, 16, v126
	v_cvt_f32_f16_e32 v12, v127
	v_mov_b32_e32 v9, 0
	v_lshrrev_b32_e32 v3, 16, v127
	v_cvt_f32_f16_e32 v18, v126
	v_cvt_f32_f16_e32 v19, v10
	v_mul_f32_e32 v10, v1, v12
	v_lshlrev_b64_e32 v[8:9], 2, v[8:9]
	v_cvt_f32_f16_e32 v3, v3
	s_delay_alu instid0(VALU_DEP_1) | instskip(NEXT) | instid1(VALU_DEP_3)
	v_mul_f32_e32 v11, v1, v3
	v_add_co_u32 v16, vcc_lo, s28, v8
	s_wait_alu 0xfffd
	s_delay_alu instid0(VALU_DEP_4)
	v_add_co_ci_u32_e64 v17, null, s29, v9, vcc_lo
	v_mul_f32_e32 v9, v1, v19
	v_mul_f32_e32 v8, v1, v18
	global_store_b128 v[16:17], v[8:11], off
	s_wait_alu 0xfffe
	s_or_b32 exec_lo, exec_lo, s3
	s_and_saveexec_b32 s3, s1
	s_cbranch_execnz .LBB0_55
	s_branch .LBB0_56
.LBB0_75:
	v_div_scale_f32 v0, null, v13, v13, 1.0
	s_delay_alu instid0(VALU_DEP_1) | instskip(NEXT) | instid1(TRANS32_DEP_1)
	v_rcp_f32_e32 v1, v0
	v_fma_f32 v3, -v0, v1, 1.0
	s_delay_alu instid0(VALU_DEP_1) | instskip(SKIP_1) | instid1(VALU_DEP_1)
	v_fmac_f32_e32 v1, v3, v1
	v_div_scale_f32 v3, vcc_lo, 1.0, v13, 1.0
	v_mul_f32_e32 v4, v3, v1
	s_delay_alu instid0(VALU_DEP_1) | instskip(NEXT) | instid1(VALU_DEP_1)
	v_fma_f32 v8, -v0, v4, v3
	v_fmac_f32_e32 v4, v8, v1
	s_delay_alu instid0(VALU_DEP_1) | instskip(SKIP_1) | instid1(VALU_DEP_1)
	v_fma_f32 v0, -v0, v4, v3
	s_wait_alu 0xfffd
	v_div_fmas_f32 v0, v0, v1, v4
	s_delay_alu instid0(VALU_DEP_1) | instskip(SKIP_1) | instid1(VALU_DEP_1)
	v_div_fixup_f32 v1, v0, v13, 1.0
	v_add_nc_u32_e32 v2, s0, v2
	v_add_nc_u32_e32 v0, s33, v2
	s_and_saveexec_b32 s3, s2
	s_cbranch_execz .LBB0_58
.LBB0_76:
	v_lshrrev_b32_e32 v8, 16, v124
	s_delay_alu instid0(VALU_DEP_2) | instskip(SKIP_2) | instid1(VALU_DEP_4)
	v_mad_co_u64_u32 v[3:4], null, 0x60, v0, v[104:105]
	v_lshrrev_b32_e32 v9, 16, v123
	v_cvt_f32_f16_e32 v10, v124
	v_cvt_f32_f16_e32 v8, v8
	v_mov_b32_e32 v4, 0
	v_cvt_f32_f16_e32 v12, v123
	v_cvt_f32_f16_e32 v9, v9
	v_mul_f32_e32 v10, v1, v10
	v_mul_f32_e32 v11, v1, v8
	v_lshlrev_b64_e32 v[3:4], 2, v[3:4]
	v_mul_f32_e32 v8, v1, v12
	v_mul_f32_e32 v9, v1, v9
	s_delay_alu instid0(VALU_DEP_3) | instskip(SKIP_1) | instid1(VALU_DEP_4)
	v_add_co_u32 v3, vcc_lo, s28, v3
	s_wait_alu 0xfffd
	v_add_co_ci_u32_e64 v4, null, s29, v4, vcc_lo
	global_store_b128 v[3:4], v[8:11], off
	s_wait_alu 0xfffe
	s_or_b32 exec_lo, exec_lo, s3
	s_and_saveexec_b32 s3, s1
	s_cbranch_execnz .LBB0_59
	s_branch .LBB0_60
.LBB0_77:
	v_div_scale_f32 v0, null, v14, v14, 1.0
	s_delay_alu instid0(VALU_DEP_1) | instskip(NEXT) | instid1(TRANS32_DEP_1)
	v_rcp_f32_e32 v1, v0
	v_fma_f32 v3, -v0, v1, 1.0
	s_delay_alu instid0(VALU_DEP_1) | instskip(SKIP_1) | instid1(VALU_DEP_1)
	v_fmac_f32_e32 v1, v3, v1
	v_div_scale_f32 v3, vcc_lo, 1.0, v14, 1.0
	v_mul_f32_e32 v4, v3, v1
	s_delay_alu instid0(VALU_DEP_1) | instskip(NEXT) | instid1(VALU_DEP_1)
	v_fma_f32 v5, -v0, v4, v3
	v_fmac_f32_e32 v4, v5, v1
	s_delay_alu instid0(VALU_DEP_1) | instskip(SKIP_1) | instid1(VALU_DEP_1)
	v_fma_f32 v0, -v0, v4, v3
	s_wait_alu 0xfffd
	v_div_fmas_f32 v0, v0, v1, v4
	s_delay_alu instid0(VALU_DEP_1) | instskip(SKIP_1) | instid1(VALU_DEP_1)
	v_div_fixup_f32 v1, v0, v14, 1.0
	v_add_nc_u32_e32 v2, s0, v2
	v_add_nc_u32_e32 v0, s33, v2
	s_and_saveexec_b32 s3, s2
	s_cbranch_execz .LBB0_62
.LBB0_78:
	v_lshrrev_b32_e32 v5, 16, v122
	s_delay_alu instid0(VALU_DEP_2) | instskip(SKIP_2) | instid1(VALU_DEP_4)
	v_mad_co_u64_u32 v[3:4], null, 0x60, v0, v[104:105]
	v_lshrrev_b32_e32 v8, 16, v121
	v_cvt_f32_f16_e32 v9, v122
	v_cvt_f32_f16_e32 v5, v5
	v_mov_b32_e32 v4, 0
	v_cvt_f32_f16_e32 v12, v121
	v_cvt_f32_f16_e32 v8, v8
	v_mul_f32_e32 v10, v1, v9
	v_mul_f32_e32 v11, v1, v5
	v_lshlrev_b64_e32 v[3:4], 2, v[3:4]
	s_delay_alu instid0(VALU_DEP_4) | instskip(SKIP_1) | instid1(VALU_DEP_3)
	v_mul_f32_e32 v9, v1, v8
	v_mul_f32_e32 v8, v1, v12
	v_add_co_u32 v3, vcc_lo, s28, v3
	s_wait_alu 0xfffd
	s_delay_alu instid0(VALU_DEP_4)
	v_add_co_ci_u32_e64 v4, null, s29, v4, vcc_lo
	global_store_b128 v[3:4], v[8:11], off
	s_wait_alu 0xfffe
	s_or_b32 exec_lo, exec_lo, s3
	s_and_saveexec_b32 s3, s1
	s_cbranch_execnz .LBB0_63
	s_branch .LBB0_64
.LBB0_79:
	v_div_scale_f32 v0, null, v15, v15, 1.0
	s_delay_alu instid0(VALU_DEP_1) | instskip(NEXT) | instid1(TRANS32_DEP_1)
	v_rcp_f32_e32 v1, v0
	v_fma_f32 v3, -v0, v1, 1.0
	s_delay_alu instid0(VALU_DEP_1) | instskip(SKIP_1) | instid1(VALU_DEP_1)
	v_fmac_f32_e32 v1, v3, v1
	v_div_scale_f32 v3, vcc_lo, 1.0, v15, 1.0
	v_mul_f32_e32 v4, v3, v1
	s_delay_alu instid0(VALU_DEP_1) | instskip(NEXT) | instid1(VALU_DEP_1)
	v_fma_f32 v5, -v0, v4, v3
	v_fmac_f32_e32 v4, v5, v1
	s_delay_alu instid0(VALU_DEP_1) | instskip(SKIP_1) | instid1(VALU_DEP_1)
	v_fma_f32 v0, -v0, v4, v3
	s_wait_alu 0xfffd
	v_div_fmas_f32 v0, v0, v1, v4
	s_delay_alu instid0(VALU_DEP_1)
	v_div_fixup_f32 v1, v0, v15, 1.0
	v_add3_u32 v0, s33, s0, v2
	s_and_saveexec_b32 s0, s2
	s_cbranch_execz .LBB0_66
.LBB0_80:
	v_lshrrev_b32_e32 v4, 16, v117
	s_delay_alu instid0(VALU_DEP_2) | instskip(SKIP_2) | instid1(VALU_DEP_4)
	v_mad_co_u64_u32 v[2:3], null, 0x60, v0, v[104:105]
	v_lshrrev_b32_e32 v5, 16, v118
	v_cvt_f32_f16_e32 v8, v117
	v_cvt_f32_f16_e32 v4, v4
	v_mov_b32_e32 v3, 0
	v_cvt_f32_f16_e32 v9, v118
	v_cvt_f32_f16_e32 v10, v5
	s_delay_alu instid0(VALU_DEP_4) | instskip(NEXT) | instid1(VALU_DEP_4)
	v_mul_f32_e32 v4, v1, v4
	v_lshlrev_b64_e32 v[2:3], 2, v[2:3]
	s_delay_alu instid0(VALU_DEP_1) | instskip(SKIP_1) | instid1(VALU_DEP_2)
	v_add_co_u32 v5, vcc_lo, s28, v2
	s_wait_alu 0xfffd
	v_add_co_ci_u32_e64 v6, null, s29, v3, vcc_lo
	v_mul_f32_e32 v3, v1, v8
	v_mul_f32_e32 v2, v1, v10
	;; [unrolled: 1-line block ×3, first 2 shown]
	global_store_b128 v[5:6], v[1:4], off
	s_wait_alu 0xfffe
	s_or_b32 exec_lo, exec_lo, s0
	s_delay_alu instid0(SALU_CYCLE_1)
	s_and_b32 exec_lo, exec_lo, s1
	s_cbranch_execz .LBB0_32
.LBB0_81:
	v_ashrrev_i32_e32 v1, 31, v0
	v_mov_b32_e32 v22, v7
	s_delay_alu instid0(VALU_DEP_2) | instskip(NEXT) | instid1(VALU_DEP_1)
	v_lshlrev_b64_e32 v[0:1], 3, v[0:1]
	v_add_co_u32 v0, vcc_lo, s30, v0
	s_wait_alu 0xfffd
	s_delay_alu instid0(VALU_DEP_2)
	v_add_co_ci_u32_e64 v1, null, s31, v1, vcc_lo
	global_store_b64 v[0:1], v[22:23], off
	s_nop 0
	s_sendmsg sendmsg(MSG_DEALLOC_VGPRS)
	s_endpgm
	.section	.rodata,"a",@progbits
	.p2align	6, 0x0
	.amdhsa_kernel _ZL15flash_attn_tileILi96ELi96ELi8ELi8ELb0EEvPKcS1_S1_S1_S1_PKiPfP15HIP_vector_typeIfLj2EEffffjfiS5_IjLj3EEiiiiiiiiiiiliiliiiiil
		.amdhsa_group_segment_fixed_size 20096
		.amdhsa_private_segment_fixed_size 0
		.amdhsa_kernarg_size 464
		.amdhsa_user_sgpr_count 2
		.amdhsa_user_sgpr_dispatch_ptr 0
		.amdhsa_user_sgpr_queue_ptr 0
		.amdhsa_user_sgpr_kernarg_segment_ptr 1
		.amdhsa_user_sgpr_dispatch_id 0
		.amdhsa_user_sgpr_private_segment_size 0
		.amdhsa_wavefront_size32 1
		.amdhsa_uses_dynamic_stack 0
		.amdhsa_enable_private_segment 0
		.amdhsa_system_sgpr_workgroup_id_x 1
		.amdhsa_system_sgpr_workgroup_id_y 1
		.amdhsa_system_sgpr_workgroup_id_z 1
		.amdhsa_system_sgpr_workgroup_info 0
		.amdhsa_system_vgpr_workitem_id 1
		.amdhsa_next_free_vgpr 249
		.amdhsa_next_free_sgpr 56
		.amdhsa_reserve_vcc 1
		.amdhsa_float_round_mode_32 0
		.amdhsa_float_round_mode_16_64 0
		.amdhsa_float_denorm_mode_32 3
		.amdhsa_float_denorm_mode_16_64 3
		.amdhsa_fp16_overflow 0
		.amdhsa_workgroup_processor_mode 1
		.amdhsa_memory_ordered 1
		.amdhsa_forward_progress 1
		.amdhsa_inst_pref_size 176
		.amdhsa_round_robin_scheduling 0
		.amdhsa_exception_fp_ieee_invalid_op 0
		.amdhsa_exception_fp_denorm_src 0
		.amdhsa_exception_fp_ieee_div_zero 0
		.amdhsa_exception_fp_ieee_overflow 0
		.amdhsa_exception_fp_ieee_underflow 0
		.amdhsa_exception_fp_ieee_inexact 0
		.amdhsa_exception_int_div_zero 0
	.end_amdhsa_kernel
	.section	.text._ZL15flash_attn_tileILi96ELi96ELi8ELi8ELb0EEvPKcS1_S1_S1_S1_PKiPfP15HIP_vector_typeIfLj2EEffffjfiS5_IjLj3EEiiiiiiiiiiiliiliiiiil,"axG",@progbits,_ZL15flash_attn_tileILi96ELi96ELi8ELi8ELb0EEvPKcS1_S1_S1_S1_PKiPfP15HIP_vector_typeIfLj2EEffffjfiS5_IjLj3EEiiiiiiiiiiiliiliiiiil,comdat
.Lfunc_end0:
	.size	_ZL15flash_attn_tileILi96ELi96ELi8ELi8ELb0EEvPKcS1_S1_S1_S1_PKiPfP15HIP_vector_typeIfLj2EEffffjfiS5_IjLj3EEiiiiiiiiiiiliiliiiiil, .Lfunc_end0-_ZL15flash_attn_tileILi96ELi96ELi8ELi8ELb0EEvPKcS1_S1_S1_S1_PKiPfP15HIP_vector_typeIfLj2EEffffjfiS5_IjLj3EEiiiiiiiiiiiliiliiiiil
                                        ; -- End function
	.set _ZL15flash_attn_tileILi96ELi96ELi8ELi8ELb0EEvPKcS1_S1_S1_S1_PKiPfP15HIP_vector_typeIfLj2EEffffjfiS5_IjLj3EEiiiiiiiiiiiliiliiiiil.num_vgpr, 249
	.set _ZL15flash_attn_tileILi96ELi96ELi8ELi8ELb0EEvPKcS1_S1_S1_S1_PKiPfP15HIP_vector_typeIfLj2EEffffjfiS5_IjLj3EEiiiiiiiiiiiliiliiiiil.num_agpr, 0
	.set _ZL15flash_attn_tileILi96ELi96ELi8ELi8ELb0EEvPKcS1_S1_S1_S1_PKiPfP15HIP_vector_typeIfLj2EEffffjfiS5_IjLj3EEiiiiiiiiiiiliiliiiiil.numbered_sgpr, 56
	.set _ZL15flash_attn_tileILi96ELi96ELi8ELi8ELb0EEvPKcS1_S1_S1_S1_PKiPfP15HIP_vector_typeIfLj2EEffffjfiS5_IjLj3EEiiiiiiiiiiiliiliiiiil.num_named_barrier, 0
	.set _ZL15flash_attn_tileILi96ELi96ELi8ELi8ELb0EEvPKcS1_S1_S1_S1_PKiPfP15HIP_vector_typeIfLj2EEffffjfiS5_IjLj3EEiiiiiiiiiiiliiliiiiil.private_seg_size, 0
	.set _ZL15flash_attn_tileILi96ELi96ELi8ELi8ELb0EEvPKcS1_S1_S1_S1_PKiPfP15HIP_vector_typeIfLj2EEffffjfiS5_IjLj3EEiiiiiiiiiiiliiliiiiil.uses_vcc, 1
	.set _ZL15flash_attn_tileILi96ELi96ELi8ELi8ELb0EEvPKcS1_S1_S1_S1_PKiPfP15HIP_vector_typeIfLj2EEffffjfiS5_IjLj3EEiiiiiiiiiiiliiliiiiil.uses_flat_scratch, 0
	.set _ZL15flash_attn_tileILi96ELi96ELi8ELi8ELb0EEvPKcS1_S1_S1_S1_PKiPfP15HIP_vector_typeIfLj2EEffffjfiS5_IjLj3EEiiiiiiiiiiiliiliiiiil.has_dyn_sized_stack, 0
	.set _ZL15flash_attn_tileILi96ELi96ELi8ELi8ELb0EEvPKcS1_S1_S1_S1_PKiPfP15HIP_vector_typeIfLj2EEffffjfiS5_IjLj3EEiiiiiiiiiiiliiliiiiil.has_recursion, 0
	.set _ZL15flash_attn_tileILi96ELi96ELi8ELi8ELb0EEvPKcS1_S1_S1_S1_PKiPfP15HIP_vector_typeIfLj2EEffffjfiS5_IjLj3EEiiiiiiiiiiiliiliiiiil.has_indirect_call, 0
	.section	.AMDGPU.csdata,"",@progbits
; Kernel info:
; codeLenInByte = 22468
; TotalNumSgprs: 58
; NumVgprs: 249
; ScratchSize: 0
; MemoryBound: 0
; FloatMode: 240
; IeeeMode: 1
; LDSByteSize: 20096 bytes/workgroup (compile time only)
; SGPRBlocks: 0
; VGPRBlocks: 31
; NumSGPRsForWavesPerEU: 58
; NumVGPRsForWavesPerEU: 249
; Occupancy: 5
; WaveLimiterHint : 1
; COMPUTE_PGM_RSRC2:SCRATCH_EN: 0
; COMPUTE_PGM_RSRC2:USER_SGPR: 2
; COMPUTE_PGM_RSRC2:TRAP_HANDLER: 0
; COMPUTE_PGM_RSRC2:TGID_X_EN: 1
; COMPUTE_PGM_RSRC2:TGID_Y_EN: 1
; COMPUTE_PGM_RSRC2:TGID_Z_EN: 1
; COMPUTE_PGM_RSRC2:TIDIG_COMP_CNT: 1
	.section	.text._ZL25flash_attn_mask_to_KV_maxILi8EEvPK7__half2Piiii,"axG",@progbits,_ZL25flash_attn_mask_to_KV_maxILi8EEvPK7__half2Piiii,comdat
	.globl	_ZL25flash_attn_mask_to_KV_maxILi8EEvPK7__half2Piiii ; -- Begin function _ZL25flash_attn_mask_to_KV_maxILi8EEvPK7__half2Piiii
	.p2align	8
	.type	_ZL25flash_attn_mask_to_KV_maxILi8EEvPK7__half2Piiii,@function
_ZL25flash_attn_mask_to_KV_maxILi8EEvPK7__half2Piiii: ; @_ZL25flash_attn_mask_to_KV_maxILi8EEvPK7__half2Piiii
; %bb.0:
	s_load_b64 s[8:9], s[0:1], 0x0
	s_mov_b32 s2, exec_lo
	v_cmpx_gt_u32_e32 32, v0
; %bb.1:
	v_dual_mov_b32 v2, 1 :: v_dual_lshlrev_b32 v1, 2, v0
	ds_store_b32 v1, v2
; %bb.2:
	s_or_b32 exec_lo, exec_lo, s2
	s_clause 0x2
	s_load_b96 s[4:6], s[0:1], 0x10
	s_load_b64 s[2:3], s[0:1], 0x8
	s_load_b32 s1, s[0:1], 0x20
	v_dual_mov_b32 v2, 0 :: v_dual_and_b32 v1, 31, v0
	v_lshrrev_b32_e32 v5, 3, v0
	s_wait_dscnt 0x0
	s_barrier_signal -1
	s_delay_alu instid0(VALU_DEP_2)
	v_lshlrev_b32_e32 v6, 2, v1
	s_barrier_wait -1
	global_inv scope:SCOPE_SE
	s_wait_kmcnt 0x0
	s_mul_i32 s0, ttmp9, s5
	s_mul_i32 s6, s6, ttmp7
	s_lshl_b32 s0, s0, 3
	s_delay_alu instid0(SALU_CYCLE_1) | instskip(SKIP_2) | instid1(SALU_CYCLE_1)
	s_add_co_i32 s6, s6, s0
	v_cmp_eq_u32_e64 s0, 0, v1
	s_ashr_i32 s7, s6, 31
	s_lshl_b64 s[6:7], s[6:7], 2
	s_delay_alu instid0(SALU_CYCLE_1)
	s_add_nc_u64 s[6:7], s[8:9], s[6:7]
	s_lshl_b32 s8, s4, 8
	s_branch .LBB1_4
.LBB1_3:                                ;   in Loop: Header=BB1_4 Depth=1
	s_wait_alu 0xfffe
	s_or_b32 exec_lo, exec_lo, s9
	s_wait_dscnt 0x0
	s_barrier_signal -1
	s_barrier_wait -1
	global_inv scope:SCOPE_SE
	ds_load_b32 v1, v6
	s_wait_loadcnt_dscnt 0x0
	s_barrier_signal -1
	s_barrier_wait -1
	global_inv scope:SCOPE_SE
	v_cmp_ne_u32_e32 vcc_lo, 0, v1
	s_cmp_lg_u32 vcc_lo, exec_lo
	s_cselect_b32 s9, -1, 0
	s_wait_alu 0xfffe
	s_and_b32 vcc_lo, exec_lo, s9
	s_wait_alu 0xfffe
	s_cbranch_vccnz .LBB1_36
.LBB1_4:                                ; =>This Inner Loop Header: Depth=1
	s_mov_b32 s4, s8
	s_addk_co_i32 s8, 0xff00
	s_wait_alu 0xfffe
	s_cmp_lt_i32 s8, 0
	s_cbranch_scc1 .LBB1_35
; %bb.5:                                ;   in Loop: Header=BB1_4 Depth=1
	s_lshr_b32 s9, s8, 1
	s_wait_alu 0xfffe
	v_add_nc_u32_e32 v1, s9, v0
	s_delay_alu instid0(VALU_DEP_1) | instskip(NEXT) | instid1(VALU_DEP_1)
	v_lshlrev_b64_e32 v[3:4], 2, v[1:2]
	v_add_co_u32 v3, vcc_lo, s6, v3
	s_wait_alu 0xfffd
	s_delay_alu instid0(VALU_DEP_2) | instskip(SKIP_4) | instid1(VALU_DEP_2)
	v_add_co_ci_u32_e64 v4, null, s7, v4, vcc_lo
	global_load_b32 v3, v[3:4], off
	s_wait_loadcnt 0x0
	v_lshrrev_b32_e32 v4, 16, v3
	v_cmp_class_f16_e64 s9, v3, 0x204
	v_cmp_class_f16_e64 s10, v4, 0x204
	s_and_b32 s11, s9, s10
	s_mov_b32 s10, 0
	s_wait_alu 0xfffe
	s_and_saveexec_b32 s9, s11
	s_cbranch_execz .LBB1_33
; %bb.6:                                ;   in Loop: Header=BB1_4 Depth=1
	v_add_nc_u32_e32 v3, s5, v1
	s_mov_b32 s11, 0
	s_delay_alu instid0(VALU_DEP_1) | instskip(NEXT) | instid1(VALU_DEP_1)
	v_ashrrev_i32_e32 v4, 31, v3
	v_lshlrev_b64_e32 v[7:8], 2, v[3:4]
	s_delay_alu instid0(VALU_DEP_1) | instskip(SKIP_1) | instid1(VALU_DEP_2)
	v_add_co_u32 v7, vcc_lo, s6, v7
	s_wait_alu 0xfffd
	v_add_co_ci_u32_e64 v8, null, s7, v8, vcc_lo
	global_load_b32 v1, v[7:8], off
	s_wait_loadcnt 0x0
	v_cmp_class_f16_e64 s12, v1, 0x204
	s_and_saveexec_b32 s10, s12
	s_cbranch_execz .LBB1_32
; %bb.7:                                ;   in Loop: Header=BB1_4 Depth=1
	v_lshrrev_b32_e32 v1, 16, v1
	s_mov_b32 s12, 0
	s_delay_alu instid0(VALU_DEP_1)
	v_cmp_class_f16_e64 s13, v1, 0x204
	s_and_saveexec_b32 s11, s13
	s_cbranch_execz .LBB1_31
; %bb.8:                                ;   in Loop: Header=BB1_4 Depth=1
	v_add_nc_u32_e32 v3, s5, v3
	s_mov_b32 s13, 0
	s_delay_alu instid0(VALU_DEP_1) | instskip(NEXT) | instid1(VALU_DEP_1)
	v_ashrrev_i32_e32 v4, 31, v3
	v_lshlrev_b64_e32 v[7:8], 2, v[3:4]
	s_delay_alu instid0(VALU_DEP_1) | instskip(SKIP_1) | instid1(VALU_DEP_2)
	v_add_co_u32 v7, vcc_lo, s6, v7
	s_wait_alu 0xfffd
	v_add_co_ci_u32_e64 v8, null, s7, v8, vcc_lo
	global_load_b32 v1, v[7:8], off
	s_wait_loadcnt 0x0
	v_cmp_class_f16_e64 s14, v1, 0x204
	s_and_saveexec_b32 s12, s14
	s_cbranch_execz .LBB1_30
; %bb.9:                                ;   in Loop: Header=BB1_4 Depth=1
	v_lshrrev_b32_e32 v1, 16, v1
	s_mov_b32 s14, 0
	s_delay_alu instid0(VALU_DEP_1)
	v_cmp_class_f16_e64 s15, v1, 0x204
	s_and_saveexec_b32 s13, s15
	s_cbranch_execz .LBB1_29
; %bb.10:                               ;   in Loop: Header=BB1_4 Depth=1
	v_add_nc_u32_e32 v3, s5, v3
	s_mov_b32 s15, 0
	s_delay_alu instid0(VALU_DEP_1) | instskip(NEXT) | instid1(VALU_DEP_1)
	v_ashrrev_i32_e32 v4, 31, v3
	v_lshlrev_b64_e32 v[7:8], 2, v[3:4]
	s_delay_alu instid0(VALU_DEP_1) | instskip(SKIP_1) | instid1(VALU_DEP_2)
	v_add_co_u32 v7, vcc_lo, s6, v7
	s_wait_alu 0xfffd
	v_add_co_ci_u32_e64 v8, null, s7, v8, vcc_lo
	global_load_b32 v1, v[7:8], off
	s_wait_loadcnt 0x0
	v_cmp_class_f16_e64 s16, v1, 0x204
	s_and_saveexec_b32 s14, s16
	s_cbranch_execz .LBB1_28
; %bb.11:                               ;   in Loop: Header=BB1_4 Depth=1
	v_lshrrev_b32_e32 v1, 16, v1
	s_mov_b32 s16, 0
	s_delay_alu instid0(VALU_DEP_1)
	v_cmp_class_f16_e64 s17, v1, 0x204
	s_and_saveexec_b32 s15, s17
	s_cbranch_execz .LBB1_27
; %bb.12:                               ;   in Loop: Header=BB1_4 Depth=1
	v_add_nc_u32_e32 v3, s5, v3
	s_mov_b32 s17, 0
	s_delay_alu instid0(VALU_DEP_1) | instskip(NEXT) | instid1(VALU_DEP_1)
	v_ashrrev_i32_e32 v4, 31, v3
	v_lshlrev_b64_e32 v[7:8], 2, v[3:4]
	s_delay_alu instid0(VALU_DEP_1) | instskip(SKIP_1) | instid1(VALU_DEP_2)
	v_add_co_u32 v7, vcc_lo, s6, v7
	s_wait_alu 0xfffd
	v_add_co_ci_u32_e64 v8, null, s7, v8, vcc_lo
	global_load_b32 v1, v[7:8], off
	s_wait_loadcnt 0x0
	v_cmp_class_f16_e64 s18, v1, 0x204
	s_and_saveexec_b32 s16, s18
	s_cbranch_execz .LBB1_26
; %bb.13:                               ;   in Loop: Header=BB1_4 Depth=1
	;; [unrolled: 22-line block ×4, first 2 shown]
	v_lshrrev_b32_e32 v1, 16, v1
	s_mov_b32 s22, 0
	s_delay_alu instid0(VALU_DEP_1)
	v_cmp_class_f16_e64 s23, v1, 0x204
	s_and_saveexec_b32 s21, s23
	s_cbranch_execz .LBB1_21
; %bb.18:                               ;   in Loop: Header=BB1_4 Depth=1
	v_add_nc_u32_e32 v3, s5, v3
	s_delay_alu instid0(VALU_DEP_1) | instskip(NEXT) | instid1(VALU_DEP_1)
	v_ashrrev_i32_e32 v4, 31, v3
	v_lshlrev_b64_e32 v[3:4], 2, v[3:4]
	s_delay_alu instid0(VALU_DEP_1) | instskip(SKIP_1) | instid1(VALU_DEP_2)
	v_add_co_u32 v3, vcc_lo, s6, v3
	s_wait_alu 0xfffd
	v_add_co_ci_u32_e64 v4, null, s7, v4, vcc_lo
	global_load_b32 v1, v[3:4], off
	s_wait_loadcnt 0x0
	v_cmp_class_f16_e64 s24, v1, 0x204
	s_and_saveexec_b32 s23, s24
; %bb.19:                               ;   in Loop: Header=BB1_4 Depth=1
	v_lshrrev_b32_e32 v1, 16, v1
	s_delay_alu instid0(VALU_DEP_1)
	v_cmp_class_f16_e64 s22, v1, 0x204
	s_and_b32 s22, s22, exec_lo
; %bb.20:                               ;   in Loop: Header=BB1_4 Depth=1
	s_or_b32 exec_lo, exec_lo, s23
	s_delay_alu instid0(SALU_CYCLE_1)
	s_and_b32 s22, s22, exec_lo
.LBB1_21:                               ;   in Loop: Header=BB1_4 Depth=1
	s_or_b32 exec_lo, exec_lo, s21
	s_delay_alu instid0(SALU_CYCLE_1)
	s_and_b32 s21, s22, exec_lo
.LBB1_22:                               ;   in Loop: Header=BB1_4 Depth=1
	s_or_b32 exec_lo, exec_lo, s20
	s_delay_alu instid0(SALU_CYCLE_1)
	s_and_b32 s20, s21, exec_lo
.LBB1_23:                               ;   in Loop: Header=BB1_4 Depth=1
	s_or_b32 exec_lo, exec_lo, s19
	s_delay_alu instid0(SALU_CYCLE_1)
	s_and_b32 s19, s20, exec_lo
.LBB1_24:                               ;   in Loop: Header=BB1_4 Depth=1
	s_or_b32 exec_lo, exec_lo, s18
	s_delay_alu instid0(SALU_CYCLE_1)
	s_and_b32 s18, s19, exec_lo
.LBB1_25:                               ;   in Loop: Header=BB1_4 Depth=1
	s_or_b32 exec_lo, exec_lo, s17
	s_delay_alu instid0(SALU_CYCLE_1)
	s_and_b32 s17, s18, exec_lo
.LBB1_26:                               ;   in Loop: Header=BB1_4 Depth=1
	s_or_b32 exec_lo, exec_lo, s16
	s_delay_alu instid0(SALU_CYCLE_1)
	s_and_b32 s16, s17, exec_lo
.LBB1_27:                               ;   in Loop: Header=BB1_4 Depth=1
	s_or_b32 exec_lo, exec_lo, s15
	s_delay_alu instid0(SALU_CYCLE_1)
	s_and_b32 s15, s16, exec_lo
.LBB1_28:                               ;   in Loop: Header=BB1_4 Depth=1
	s_or_b32 exec_lo, exec_lo, s14
	s_delay_alu instid0(SALU_CYCLE_1)
	s_and_b32 s14, s15, exec_lo
.LBB1_29:                               ;   in Loop: Header=BB1_4 Depth=1
	s_or_b32 exec_lo, exec_lo, s13
	s_delay_alu instid0(SALU_CYCLE_1)
	s_and_b32 s13, s14, exec_lo
.LBB1_30:                               ;   in Loop: Header=BB1_4 Depth=1
	s_or_b32 exec_lo, exec_lo, s12
	s_delay_alu instid0(SALU_CYCLE_1)
	s_and_b32 s12, s13, exec_lo
.LBB1_31:                               ;   in Loop: Header=BB1_4 Depth=1
	s_wait_alu 0xfffe
	s_or_b32 exec_lo, exec_lo, s11
	s_delay_alu instid0(SALU_CYCLE_1)
	s_and_b32 s11, s12, exec_lo
.LBB1_32:                               ;   in Loop: Header=BB1_4 Depth=1
	s_wait_alu 0xfffe
	s_or_b32 exec_lo, exec_lo, s10
	s_delay_alu instid0(SALU_CYCLE_1)
	s_and_b32 s10, s11, exec_lo
.LBB1_33:                               ;   in Loop: Header=BB1_4 Depth=1
	s_wait_alu 0xfffe
	s_or_b32 exec_lo, exec_lo, s9
	v_cndmask_b32_e64 v1, 0, 1, s10
	s_mov_b32 s11, exec_lo
	s_delay_alu instid0(VALU_DEP_1)
	v_cmp_ne_u32_e32 vcc_lo, 0, v1
	s_and_saveexec_b32 s9, s0
	s_cbranch_execz .LBB1_3
; %bb.34:                               ;   in Loop: Header=BB1_4 Depth=1
	s_wait_alu 0xfffe
	s_cmp_eq_u32 vcc_lo, s11
	s_cselect_b32 s10, -1, 0
	s_wait_alu 0xfffe
	v_cndmask_b32_e64 v1, 0, 1, s10
	ds_store_b32 v5, v1
	s_branch .LBB1_3
.LBB1_35:                               ;   in Loop: Header=BB1_4 Depth=1
	s_cbranch_execz .LBB1_4
.LBB1_36:
	s_mov_b32 s0, exec_lo
	v_cmpx_eq_u32_e32 0, v0
	s_cbranch_execz .LBB1_38
; %bb.37:
	s_mul_i32 s0, s1, ttmp7
	v_dual_mov_b32 v0, 0 :: v_dual_mov_b32 v1, s4
	s_add_co_i32 s0, s0, ttmp9
	s_delay_alu instid0(SALU_CYCLE_1) | instskip(NEXT) | instid1(SALU_CYCLE_1)
	s_ashr_i32 s1, s0, 31
	s_lshl_b64 s[0:1], s[0:1], 2
	s_delay_alu instid0(SALU_CYCLE_1)
	s_add_nc_u64 s[0:1], s[2:3], s[0:1]
	global_store_b32 v0, v1, s[0:1]
.LBB1_38:
	s_endpgm
	.section	.rodata,"a",@progbits
	.p2align	6, 0x0
	.amdhsa_kernel _ZL25flash_attn_mask_to_KV_maxILi8EEvPK7__half2Piiii
		.amdhsa_group_segment_fixed_size 128
		.amdhsa_private_segment_fixed_size 0
		.amdhsa_kernarg_size 288
		.amdhsa_user_sgpr_count 2
		.amdhsa_user_sgpr_dispatch_ptr 0
		.amdhsa_user_sgpr_queue_ptr 0
		.amdhsa_user_sgpr_kernarg_segment_ptr 1
		.amdhsa_user_sgpr_dispatch_id 0
		.amdhsa_user_sgpr_private_segment_size 0
		.amdhsa_wavefront_size32 1
		.amdhsa_uses_dynamic_stack 0
		.amdhsa_enable_private_segment 0
		.amdhsa_system_sgpr_workgroup_id_x 1
		.amdhsa_system_sgpr_workgroup_id_y 1
		.amdhsa_system_sgpr_workgroup_id_z 0
		.amdhsa_system_sgpr_workgroup_info 0
		.amdhsa_system_vgpr_workitem_id 0
		.amdhsa_next_free_vgpr 9
		.amdhsa_next_free_sgpr 25
		.amdhsa_reserve_vcc 1
		.amdhsa_float_round_mode_32 0
		.amdhsa_float_round_mode_16_64 0
		.amdhsa_float_denorm_mode_32 3
		.amdhsa_float_denorm_mode_16_64 3
		.amdhsa_fp16_overflow 0
		.amdhsa_workgroup_processor_mode 1
		.amdhsa_memory_ordered 1
		.amdhsa_forward_progress 1
		.amdhsa_inst_pref_size 12
		.amdhsa_round_robin_scheduling 0
		.amdhsa_exception_fp_ieee_invalid_op 0
		.amdhsa_exception_fp_denorm_src 0
		.amdhsa_exception_fp_ieee_div_zero 0
		.amdhsa_exception_fp_ieee_overflow 0
		.amdhsa_exception_fp_ieee_underflow 0
		.amdhsa_exception_fp_ieee_inexact 0
		.amdhsa_exception_int_div_zero 0
	.end_amdhsa_kernel
	.section	.text._ZL25flash_attn_mask_to_KV_maxILi8EEvPK7__half2Piiii,"axG",@progbits,_ZL25flash_attn_mask_to_KV_maxILi8EEvPK7__half2Piiii,comdat
.Lfunc_end1:
	.size	_ZL25flash_attn_mask_to_KV_maxILi8EEvPK7__half2Piiii, .Lfunc_end1-_ZL25flash_attn_mask_to_KV_maxILi8EEvPK7__half2Piiii
                                        ; -- End function
	.set _ZL25flash_attn_mask_to_KV_maxILi8EEvPK7__half2Piiii.num_vgpr, 9
	.set _ZL25flash_attn_mask_to_KV_maxILi8EEvPK7__half2Piiii.num_agpr, 0
	.set _ZL25flash_attn_mask_to_KV_maxILi8EEvPK7__half2Piiii.numbered_sgpr, 25
	.set _ZL25flash_attn_mask_to_KV_maxILi8EEvPK7__half2Piiii.num_named_barrier, 0
	.set _ZL25flash_attn_mask_to_KV_maxILi8EEvPK7__half2Piiii.private_seg_size, 0
	.set _ZL25flash_attn_mask_to_KV_maxILi8EEvPK7__half2Piiii.uses_vcc, 1
	.set _ZL25flash_attn_mask_to_KV_maxILi8EEvPK7__half2Piiii.uses_flat_scratch, 0
	.set _ZL25flash_attn_mask_to_KV_maxILi8EEvPK7__half2Piiii.has_dyn_sized_stack, 0
	.set _ZL25flash_attn_mask_to_KV_maxILi8EEvPK7__half2Piiii.has_recursion, 0
	.set _ZL25flash_attn_mask_to_KV_maxILi8EEvPK7__half2Piiii.has_indirect_call, 0
	.section	.AMDGPU.csdata,"",@progbits
; Kernel info:
; codeLenInByte = 1456
; TotalNumSgprs: 27
; NumVgprs: 9
; ScratchSize: 0
; MemoryBound: 0
; FloatMode: 240
; IeeeMode: 1
; LDSByteSize: 128 bytes/workgroup (compile time only)
; SGPRBlocks: 0
; VGPRBlocks: 1
; NumSGPRsForWavesPerEU: 27
; NumVGPRsForWavesPerEU: 9
; Occupancy: 16
; WaveLimiterHint : 0
; COMPUTE_PGM_RSRC2:SCRATCH_EN: 0
; COMPUTE_PGM_RSRC2:USER_SGPR: 2
; COMPUTE_PGM_RSRC2:TRAP_HANDLER: 0
; COMPUTE_PGM_RSRC2:TGID_X_EN: 1
; COMPUTE_PGM_RSRC2:TGID_Y_EN: 1
; COMPUTE_PGM_RSRC2:TGID_Z_EN: 0
; COMPUTE_PGM_RSRC2:TIDIG_COMP_CNT: 0
	.section	.text._ZL33flash_attn_stream_k_fixup_uniformILi96ELi8ELi8EEvPfPK15HIP_vector_typeIfLj2EEiiiiiiS1_IjLj3EES5_S5_,"axG",@progbits,_ZL33flash_attn_stream_k_fixup_uniformILi96ELi8ELi8EEvPfPK15HIP_vector_typeIfLj2EEiiiiiiS1_IjLj3EES5_S5_,comdat
	.globl	_ZL33flash_attn_stream_k_fixup_uniformILi96ELi8ELi8EEvPfPK15HIP_vector_typeIfLj2EEiiiiiiS1_IjLj3EES5_S5_ ; -- Begin function _ZL33flash_attn_stream_k_fixup_uniformILi96ELi8ELi8EEvPfPK15HIP_vector_typeIfLj2EEiiiiiiS1_IjLj3EES5_S5_
	.p2align	8
	.type	_ZL33flash_attn_stream_k_fixup_uniformILi96ELi8ELi8EEvPfPK15HIP_vector_typeIfLj2EEiiiiiiS1_IjLj3EES5_S5_,@function
_ZL33flash_attn_stream_k_fixup_uniformILi96ELi8ELi8EEvPfPK15HIP_vector_typeIfLj2EEiiiiiiS1_IjLj3EES5_S5_: ; @_ZL33flash_attn_stream_k_fixup_uniformILi96ELi8ELi8EEvPfPK15HIP_vector_typeIfLj2EEiiiiiiS1_IjLj3EES5_S5_
; %bb.0:
	s_clause 0x1
	s_load_b256 s[4:11], s[0:1], 0x1c
	s_load_b128 s[12:15], s[0:1], 0x3c
	s_wait_kmcnt 0x0
	s_mul_hi_u32 s2, s7, ttmp9
	s_delay_alu instid0(SALU_CYCLE_1) | instskip(NEXT) | instid1(SALU_CYCLE_1)
	s_add_co_i32 s2, ttmp9, s2
	s_lshr_b32 s2, s2, s8
	s_delay_alu instid0(SALU_CYCLE_1) | instskip(SKIP_2) | instid1(SALU_CYCLE_1)
	s_mul_i32 s3, s2, s9
	s_load_b64 s[8:9], s[0:1], 0x10
	s_sub_co_i32 s3, ttmp9, s3
	s_mul_hi_u32 s7, s3, s10
	s_delay_alu instid0(SALU_CYCLE_1) | instskip(NEXT) | instid1(SALU_CYCLE_1)
	s_add_co_i32 s7, s3, s7
	s_lshr_b32 s7, s7, s11
	s_lshr_b32 s11, ttmp7, 16
	s_mul_i32 s10, s7, s12
	s_delay_alu instid0(SALU_CYCLE_1) | instskip(NEXT) | instid1(SALU_CYCLE_1)
	s_sub_co_i32 s3, s3, s10
	s_mul_hi_u32 s10, s3, s13
	s_delay_alu instid0(SALU_CYCLE_1) | instskip(NEXT) | instid1(SALU_CYCLE_1)
	s_add_co_i32 s10, s3, s10
	s_lshr_b32 s13, s10, s14
	s_delay_alu instid0(SALU_CYCLE_1) | instskip(SKIP_4) | instid1(SALU_CYCLE_1)
	s_mul_i32 s10, s13, s15
	s_lshl_b32 s13, s13, 3
	s_sub_co_i32 s12, s3, s10
	s_and_b32 s10, ttmp7, 0xffff
	s_lshl_b32 s3, s12, 3
	s_add_co_i32 s3, s3, s10
	s_wait_kmcnt 0x0
	s_cmp_lt_i32 s3, s8
	s_cselect_b32 s3, -1, 0
	s_add_co_i32 s13, s13, s11
	s_delay_alu instid0(SALU_CYCLE_1) | instskip(SKIP_1) | instid1(SALU_CYCLE_1)
	s_cmp_lt_i32 s13, s5
	s_cselect_b32 s14, -1, 0
	s_and_b32 s3, s3, s14
	s_delay_alu instid0(SALU_CYCLE_1)
	s_and_not1_b32 vcc_lo, exec_lo, s3
	s_cbranch_vccnz .LBB2_6
; %bb.1:
	s_mul_i32 s8, s2, s8
	s_mul_i32 s7, s7, s5
	s_add_co_i32 s8, s8, s10
	s_add_co_i32 s5, s13, s7
	s_mul_i32 s8, s8, s9
	s_load_b128 s[0:3], s[0:1], 0x0
	s_mul_i32 s7, s9, s12
	s_add_co_i32 s5, s5, s8
	s_mulk_i32 s7, 0x300
	s_mulk_i32 s5, 0x60
	s_mul_i32 s8, s6, ttmp9
	v_add3_u32 v1, s5, s7, v0
	s_lshl_b32 s5, s10, 3
	s_add_co_i32 s9, s8, s6
	s_delay_alu instid0(SALU_CYCLE_1) | instskip(NEXT) | instid1(VALU_DEP_1)
	s_add_co_i32 s7, s9, -2
	v_ashrrev_i32_e32 v2, 31, v1
	s_delay_alu instid0(VALU_DEP_1) | instskip(SKIP_1) | instid1(VALU_DEP_1)
	v_lshlrev_b64_e32 v[1:2], 2, v[1:2]
	s_wait_kmcnt 0x0
	v_add_co_u32 v1, vcc_lo, s0, v1
	s_delay_alu instid0(VALU_DEP_1)
	v_add_co_ci_u32_e64 v2, null, s1, v2, vcc_lo
	s_wait_alu 0xfffe
	s_add_co_i32 s0, s5, s11
	s_lshl_b32 s1, s9, 6
	global_load_b32 v5, v[1:2], off
	s_wait_alu 0xfffe
	s_add_co_i32 s0, s0, s1
	s_wait_alu 0xfffe
	s_sub_co_i32 s0, s0, 64
	s_wait_alu 0xfffe
	s_ashr_i32 s1, s0, 31
	s_wait_alu 0xfffe
	s_lshl_b64 s[0:1], s[0:1], 3
	s_cmp_lt_i32 s7, s8
	s_wait_alu 0xfffe
	s_add_nc_u64 s[0:1], s[2:3], s[0:1]
	s_load_b32 s12, s[0:1], 0x4
	s_cbranch_scc1 .LBB2_4
; %bb.2:
	s_load_b32 s0, s[0:1], 0x0
	s_add_co_i32 s1, ttmp9, 1
	s_mulk_i32 s10, 0x300
	s_wait_alu 0xfffe
	s_mul_i32 s1, s6, s1
	s_lshl_b32 s14, s4, 8
	s_wait_alu 0xfffe
	s_lshl_b32 s13, s1, 6
	s_mulk_i32 s1, 0x1800
	s_add_co_i32 s13, s11, s13
	s_mulk_i32 s11, 0x60
	s_lshl_b32 s4, s4, 6
	s_add_co_i32 s10, s11, s10
	s_ashr_i32 s15, s14, 31
	s_wait_alu 0xfffe
	s_add_co_i32 s10, s10, s1
	s_add_co_i32 s1, s13, s4
	v_add3_u32 v3, s10, v0, 0xffffd000
	s_wait_kmcnt 0x0
	v_mov_b32_e32 v6, s12
	s_lshl_b64 s[6:7], s[14:15], 2
	s_wait_alu 0xfffe
	s_add_co_i32 s4, s1, s5
	s_add_nc_u64 s[6:7], s[2:3], s[6:7]
	s_add_co_i32 s1, s9, -1
	s_wait_alu 0xfffe
	s_addk_co_i32 s4, 0xff80
.LBB2_3:                                ; =>This Inner Loop Header: Depth=1
	v_ashrrev_i32_e32 v4, 31, v3
	s_wait_alu 0xfffe
	s_ashr_i32 s5, s4, 31
	v_mov_b32_e32 v10, v6
	s_wait_alu 0xfffe
	s_lshl_b64 s[10:11], s[4:5], 3
	s_wait_loadcnt 0x0
	v_mov_b32_e32 v9, v5
	v_lshlrev_b64_e32 v[7:8], 2, v[3:4]
	s_wait_alu 0xfffe
	s_add_nc_u64 s[10:11], s[2:3], s[10:11]
	v_max_num_f32_e64 v4, s0, s0
	s_load_b64 s[10:11], s[10:11], 0x0
	v_add_nc_u32_e32 v3, 0xffffe800, v3
	v_add_co_u32 v7, vcc_lo, s6, v7
	s_wait_alu 0xfffd
	v_add_co_ci_u32_e64 v8, null, s7, v8, vcc_lo
	v_readfirstlane_b32 s5, v4
	global_load_b32 v0, v[7:8], off
	s_wait_kmcnt 0x0
	v_max_num_f32_e64 v4, s10, s10
	s_delay_alu instid0(VALU_DEP_1) | instskip(SKIP_2) | instid1(SALU_CYCLE_2)
	v_readfirstlane_b32 s9, v4
	s_max_num_f32 s5, s5, s9
	s_wait_alu 0xfffe
	s_sub_f32 s0, s0, s5
	s_sub_f32 s9, s10, s5
	s_wait_alu 0xfffe
	s_delay_alu instid0(SALU_CYCLE_1) | instskip(NEXT) | instid1(SALU_CYCLE_1)
	s_mul_f32 s10, s0, 0x3fb8aa3b
	s_mul_f32 s12, s9, 0x3fb8aa3b
	s_wait_alu 0xfffe
	s_delay_alu instid0(SALU_CYCLE_1)
	s_xor_b32 s13, s10, 0x80000000
	s_rndne_f32 s14, s10
	s_wait_alu 0xfffe
	s_fmamk_f32 s13, s0, 0x3fb8aa3b, s13
	s_cmp_nlt_f32 s0, 0xc2ce8ed0
	s_rndne_f32 s15, s12
	s_sub_f32 s10, s10, s14
	s_wait_alu 0xfffe
	s_fmamk_f32 s13, s0, 0x32a5705f, s13
	s_cvt_i32_f32 s14, s14
	s_cselect_b32 vcc_lo, -1, 0
	s_cmp_ngt_f32 s0, 0x42b17218
	s_wait_alu 0xfffe
	s_add_f32 s10, s10, s13
	s_sub_f32 s13, s12, s15
	s_wait_alu 0xfffe
	s_delay_alu instid0(SALU_CYCLE_1) | instskip(SKIP_1) | instid1(TRANS32_DEP_1)
	v_s_exp_f32 s10, s10
	s_wait_alu 0xf1ff
	v_ldexp_f32 v4, s10, s14
	s_cvt_i32_f32 s10, s15
	s_delay_alu instid0(VALU_DEP_1) | instskip(SKIP_3) | instid1(VALU_DEP_1)
	v_cndmask_b32_e32 v4, 0, v4, vcc_lo
	s_cselect_b32 vcc_lo, -1, 0
	s_cmp_ge_f32 s0, 0xc1a00000
	s_wait_alu 0xfffe
	v_cndmask_b32_e32 v4, 0x7f800000, v4, vcc_lo
	s_cselect_b32 vcc_lo, -1, 0
	s_xor_b32 s0, s12, 0x80000000
	s_cmp_nlt_f32 s9, 0xc2ce8ed0
	s_wait_alu 0xfffe
	s_fmamk_f32 s0, s9, 0x3fb8aa3b, s0
	s_wait_alu 0xfffe
	s_delay_alu instid0(SALU_CYCLE_2) | instskip(SKIP_1) | instid1(SALU_CYCLE_2)
	s_fmamk_f32 s0, s9, 0x32a5705f, s0
	s_wait_alu 0xfffe
	s_add_f32 s0, s13, s0
	s_wait_alu 0xfffe
	s_delay_alu instid0(SALU_CYCLE_2) | instskip(SKIP_1) | instid1(TRANS32_DEP_1)
	v_s_exp_f32 s0, s0
	s_wait_alu 0xf1ff
	v_ldexp_f32 v7, s0, s10
	s_cselect_b32 s0, -1, 0
	s_cmp_ngt_f32 s9, 0x42b17218
	s_wait_alu 0xfffe
	s_delay_alu instid0(VALU_DEP_1) | instskip(SKIP_3) | instid1(VALU_DEP_1)
	v_cndmask_b32_e64 v7, 0, v7, s0
	s_cselect_b32 s0, -1, 0
	s_cmp_ge_f32 s9, 0xc1a00000
	s_wait_alu 0xfffe
	v_cndmask_b32_e64 v7, 0x7f800000, v7, s0
	s_cselect_b32 s0, -1, 0
	s_add_co_i32 s1, s1, -1
	s_sub_co_i32 s4, s4, 64
	s_wait_alu 0xfffe
	s_cmp_le_i32 s1, s8
	v_cndmask_b32_e64 v7, 0, v7, s0
	s_mov_b32 s0, s5
	s_wait_loadcnt 0x0
	s_delay_alu instid0(VALU_DEP_1) | instskip(NEXT) | instid1(VALU_DEP_1)
	v_dual_mul_f32 v5, v0, v7 :: v_dual_cndmask_b32 v4, 0, v4
	v_dual_mul_f32 v8, s11, v7 :: v_dual_fmac_f32 v5, v9, v4
	s_delay_alu instid0(VALU_DEP_1) | instskip(NEXT) | instid1(VALU_DEP_1)
	v_mov_b32_e32 v6, v8
	v_fmac_f32_e32 v6, v10, v4
	s_cbranch_scc0 .LBB2_3
	s_branch .LBB2_5
.LBB2_4:
	s_wait_kmcnt 0x0
	v_mov_b32_e32 v6, s12
.LBB2_5:
	s_wait_loadcnt 0x0
	s_delay_alu instid0(VALU_DEP_1) | instskip(NEXT) | instid1(VALU_DEP_1)
	v_div_scale_f32 v0, null, v6, v6, v5
	v_rcp_f32_e32 v3, v0
	s_delay_alu instid0(TRANS32_DEP_1) | instskip(NEXT) | instid1(VALU_DEP_1)
	v_fma_f32 v4, -v0, v3, 1.0
	v_fmac_f32_e32 v3, v4, v3
	v_div_scale_f32 v4, vcc_lo, v5, v6, v5
	s_delay_alu instid0(VALU_DEP_1) | instskip(NEXT) | instid1(VALU_DEP_1)
	v_mul_f32_e32 v7, v4, v3
	v_fma_f32 v8, -v0, v7, v4
	s_delay_alu instid0(VALU_DEP_1) | instskip(NEXT) | instid1(VALU_DEP_1)
	v_fmac_f32_e32 v7, v8, v3
	v_fma_f32 v0, -v0, v7, v4
	s_wait_alu 0xfffd
	s_delay_alu instid0(VALU_DEP_1) | instskip(NEXT) | instid1(VALU_DEP_1)
	v_div_fmas_f32 v0, v0, v3, v7
	v_div_fixup_f32 v0, v0, v6, v5
	global_store_b32 v[1:2], v0, off
.LBB2_6:
	s_endpgm
	.section	.rodata,"a",@progbits
	.p2align	6, 0x0
	.amdhsa_kernel _ZL33flash_attn_stream_k_fixup_uniformILi96ELi8ELi8EEvPfPK15HIP_vector_typeIfLj2EEiiiiiiS1_IjLj3EES5_S5_
		.amdhsa_group_segment_fixed_size 0
		.amdhsa_private_segment_fixed_size 0
		.amdhsa_kernarg_size 76
		.amdhsa_user_sgpr_count 2
		.amdhsa_user_sgpr_dispatch_ptr 0
		.amdhsa_user_sgpr_queue_ptr 0
		.amdhsa_user_sgpr_kernarg_segment_ptr 1
		.amdhsa_user_sgpr_dispatch_id 0
		.amdhsa_user_sgpr_private_segment_size 0
		.amdhsa_wavefront_size32 1
		.amdhsa_uses_dynamic_stack 0
		.amdhsa_enable_private_segment 0
		.amdhsa_system_sgpr_workgroup_id_x 1
		.amdhsa_system_sgpr_workgroup_id_y 1
		.amdhsa_system_sgpr_workgroup_id_z 1
		.amdhsa_system_sgpr_workgroup_info 0
		.amdhsa_system_vgpr_workitem_id 0
		.amdhsa_next_free_vgpr 11
		.amdhsa_next_free_sgpr 16
		.amdhsa_reserve_vcc 1
		.amdhsa_float_round_mode_32 0
		.amdhsa_float_round_mode_16_64 0
		.amdhsa_float_denorm_mode_32 3
		.amdhsa_float_denorm_mode_16_64 3
		.amdhsa_fp16_overflow 0
		.amdhsa_workgroup_processor_mode 1
		.amdhsa_memory_ordered 1
		.amdhsa_forward_progress 1
		.amdhsa_inst_pref_size 9
		.amdhsa_round_robin_scheduling 0
		.amdhsa_exception_fp_ieee_invalid_op 0
		.amdhsa_exception_fp_denorm_src 0
		.amdhsa_exception_fp_ieee_div_zero 0
		.amdhsa_exception_fp_ieee_overflow 0
		.amdhsa_exception_fp_ieee_underflow 0
		.amdhsa_exception_fp_ieee_inexact 0
		.amdhsa_exception_int_div_zero 0
	.end_amdhsa_kernel
	.section	.text._ZL33flash_attn_stream_k_fixup_uniformILi96ELi8ELi8EEvPfPK15HIP_vector_typeIfLj2EEiiiiiiS1_IjLj3EES5_S5_,"axG",@progbits,_ZL33flash_attn_stream_k_fixup_uniformILi96ELi8ELi8EEvPfPK15HIP_vector_typeIfLj2EEiiiiiiS1_IjLj3EES5_S5_,comdat
.Lfunc_end2:
	.size	_ZL33flash_attn_stream_k_fixup_uniformILi96ELi8ELi8EEvPfPK15HIP_vector_typeIfLj2EEiiiiiiS1_IjLj3EES5_S5_, .Lfunc_end2-_ZL33flash_attn_stream_k_fixup_uniformILi96ELi8ELi8EEvPfPK15HIP_vector_typeIfLj2EEiiiiiiS1_IjLj3EES5_S5_
                                        ; -- End function
	.set _ZL33flash_attn_stream_k_fixup_uniformILi96ELi8ELi8EEvPfPK15HIP_vector_typeIfLj2EEiiiiiiS1_IjLj3EES5_S5_.num_vgpr, 11
	.set _ZL33flash_attn_stream_k_fixup_uniformILi96ELi8ELi8EEvPfPK15HIP_vector_typeIfLj2EEiiiiiiS1_IjLj3EES5_S5_.num_agpr, 0
	.set _ZL33flash_attn_stream_k_fixup_uniformILi96ELi8ELi8EEvPfPK15HIP_vector_typeIfLj2EEiiiiiiS1_IjLj3EES5_S5_.numbered_sgpr, 16
	.set _ZL33flash_attn_stream_k_fixup_uniformILi96ELi8ELi8EEvPfPK15HIP_vector_typeIfLj2EEiiiiiiS1_IjLj3EES5_S5_.num_named_barrier, 0
	.set _ZL33flash_attn_stream_k_fixup_uniformILi96ELi8ELi8EEvPfPK15HIP_vector_typeIfLj2EEiiiiiiS1_IjLj3EES5_S5_.private_seg_size, 0
	.set _ZL33flash_attn_stream_k_fixup_uniformILi96ELi8ELi8EEvPfPK15HIP_vector_typeIfLj2EEiiiiiiS1_IjLj3EES5_S5_.uses_vcc, 1
	.set _ZL33flash_attn_stream_k_fixup_uniformILi96ELi8ELi8EEvPfPK15HIP_vector_typeIfLj2EEiiiiiiS1_IjLj3EES5_S5_.uses_flat_scratch, 0
	.set _ZL33flash_attn_stream_k_fixup_uniformILi96ELi8ELi8EEvPfPK15HIP_vector_typeIfLj2EEiiiiiiS1_IjLj3EES5_S5_.has_dyn_sized_stack, 0
	.set _ZL33flash_attn_stream_k_fixup_uniformILi96ELi8ELi8EEvPfPK15HIP_vector_typeIfLj2EEiiiiiiS1_IjLj3EES5_S5_.has_recursion, 0
	.set _ZL33flash_attn_stream_k_fixup_uniformILi96ELi8ELi8EEvPfPK15HIP_vector_typeIfLj2EEiiiiiiS1_IjLj3EES5_S5_.has_indirect_call, 0
	.section	.AMDGPU.csdata,"",@progbits
; Kernel info:
; codeLenInByte = 1148
; TotalNumSgprs: 18
; NumVgprs: 11
; ScratchSize: 0
; MemoryBound: 0
; FloatMode: 240
; IeeeMode: 1
; LDSByteSize: 0 bytes/workgroup (compile time only)
; SGPRBlocks: 0
; VGPRBlocks: 1
; NumSGPRsForWavesPerEU: 18
; NumVGPRsForWavesPerEU: 11
; Occupancy: 16
; WaveLimiterHint : 0
; COMPUTE_PGM_RSRC2:SCRATCH_EN: 0
; COMPUTE_PGM_RSRC2:USER_SGPR: 2
; COMPUTE_PGM_RSRC2:TRAP_HANDLER: 0
; COMPUTE_PGM_RSRC2:TGID_X_EN: 1
; COMPUTE_PGM_RSRC2:TGID_Y_EN: 1
; COMPUTE_PGM_RSRC2:TGID_Z_EN: 1
; COMPUTE_PGM_RSRC2:TIDIG_COMP_CNT: 0
	.section	.text._ZL33flash_attn_stream_k_fixup_generalILi96ELi8ELi8EEvPfPK15HIP_vector_typeIfLj2EEiiiiS1_IjLj3EES5_S5_S5_,"axG",@progbits,_ZL33flash_attn_stream_k_fixup_generalILi96ELi8ELi8EEvPfPK15HIP_vector_typeIfLj2EEiiiiS1_IjLj3EES5_S5_S5_,comdat
	.globl	_ZL33flash_attn_stream_k_fixup_generalILi96ELi8ELi8EEvPfPK15HIP_vector_typeIfLj2EEiiiiS1_IjLj3EES5_S5_S5_ ; -- Begin function _ZL33flash_attn_stream_k_fixup_generalILi96ELi8ELi8EEvPfPK15HIP_vector_typeIfLj2EEiiiiS1_IjLj3EES5_S5_S5_
	.p2align	8
	.type	_ZL33flash_attn_stream_k_fixup_generalILi96ELi8ELi8EEvPfPK15HIP_vector_typeIfLj2EEiiiiS1_IjLj3EES5_S5_S5_,@function
_ZL33flash_attn_stream_k_fixup_generalILi96ELi8ELi8EEvPfPK15HIP_vector_typeIfLj2EEiiiiS1_IjLj3EES5_S5_S5_: ; @_ZL33flash_attn_stream_k_fixup_generalILi96ELi8ELi8EEvPfPK15HIP_vector_typeIfLj2EEiiiiS1_IjLj3EES5_S5_S5_
; %bb.0:
	s_clause 0x1
	s_load_b128 s[4:7], s[0:1], 0x10
	s_load_b32 s16, s[0:1], 0x50
	s_mov_b32 s2, ttmp9
	s_ashr_i32 s3, ttmp9, 31
	s_mov_b32 s17, 0
	s_delay_alu instid0(SALU_CYCLE_1) | instskip(SKIP_3) | instid1(SALU_CYCLE_1)
	s_mov_b32 s8, s17
	s_wait_kmcnt 0x0
	s_ashr_i32 s19, s7, 31
	s_mov_b32 s18, s7
	s_mul_u64 s[2:3], s[18:19], s[2:3]
	s_delay_alu instid0(SALU_CYCLE_1) | instskip(NEXT) | instid1(SALU_CYCLE_1)
	s_mov_b32 s9, s3
	s_cmp_lg_u64 s[8:9], 0
	s_cbranch_scc0 .LBB3_21
; %bb.1:
	s_add_nc_u64 s[8:9], s[16:17], 0
	s_mov_b32 s15, s17
	s_xor_b64 s[8:9], s[8:9], 0
	s_mov_b32 s23, s17
	s_cvt_f32_u32 s7, s8
	s_cvt_f32_u32 s10, s9
	s_sub_nc_u64 s[12:13], 0, s[8:9]
	s_delay_alu instid0(SALU_CYCLE_2) | instskip(NEXT) | instid1(SALU_CYCLE_3)
	s_fmamk_f32 s7, s10, 0x4f800000, s7
	v_s_rcp_f32 s7, s7
	s_delay_alu instid0(TRANS32_DEP_1) | instskip(SKIP_1) | instid1(SALU_CYCLE_2)
	s_mul_f32 s7, s7, 0x5f7ffffc
	s_wait_alu 0xfffe
	s_mul_f32 s10, s7, 0x2f800000
	s_delay_alu instid0(SALU_CYCLE_3) | instskip(NEXT) | instid1(SALU_CYCLE_3)
	s_trunc_f32 s10, s10
	s_fmamk_f32 s7, s10, 0xcf800000, s7
	s_cvt_u32_f32 s11, s10
	s_wait_alu 0xfffe
	s_delay_alu instid0(SALU_CYCLE_1) | instskip(NEXT) | instid1(SALU_CYCLE_3)
	s_cvt_u32_f32 s10, s7
	s_mul_u64 s[20:21], s[12:13], s[10:11]
	s_delay_alu instid0(SALU_CYCLE_1)
	s_mul_hi_u32 s25, s10, s21
	s_mul_i32 s24, s10, s21
	s_mul_hi_u32 s14, s10, s20
	s_mul_i32 s22, s11, s20
	s_add_nc_u64 s[14:15], s[14:15], s[24:25]
	s_mul_hi_u32 s7, s11, s20
	s_mul_hi_u32 s26, s11, s21
	s_add_co_u32 s14, s14, s22
	s_wait_alu 0xfffe
	s_add_co_ci_u32 s22, s15, s7
	s_mul_i32 s20, s11, s21
	s_add_co_ci_u32 s21, s26, 0
	s_delay_alu instid0(SALU_CYCLE_1)
	s_add_nc_u64 s[14:15], s[22:23], s[20:21]
	s_mov_b32 s21, s17
	s_add_co_u32 s10, s10, s14
	s_cselect_b32 s7, -1, 0
	s_wait_alu 0xfffe
	s_cmp_lg_u32 s7, 0
	s_add_co_ci_u32 s11, s11, s15
	s_mov_b32 s15, s17
	s_mul_u64 s[12:13], s[12:13], s[10:11]
	s_delay_alu instid0(SALU_CYCLE_1)
	s_mul_hi_u32 s23, s10, s13
	s_mul_i32 s22, s10, s13
	s_mul_hi_u32 s14, s10, s12
	s_mul_i32 s20, s11, s12
	s_add_nc_u64 s[14:15], s[14:15], s[22:23]
	s_mul_hi_u32 s7, s11, s12
	s_mul_hi_u32 s24, s11, s13
	s_mul_i32 s12, s11, s13
	s_add_co_u32 s13, s14, s20
	s_wait_alu 0xfffe
	s_add_co_ci_u32 s20, s15, s7
	s_add_co_ci_u32 s13, s24, 0
	s_mov_b32 s15, s17
	s_add_nc_u64 s[12:13], s[20:21], s[12:13]
	s_delay_alu instid0(SALU_CYCLE_1) | instskip(SKIP_1) | instid1(SALU_CYCLE_1)
	s_add_co_u32 s7, s10, s12
	s_cselect_b32 s10, -1, 0
	s_cmp_lg_u32 s10, 0
	s_add_co_ci_u32 s20, s11, s13
	s_ashr_i32 s10, s3, 31
	s_delay_alu instid0(SALU_CYCLE_1) | instskip(NEXT) | instid1(SALU_CYCLE_1)
	s_mov_b32 s11, s10
	s_add_nc_u64 s[12:13], s[2:3], s[10:11]
	s_delay_alu instid0(SALU_CYCLE_1) | instskip(NEXT) | instid1(SALU_CYCLE_1)
	s_xor_b64 s[12:13], s[12:13], s[10:11]
	s_mul_hi_u32 s23, s12, s20
	s_mul_i32 s22, s12, s20
	s_wait_alu 0xfffe
	s_mul_hi_u32 s14, s12, s7
	s_mul_hi_u32 s24, s13, s7
	s_mul_i32 s7, s13, s7
	s_add_nc_u64 s[14:15], s[14:15], s[22:23]
	s_mul_hi_u32 s3, s13, s20
	s_wait_alu 0xfffe
	s_add_co_u32 s7, s14, s7
	s_mul_i32 s22, s13, s20
	s_add_co_ci_u32 s20, s15, s24
	s_add_co_ci_u32 s23, s3, 0
	s_delay_alu instid0(SALU_CYCLE_1) | instskip(NEXT) | instid1(SALU_CYCLE_1)
	s_add_nc_u64 s[14:15], s[20:21], s[22:23]
	s_mul_u64 s[20:21], s[8:9], s[14:15]
	s_delay_alu instid0(SALU_CYCLE_1)
	s_sub_co_u32 s3, s12, s20
	s_cselect_b32 s7, -1, 0
	s_sub_co_i32 s12, s13, s21
	s_wait_alu 0xfffe
	s_cmp_lg_u32 s7, 0
	s_sub_co_ci_u32 s12, s12, s9
	s_sub_co_u32 s20, s3, s8
	s_cselect_b32 s22, -1, 0
	s_delay_alu instid0(SALU_CYCLE_1) | instskip(SKIP_2) | instid1(SALU_CYCLE_1)
	s_cmp_lg_u32 s22, 0
	s_add_nc_u64 s[22:23], s[14:15], 1
	s_sub_co_ci_u32 s12, s12, 0
	s_cmp_ge_u32 s12, s9
	s_cselect_b32 s24, -1, 0
	s_cmp_ge_u32 s20, s8
	s_cselect_b32 s20, -1, 0
	s_cmp_eq_u32 s12, s9
	s_cselect_b32 s12, s20, s24
	s_add_nc_u64 s[24:25], s[14:15], 2
	s_cmp_lg_u32 s12, 0
	s_cselect_b32 s12, s24, s22
	s_cselect_b32 s20, s25, s23
	s_cmp_lg_u32 s7, 0
	s_sub_co_ci_u32 s7, s13, s21
	s_wait_alu 0xfffe
	s_cmp_ge_u32 s7, s9
	s_cselect_b32 s13, -1, 0
	s_cmp_ge_u32 s3, s8
	s_cselect_b32 s3, -1, 0
	s_cmp_eq_u32 s7, s9
	s_cselect_b32 s3, s3, s13
	s_delay_alu instid0(SALU_CYCLE_1) | instskip(SKIP_4) | instid1(SALU_CYCLE_1)
	s_cmp_lg_u32 s3, 0
	s_mov_b32 s3, s17
	s_cselect_b32 s9, s20, s15
	s_cselect_b32 s8, s12, s14
	s_xor_b64 s[10:11], s[10:11], 0
	s_xor_b64 s[8:9], s[8:9], s[10:11]
	s_delay_alu instid0(SALU_CYCLE_1)
	s_sub_nc_u64 s[20:21], s[8:9], s[10:11]
	s_and_not1_b32 vcc_lo, exec_lo, s3
	s_cbranch_vccnz .LBB3_3
.LBB3_2:
	v_cvt_f32_u32_e32 v1, s16
	s_sub_co_i32 s7, 0, s16
	s_delay_alu instid0(VALU_DEP_1) | instskip(NEXT) | instid1(TRANS32_DEP_1)
	v_rcp_iflag_f32_e32 v1, v1
	v_mul_f32_e32 v1, 0x4f7ffffe, v1
	s_delay_alu instid0(VALU_DEP_1) | instskip(NEXT) | instid1(VALU_DEP_1)
	v_cvt_u32_f32_e32 v1, v1
	v_readfirstlane_b32 s3, v1
	s_wait_alu 0xfffe
	s_mul_i32 s7, s7, s3
	s_wait_alu 0xfffe
	s_mul_hi_u32 s7, s3, s7
	s_wait_alu 0xfffe
	s_add_co_i32 s3, s3, s7
	s_delay_alu instid0(SALU_CYCLE_1) | instskip(NEXT) | instid1(SALU_CYCLE_1)
	s_mul_hi_u32 s3, s2, s3
	s_mul_i32 s7, s3, s16
	s_wait_alu 0xfffe
	s_sub_co_i32 s2, s2, s7
	s_add_co_i32 s7, s3, 1
	s_sub_co_i32 s8, s2, s16
	s_cmp_ge_u32 s2, s16
	s_wait_alu 0xfffe
	s_cselect_b32 s3, s7, s3
	s_cselect_b32 s2, s8, s2
	s_add_co_i32 s7, s3, 1
	s_cmp_ge_u32 s2, s16
	s_wait_alu 0xfffe
	s_cselect_b32 s20, s7, s3
.LBB3_3:
	s_add_co_i32 s2, ttmp9, 1
	s_mov_b32 s8, 0
	s_ashr_i32 s3, s2, 31
	s_delay_alu instid0(SALU_CYCLE_1) | instskip(NEXT) | instid1(SALU_CYCLE_1)
	s_mul_u64 s[2:3], s[18:19], s[2:3]
	s_mov_b32 s9, s3
	s_delay_alu instid0(SALU_CYCLE_1)
	s_cmp_lg_u64 s[8:9], 0
	s_cbranch_scc0 .LBB3_22
; %bb.4:
	s_add_nc_u64 s[10:11], s[16:17], 0
	s_mov_b32 s23, s8
	s_xor_b64 s[10:11], s[10:11], 0
	s_mov_b32 s27, s8
	s_cvt_f32_u32 s7, s10
	s_cvt_f32_u32 s9, s11
	s_sub_nc_u64 s[14:15], 0, s[10:11]
	s_wait_alu 0xfffe
	s_delay_alu instid0(SALU_CYCLE_1) | instskip(SKIP_1) | instid1(SALU_CYCLE_2)
	s_fmamk_f32 s7, s9, 0x4f800000, s7
	s_wait_alu 0xfffe
	v_s_rcp_f32 s7, s7
	s_delay_alu instid0(TRANS32_DEP_1) | instskip(SKIP_1) | instid1(SALU_CYCLE_2)
	s_mul_f32 s7, s7, 0x5f7ffffc
	s_wait_alu 0xfffe
	s_mul_f32 s9, s7, 0x2f800000
	s_delay_alu instid0(SALU_CYCLE_3) | instskip(NEXT) | instid1(SALU_CYCLE_3)
	s_trunc_f32 s9, s9
	s_fmamk_f32 s7, s9, 0xcf800000, s7
	s_cvt_u32_f32 s13, s9
	s_wait_alu 0xfffe
	s_delay_alu instid0(SALU_CYCLE_1) | instskip(NEXT) | instid1(SALU_CYCLE_3)
	s_cvt_u32_f32 s12, s7
	s_mul_u64 s[24:25], s[14:15], s[12:13]
	s_delay_alu instid0(SALU_CYCLE_1)
	s_mul_hi_u32 s29, s12, s25
	s_mul_i32 s28, s12, s25
	s_mul_hi_u32 s22, s12, s24
	s_mul_i32 s9, s13, s24
	s_add_nc_u64 s[22:23], s[22:23], s[28:29]
	s_mul_hi_u32 s7, s13, s24
	s_mul_hi_u32 s21, s13, s25
	s_add_co_u32 s9, s22, s9
	s_wait_alu 0xfffe
	s_add_co_ci_u32 s26, s23, s7
	s_mul_i32 s24, s13, s25
	s_add_co_ci_u32 s25, s21, 0
	s_delay_alu instid0(SALU_CYCLE_1)
	s_add_nc_u64 s[22:23], s[26:27], s[24:25]
	s_mov_b32 s25, s8
	s_add_co_u32 s12, s12, s22
	s_cselect_b32 s7, -1, 0
	s_wait_alu 0xfffe
	s_cmp_lg_u32 s7, 0
	s_add_co_ci_u32 s13, s13, s23
	s_mov_b32 s23, s8
	s_mul_u64 s[14:15], s[14:15], s[12:13]
	s_delay_alu instid0(SALU_CYCLE_1)
	s_mul_hi_u32 s27, s12, s15
	s_mul_i32 s26, s12, s15
	s_mul_hi_u32 s22, s12, s14
	s_mul_i32 s9, s13, s14
	s_add_nc_u64 s[22:23], s[22:23], s[26:27]
	s_mul_hi_u32 s7, s13, s14
	s_mul_hi_u32 s21, s13, s15
	s_add_co_u32 s9, s22, s9
	s_wait_alu 0xfffe
	s_add_co_ci_u32 s24, s23, s7
	s_mul_i32 s14, s13, s15
	s_add_co_ci_u32 s15, s21, 0
	s_mov_b32 s23, s8
	s_add_nc_u64 s[14:15], s[24:25], s[14:15]
	s_delay_alu instid0(SALU_CYCLE_1) | instskip(SKIP_1) | instid1(SALU_CYCLE_1)
	s_add_co_u32 s7, s12, s14
	s_cselect_b32 s9, -1, 0
	s_cmp_lg_u32 s9, 0
	s_add_co_ci_u32 s9, s13, s15
	s_ashr_i32 s12, s3, 31
	s_delay_alu instid0(SALU_CYCLE_1) | instskip(NEXT) | instid1(SALU_CYCLE_1)
	s_mov_b32 s13, s12
	s_add_nc_u64 s[14:15], s[2:3], s[12:13]
	s_delay_alu instid0(SALU_CYCLE_1) | instskip(NEXT) | instid1(SALU_CYCLE_1)
	s_xor_b64 s[14:15], s[14:15], s[12:13]
	s_mul_hi_u32 s27, s14, s9
	s_mul_i32 s26, s14, s9
	s_wait_alu 0xfffe
	s_mul_hi_u32 s22, s14, s7
	s_mul_hi_u32 s21, s15, s7
	s_mul_i32 s7, s15, s7
	s_add_nc_u64 s[22:23], s[22:23], s[26:27]
	s_mul_hi_u32 s3, s15, s9
	s_wait_alu 0xfffe
	s_add_co_u32 s7, s22, s7
	s_add_co_ci_u32 s24, s23, s21
	s_mul_i32 s26, s15, s9
	s_add_co_ci_u32 s27, s3, 0
	s_delay_alu instid0(SALU_CYCLE_1) | instskip(NEXT) | instid1(SALU_CYCLE_1)
	s_add_nc_u64 s[22:23], s[24:25], s[26:27]
	s_mul_u64 s[24:25], s[10:11], s[22:23]
	s_add_nc_u64 s[26:27], s[22:23], 1
	s_sub_co_u32 s3, s14, s24
	s_cselect_b32 s7, -1, 0
	s_sub_co_i32 s9, s15, s25
	s_wait_alu 0xfffe
	s_cmp_lg_u32 s7, 0
	s_add_nc_u64 s[28:29], s[22:23], 2
	s_sub_co_ci_u32 s9, s9, s11
	s_sub_co_u32 s14, s3, s10
	s_cselect_b32 s21, -1, 0
	s_delay_alu instid0(SALU_CYCLE_1) | instskip(SKIP_1) | instid1(SALU_CYCLE_1)
	s_cmp_lg_u32 s21, 0
	s_sub_co_ci_u32 s9, s9, 0
	s_cmp_ge_u32 s9, s11
	s_cselect_b32 s21, -1, 0
	s_cmp_ge_u32 s14, s10
	s_cselect_b32 s14, -1, 0
	s_cmp_eq_u32 s9, s11
	s_cselect_b32 s9, s14, s21
	s_delay_alu instid0(SALU_CYCLE_1)
	s_cmp_lg_u32 s9, 0
	s_cselect_b32 s9, s28, s26
	s_cselect_b32 s14, s29, s27
	s_cmp_lg_u32 s7, 0
	s_sub_co_ci_u32 s7, s15, s25
	s_wait_alu 0xfffe
	s_cmp_ge_u32 s7, s11
	s_cselect_b32 s15, -1, 0
	s_cmp_ge_u32 s3, s10
	s_cselect_b32 s3, -1, 0
	s_cmp_eq_u32 s7, s11
	s_cselect_b32 s3, s3, s15
	s_delay_alu instid0(SALU_CYCLE_1) | instskip(SKIP_3) | instid1(SALU_CYCLE_1)
	s_cmp_lg_u32 s3, 0
	s_cselect_b32 s11, s14, s23
	s_cselect_b32 s10, s9, s22
	s_xor_b64 s[12:13], s[12:13], 0
	s_xor_b64 s[10:11], s[10:11], s[12:13]
	s_delay_alu instid0(SALU_CYCLE_1)
	s_sub_nc_u64 s[10:11], s[10:11], s[12:13]
	s_load_b96 s[12:14], s[0:1], 0x44
	s_and_not1_b32 vcc_lo, exec_lo, s8
	s_cbranch_vccnz .LBB3_6
.LBB3_5:
	v_cvt_f32_u32_e32 v1, s16
	s_sub_co_i32 s7, 0, s16
	s_delay_alu instid0(VALU_DEP_1) | instskip(NEXT) | instid1(TRANS32_DEP_1)
	v_rcp_iflag_f32_e32 v1, v1
	v_mul_f32_e32 v1, 0x4f7ffffe, v1
	s_delay_alu instid0(VALU_DEP_1) | instskip(NEXT) | instid1(VALU_DEP_1)
	v_cvt_u32_f32_e32 v1, v1
	v_readfirstlane_b32 s3, v1
	s_wait_alu 0xfffe
	s_mul_i32 s7, s7, s3
	s_wait_alu 0xfffe
	s_mul_hi_u32 s7, s3, s7
	s_wait_alu 0xfffe
	s_add_co_i32 s3, s3, s7
	s_delay_alu instid0(SALU_CYCLE_1) | instskip(NEXT) | instid1(SALU_CYCLE_1)
	s_mul_hi_u32 s3, s2, s3
	s_mul_i32 s7, s3, s16
	s_wait_alu 0xfffe
	s_sub_co_i32 s2, s2, s7
	s_add_co_i32 s7, s3, 1
	s_sub_co_i32 s8, s2, s16
	s_cmp_ge_u32 s2, s16
	s_wait_alu 0xfffe
	s_cselect_b32 s3, s7, s3
	s_cselect_b32 s2, s8, s2
	s_add_co_i32 s7, s3, 1
	s_cmp_ge_u32 s2, s16
	s_wait_alu 0xfffe
	s_cselect_b32 s10, s7, s3
.LBB3_6:
	s_mov_b32 s21, 0
	s_wait_kmcnt 0x0
	s_mov_b32 s22, s12
	s_mov_b32 s23, s21
	s_cmp_eq_u32 s20, s10
	s_mul_u64 s[2:3], s[20:21], s[22:23]
	s_cselect_b32 s7, -1, 0
	s_add_co_i32 s2, s3, s20
	s_mov_b32 s11, s21
	s_lshr_b32 s12, s2, s13
	s_mul_u64 s[2:3], s[10:11], s[22:23]
	s_mul_i32 s2, s12, s14
	s_delay_alu instid0(SALU_CYCLE_1) | instskip(SKIP_2) | instid1(SALU_CYCLE_1)
	s_cmp_eq_u32 s2, s20
	s_cselect_b32 s2, -1, 0
	s_add_co_i32 s3, s3, s10
	s_lshr_b32 s3, s3, s13
	s_delay_alu instid0(SALU_CYCLE_1)
	s_cmp_eq_u32 s12, s3
	s_mul_i32 s3, s3, s14
	s_cselect_b32 s8, -1, 0
	s_cmp_lg_u32 s3, s10
	s_cselect_b32 s3, -1, 0
	s_wait_alu 0xfffe
	s_or_b32 s2, s7, s2
	s_and_b32 s3, s8, s3
	s_delay_alu instid0(SALU_CYCLE_1) | instskip(NEXT) | instid1(SALU_CYCLE_1)
	s_or_b32 s2, s2, s3
	s_and_b32 vcc_lo, exec_lo, s2
	s_cbranch_vccnz .LBB3_24
; %bb.7:
	s_load_b256 s[24:31], s[0:1], 0x20
	s_mov_b32 s3, s21
	s_wait_kmcnt 0x0
	s_mov_b32 s2, s24
	s_delay_alu instid0(SALU_CYCLE_1) | instskip(NEXT) | instid1(SALU_CYCLE_1)
	s_mul_u64 s[2:3], s[20:21], s[2:3]
	s_add_co_i32 s2, s3, s20
	s_delay_alu instid0(SALU_CYCLE_1) | instskip(SKIP_2) | instid1(SALU_CYCLE_1)
	s_lshr_b32 s7, s2, s25
	s_load_b32 s2, s[0:1], 0x40
	s_mul_i32 s3, s7, s26
	s_sub_co_i32 s3, s20, s3
	s_delay_alu instid0(SALU_CYCLE_1) | instskip(NEXT) | instid1(SALU_CYCLE_1)
	s_mul_hi_u32 s8, s3, s27
	s_add_co_i32 s8, s3, s8
	s_delay_alu instid0(SALU_CYCLE_1) | instskip(NEXT) | instid1(SALU_CYCLE_1)
	s_lshr_b32 s15, s8, s28
	s_mul_i32 s8, s15, s29
	s_delay_alu instid0(SALU_CYCLE_1) | instskip(NEXT) | instid1(SALU_CYCLE_1)
	s_sub_co_i32 s8, s3, s8
	s_mul_hi_u32 s3, s8, s30
	s_delay_alu instid0(SALU_CYCLE_1) | instskip(NEXT) | instid1(SALU_CYCLE_1)
	s_add_co_i32 s3, s8, s3
	s_lshr_b32 s10, s3, s31
	s_mov_b32 s3, s21
	s_wait_kmcnt 0x0
	s_mul_i32 s2, s10, s2
	s_lshl_b32 s24, s10, 3
	s_sub_co_i32 s2, s8, s2
	s_delay_alu instid0(SALU_CYCLE_1) | instskip(SKIP_2) | instid1(SALU_CYCLE_1)
	s_mul_u64 s[8:9], s[2:3], s[22:23]
	s_lshr_b32 s3, ttmp7, 16
	s_add_co_i32 s2, s2, s9
	s_lshr_b32 s21, s2, s13
	s_and_b32 s2, ttmp7, 0xffff
	s_lshl_b32 s8, s21, 3
	s_delay_alu instid0(SALU_CYCLE_1) | instskip(NEXT) | instid1(SALU_CYCLE_1)
	s_add_co_i32 s8, s8, s2
	s_cmp_lt_i32 s8, s4
	s_cselect_b32 s8, -1, 0
	s_add_co_i32 s24, s24, s3
	s_delay_alu instid0(SALU_CYCLE_1) | instskip(SKIP_1) | instid1(SALU_CYCLE_1)
	s_cmp_lt_i32 s24, s6
	s_cselect_b32 s9, -1, 0
	s_and_b32 s8, s8, s9
	s_delay_alu instid0(SALU_CYCLE_1)
	s_and_not1_b32 vcc_lo, exec_lo, s8
	s_cbranch_vccnz .LBB3_24
; %bb.8:
	s_mul_i32 s4, s7, s4
	s_load_b128 s[8:11], s[0:1], 0x0
	s_add_co_i32 s0, s4, s2
	s_mul_i32 s15, s15, s6
	s_mul_i32 s0, s0, s5
	s_add_co_i32 s1, s24, s15
	s_mul_i32 s4, s5, s21
	s_add_co_i32 s0, s1, s0
	s_mulk_i32 s4, 0x300
	s_mulk_i32 s0, 0x60
	s_lshl_b32 s15, s2, 3
	v_add3_u32 v1, s4, s0, v0
	s_add_nc_u64 s[0:1], s[16:17], 0
	s_add_co_i32 s15, s15, s3
	s_wait_alu 0xfffe
	s_xor_b64 s[6:7], s[0:1], 0
	s_lshl_b32 s0, ttmp9, 6
	v_ashrrev_i32_e32 v2, 31, v1
	s_wait_alu 0xfffe
	s_cvt_f32_u32 s1, s6
	s_cvt_f32_u32 s2, s7
	s_add_co_i32 s0, s15, s0
	v_cvt_f32_u32_e32 v3, s16
	v_lshlrev_b64_e32 v[1:2], 2, v[1:2]
	s_wait_alu 0xfffe
	s_fmamk_f32 s2, s2, 0x4f800000, s1
	s_ashr_i32 s1, s0, 31
	s_add_co_i32 s34, ttmp9, -1
	s_wait_alu 0xfffe
	s_lshl_b64 s[0:1], s[0:1], 3
	v_s_rcp_f32 s2, s2
	s_wait_kmcnt 0x0
	v_add_co_u32 v1, vcc_lo, s8, v1
	s_delay_alu instid0(VALU_DEP_1)
	v_add_co_ci_u32_e64 v2, null, s9, v2, vcc_lo
	s_wait_alu 0xfffe
	s_add_nc_u64 s[0:1], s[10:11], s[0:1]
	v_rcp_iflag_f32_e32 v3, v3
	s_load_b64 s[26:27], s[0:1], 0x0
	global_load_b32 v5, v[1:2], off
	s_mul_f32 s2, s2, 0x5f7ffffc
	s_mov_b32 s8, 0
	s_lshl_b32 s0, s16, 8
	s_wait_alu 0xfffe
	s_mov_b32 s1, s8
	s_mul_f32 s3, s2, 0x2f800000
	s_wait_alu 0xfffe
	s_lshl_b64 s[0:1], s[0:1], 2
	s_sub_nc_u64 s[30:31], 0, s[6:7]
	v_mul_f32_e32 v6, 0x4f7ffffe, v3
	s_trunc_f32 s3, s3
	s_wait_alu 0xfffe
	s_add_nc_u64 s[24:25], s[10:11], s[0:1]
	v_mad_co_u64_u32 v[3:4], null, 0x60, s15, v[0:1]
	s_fmamk_f32 s0, s3, 0xcf800000, s2
	v_cvt_u32_f32_e32 v0, v6
	s_cvt_u32_f32 s29, s3
	s_wait_alu 0xfffe
	s_cvt_u32_f32 s28, s0
	s_wait_kmcnt 0x0
	v_mov_b32_e32 v4, s27
.LBB3_9:                                ; =>This Inner Loop Header: Depth=1
	s_wait_alu 0xfffe
	s_ashr_i32 s35, s34, 31
	s_mov_b32 s2, -1
	s_wait_alu 0xfffe
	s_mul_u64 s[0:1], s[34:35], s[18:19]
                                        ; implicit-def: $sgpr38_sgpr39
	s_wait_alu 0xfffe
	s_mov_b32 s9, s1
	s_wait_alu 0xfffe
	s_cmp_lg_u64 s[8:9], 0
	s_cbranch_scc0 .LBB3_11
; %bb.10:                               ;   in Loop: Header=BB3_9 Depth=1
	s_mul_u64 s[2:3], s[30:31], s[28:29]
	s_mov_b32 s37, s8
	s_wait_alu 0xfffe
	s_mul_hi_u32 s5, s28, s3
	s_mul_i32 s4, s28, s3
	s_mul_hi_u32 s36, s28, s2
	s_mul_hi_u32 s9, s29, s2
	s_wait_alu 0xfffe
	s_add_nc_u64 s[4:5], s[36:37], s[4:5]
	s_mul_i32 s2, s29, s2
	s_mul_hi_u32 s17, s29, s3
	s_wait_alu 0xfffe
	s_add_co_u32 s2, s4, s2
	s_add_co_ci_u32 s2, s5, s9
	s_add_co_ci_u32 s5, s17, 0
	s_mul_i32 s4, s29, s3
	s_mov_b32 s3, s8
	s_mov_b32 s39, s8
	s_wait_alu 0xfffe
	s_add_nc_u64 s[2:3], s[2:3], s[4:5]
	s_wait_alu 0xfffe
	s_add_co_u32 s2, s28, s2
	s_cselect_b32 s4, -1, 0
	s_wait_alu 0xfffe
	s_cmp_lg_u32 s4, 0
	s_add_co_ci_u32 s3, s29, s3
	s_wait_alu 0xfffe
	s_mul_u64 s[4:5], s[30:31], s[2:3]
	s_wait_alu 0xfffe
	s_mul_hi_u32 s37, s2, s5
	s_mul_i32 s36, s2, s5
	s_mul_hi_u32 s38, s2, s4
	s_mul_hi_u32 s9, s3, s4
	s_mul_i32 s4, s3, s4
	s_wait_alu 0xfffe
	s_add_nc_u64 s[36:37], s[38:39], s[36:37]
	s_mul_hi_u32 s17, s3, s5
	s_wait_alu 0xfffe
	s_add_co_u32 s4, s36, s4
	s_add_co_ci_u32 s4, s37, s9
	s_add_co_ci_u32 s37, s17, 0
	s_mul_i32 s36, s3, s5
	s_mov_b32 s5, s8
	s_wait_alu 0xfffe
	s_add_nc_u64 s[4:5], s[4:5], s[36:37]
	s_mov_b32 s37, s8
	s_wait_alu 0xfffe
	s_add_co_u32 s9, s2, s4
	s_cselect_b32 s2, -1, 0
	s_wait_alu 0xfffe
	s_cmp_lg_u32 s2, 0
	s_add_co_ci_u32 s17, s3, s5
	s_ashr_i32 s2, s1, 31
	s_wait_alu 0xfffe
	s_mov_b32 s3, s2
	s_wait_alu 0xfffe
	s_add_nc_u64 s[4:5], s[0:1], s[2:3]
	s_wait_alu 0xfffe
	s_xor_b64 s[4:5], s[4:5], s[2:3]
	s_wait_alu 0xfffe
	s_mul_hi_u32 s39, s4, s17
	s_mul_i32 s38, s4, s17
	s_mul_hi_u32 s36, s4, s9
	s_mul_i32 s21, s5, s9
	s_wait_alu 0xfffe
	s_add_nc_u64 s[36:37], s[36:37], s[38:39]
	s_mul_hi_u32 s9, s5, s9
	s_mul_hi_u32 s1, s5, s17
	s_wait_alu 0xfffe
	s_add_co_u32 s21, s36, s21
	s_add_co_ci_u32 s36, s37, s9
	s_add_co_ci_u32 s39, s1, 0
	s_mul_i32 s38, s5, s17
	s_mov_b32 s37, s8
	s_wait_alu 0xfffe
	s_add_nc_u64 s[36:37], s[36:37], s[38:39]
	s_wait_alu 0xfffe
	s_mul_u64 s[38:39], s[6:7], s[36:37]
	s_add_nc_u64 s[40:41], s[36:37], 1
	s_sub_co_u32 s1, s4, s38
	s_cselect_b32 s4, -1, 0
	s_sub_co_i32 s9, s5, s39
	s_wait_alu 0xfffe
	s_cmp_lg_u32 s4, 0
	s_add_nc_u64 s[42:43], s[36:37], 2
	s_sub_co_ci_u32 s9, s9, s7
	s_sub_co_u32 s17, s1, s6
	s_cselect_b32 s21, -1, 0
	s_delay_alu instid0(SALU_CYCLE_1)
	s_cmp_lg_u32 s21, 0
	s_wait_alu 0xfffe
	s_sub_co_ci_u32 s9, s9, 0
	s_wait_alu 0xfffe
	s_cmp_ge_u32 s9, s7
	s_cselect_b32 s21, -1, 0
	s_cmp_ge_u32 s17, s6
	s_cselect_b32 s17, -1, 0
	s_cmp_eq_u32 s9, s7
	s_wait_alu 0xfffe
	s_cselect_b32 s9, s17, s21
	s_wait_alu 0xfffe
	s_cmp_lg_u32 s9, 0
	s_cselect_b32 s9, s42, s40
	s_cselect_b32 s17, s43, s41
	s_cmp_lg_u32 s4, 0
	s_sub_co_ci_u32 s4, s5, s39
	s_wait_alu 0xfffe
	s_cmp_ge_u32 s4, s7
	s_cselect_b32 s5, -1, 0
	s_cmp_ge_u32 s1, s6
	s_cselect_b32 s1, -1, 0
	s_cmp_eq_u32 s4, s7
	s_wait_alu 0xfffe
	s_cselect_b32 s1, s1, s5
	s_wait_alu 0xfffe
	s_cmp_lg_u32 s1, 0
	s_cselect_b32 s5, s17, s37
	s_cselect_b32 s4, s9, s36
	s_xor_b64 s[2:3], s[2:3], 0
	s_wait_alu 0xfffe
	s_xor_b64 s[4:5], s[4:5], s[2:3]
	s_wait_alu 0xfffe
	s_sub_nc_u64 s[38:39], s[4:5], s[2:3]
	s_mov_b32 s2, 0
.LBB3_11:                               ;   in Loop: Header=BB3_9 Depth=1
	s_wait_alu 0xfffe
	s_and_not1_b32 vcc_lo, exec_lo, s2
	s_wait_alu 0xfffe
	s_cbranch_vccnz .LBB3_13
; %bb.12:                               ;   in Loop: Header=BB3_9 Depth=1
	v_readfirstlane_b32 s1, v0
	s_sub_co_i32 s2, 0, s16
	s_wait_alu 0xfffe
	s_mul_i32 s2, s2, s1
	s_wait_alu 0xfffe
	s_mul_hi_u32 s2, s1, s2
	s_wait_alu 0xfffe
	s_add_co_i32 s1, s1, s2
	s_wait_alu 0xfffe
	s_mul_hi_u32 s1, s0, s1
	s_wait_alu 0xfffe
	s_mul_i32 s2, s1, s16
	s_wait_alu 0xfffe
	s_sub_co_i32 s0, s0, s2
	s_add_co_i32 s2, s1, 1
	s_wait_alu 0xfffe
	s_sub_co_i32 s3, s0, s16
	s_cmp_ge_u32 s0, s16
	s_cselect_b32 s1, s2, s1
	s_wait_alu 0xfffe
	s_cselect_b32 s0, s3, s0
	s_add_co_i32 s2, s1, 1
	s_wait_alu 0xfffe
	s_cmp_ge_u32 s0, s16
	s_cselect_b32 s38, s2, s1
.LBB3_13:                               ;   in Loop: Header=BB3_9 Depth=1
	v_readfirstlane_b32 s9, v0
	s_cmp_lg_u32 s20, s38
	s_mov_b32 s0, -1
                                        ; implicit-def: $sgpr21
                                        ; implicit-def: $vgpr6
                                        ; implicit-def: $vgpr7
                                        ; implicit-def: $sgpr17
                                        ; implicit-def: $sgpr27
	s_cbranch_scc1 .LBB3_16
; %bb.14:                               ;   in Loop: Header=BB3_9 Depth=1
	s_wait_alu 0xfffe
	s_and_not1_b32 vcc_lo, exec_lo, s0
	s_wait_alu 0xfffe
	s_cbranch_vccz .LBB3_19
.LBB3_15:                               ;   in Loop: Header=BB3_9 Depth=1
	s_and_not1_b32 vcc_lo, exec_lo, s21
	s_wait_alu 0xfffe
	s_cbranch_vccnz .LBB3_20
	s_branch .LBB3_23
.LBB3_16:                               ;   in Loop: Header=BB3_9 Depth=1
	s_add_co_i32 s0, s34, s16
	s_mov_b32 s1, s8
	s_wait_alu 0xfffe
	s_lshl_b32 s0, s0, 6
	v_max_num_f32_e64 v6, s26, s26
	s_wait_alu 0xfffe
	s_add_co_i32 s0, s0, s15
	s_mov_b32 s39, s8
	s_wait_alu 0xfffe
	s_lshl_b64 s[0:1], s[0:1], 3
	s_mul_u64 s[40:41], s[38:39], s[22:23]
	s_wait_alu 0xfffe
	s_add_nc_u64 s[0:1], s[10:11], s[0:1]
	s_mov_b32 s27, s20
	s_load_b64 s[36:37], s[0:1], 0x0
	v_readfirstlane_b32 s0, v6
	s_wait_kmcnt 0x0
	v_max_num_f32_e64 v7, s36, s36
	s_delay_alu instid0(VALU_DEP_1) | instskip(SKIP_2) | instid1(SALU_CYCLE_2)
	v_readfirstlane_b32 s1, v7
	s_max_num_f32 s9, s0, s1
	s_wait_alu 0xfffe
	s_sub_f32 s33, s26, s9
	s_sub_f32 s35, s36, s9
	s_wait_alu 0xfffe
	s_delay_alu instid0(SALU_CYCLE_1)
	s_cmp_nlt_f32 s33, 0xc2ce8ed0
	s_cselect_b32 s0, -1, 0
	s_cmp_ngt_f32 s33, 0x42b17218
	s_cselect_b32 s1, -1, 0
	s_cmp_ge_f32 s33, 0xc1a00000
	s_cselect_b32 s2, -1, 0
	s_cmp_nlt_f32 s35, 0xc2ce8ed0
	s_cselect_b32 s3, -1, 0
	s_cmp_ngt_f32 s35, 0x42b17218
	s_cselect_b32 s4, -1, 0
	s_cmp_ge_f32 s35, 0xc1a00000
	s_cselect_b32 s5, -1, 0
	s_add_co_i32 s17, s41, s38
	s_wait_alu 0xfffe
	s_lshr_b32 s17, s17, s13
	s_wait_alu 0xfffe
	s_mul_i32 s21, s17, s14
	s_delay_alu instid0(SALU_CYCLE_1)
	s_cmp_eq_u32 s21, s38
	s_cselect_b32 s21, -1, 0
	s_cmp_lt_u32 s17, s12
	s_cselect_b32 s17, -1, 0
	s_wait_alu 0xfffe
	s_or_b32 s17, s17, s21
	s_mov_b32 s21, -1
	s_wait_alu 0xfffe
	s_and_b32 vcc_lo, exec_lo, s17
	s_mov_b32 s17, s34
	s_wait_alu 0xfffe
	s_cbranch_vccnz .LBB3_18
; %bb.17:                               ;   in Loop: Header=BB3_9 Depth=1
	s_add_co_i32 s17, s34, -1
	s_mov_b32 s21, 0
	s_mov_b32 s27, s38
.LBB3_18:                               ;   in Loop: Header=BB3_9 Depth=1
	v_mad_co_u64_u32 v[6:7], null, 0x1800, s34, v[3:4]
	s_mul_f32 s36, s35, 0x3fb8aa3b
	s_mul_f32 s38, s33, 0x3fb8aa3b
	s_wait_alu 0xfffe
	s_delay_alu instid0(SALU_CYCLE_1)
	s_xor_b32 s39, s36, 0x80000000
	s_rndne_f32 s40, s36
	v_ashrrev_i32_e32 v7, 31, v6
	s_fmamk_f32 s39, s35, 0x3fb8aa3b, s39
	s_xor_b32 s41, s38, 0x80000000
	s_sub_f32 s36, s36, s40
	s_rndne_f32 s42, s38
	v_lshlrev_b64_e32 v[6:7], 2, v[6:7]
	s_fmamk_f32 s35, s35, 0x32a5705f, s39
	s_fmamk_f32 s39, s33, 0x3fb8aa3b, s41
	s_sub_f32 s38, s38, s42
	s_wait_alu 0xfffe
	s_add_f32 s35, s36, s35
	v_add_co_u32 v6, vcc_lo, s24, v6
	s_wait_alu 0xfffd
	v_add_co_ci_u32_e64 v7, null, s25, v7, vcc_lo
	s_fmamk_f32 s33, s33, 0x32a5705f, s39
	s_wait_alu 0xfffe
	v_s_exp_f32 s35, s35
	s_cvt_i32_f32 s36, s40
	global_load_b32 v6, v[6:7], off
	s_add_f32 s33, s38, s33
	s_wait_alu 0xfffe
	s_delay_alu instid0(SALU_CYCLE_2) | instskip(SKIP_2) | instid1(VALU_DEP_1)
	v_s_exp_f32 s33, s33
	v_ldexp_f32 v7, s35, s36
	s_cvt_i32_f32 s35, s42
	v_cndmask_b32_e64 v7, 0, v7, s3
	s_wait_alu 0xf1fe
	s_delay_alu instid0(TRANS32_DEP_1) | instid1(SALU_CYCLE_1)
	v_ldexp_f32 v8, s33, s35
	s_delay_alu instid0(VALU_DEP_2) | instskip(NEXT) | instid1(VALU_DEP_2)
	v_cndmask_b32_e64 v7, 0x7f800000, v7, s4
	v_cndmask_b32_e64 v8, 0, v8, s0
	s_delay_alu instid0(VALU_DEP_2) | instskip(NEXT) | instid1(VALU_DEP_2)
	v_cndmask_b32_e64 v7, 0, v7, s5
	v_cndmask_b32_e64 v8, 0x7f800000, v8, s1
	s_delay_alu instid0(VALU_DEP_1) | instskip(SKIP_1) | instid1(VALU_DEP_3)
	v_cndmask_b32_e64 v8, 0, v8, s2
	s_wait_loadcnt 0x0
	v_mul_f32_e32 v6, v6, v7
	v_mul_f32_e32 v7, s37, v7
	s_delay_alu instid0(VALU_DEP_1) | instskip(NEXT) | instid1(VALU_DEP_3)
	v_fmac_f32_e32 v7, v4, v8
	v_fmac_f32_e32 v6, v5, v8
	s_cbranch_execnz .LBB3_15
.LBB3_19:                               ;   in Loop: Header=BB3_9 Depth=1
	s_wait_loadcnt 0x0
	v_dual_mov_b32 v7, v4 :: v_dual_mov_b32 v6, v5
	s_add_co_i32 s17, s34, -1
	s_mov_b32 s27, s20
	s_mov_b32 s9, s26
	s_cbranch_execz .LBB3_23
.LBB3_20:                               ;   in Loop: Header=BB3_9 Depth=1
	s_wait_loadcnt 0x0
	v_dual_mov_b32 v4, v7 :: v_dual_mov_b32 v5, v6
	s_wait_alu 0xfffe
	s_mov_b32 s20, s27
	s_mov_b32 s34, s17
	;; [unrolled: 1-line block ×3, first 2 shown]
	s_branch .LBB3_9
.LBB3_21:
                                        ; implicit-def: $sgpr20_sgpr21
	s_branch .LBB3_2
.LBB3_22:
                                        ; implicit-def: $sgpr10_sgpr11
	s_load_b96 s[12:14], s[0:1], 0x44
	s_branch .LBB3_5
.LBB3_23:
	v_div_scale_f32 v0, null, v7, v7, v6
	s_delay_alu instid0(VALU_DEP_1) | instskip(NEXT) | instid1(TRANS32_DEP_1)
	v_rcp_f32_e32 v3, v0
	v_fma_f32 v4, -v0, v3, 1.0
	s_delay_alu instid0(VALU_DEP_1) | instskip(SKIP_2) | instid1(VALU_DEP_1)
	v_fmac_f32_e32 v3, v4, v3
	v_div_scale_f32 v4, vcc_lo, v6, v7, v6
	s_wait_loadcnt 0x0
	v_mul_f32_e32 v5, v4, v3
	s_delay_alu instid0(VALU_DEP_1) | instskip(NEXT) | instid1(VALU_DEP_1)
	v_fma_f32 v8, -v0, v5, v4
	v_fmac_f32_e32 v5, v8, v3
	s_delay_alu instid0(VALU_DEP_1) | instskip(SKIP_1) | instid1(VALU_DEP_1)
	v_fma_f32 v0, -v0, v5, v4
	s_wait_alu 0xfffd
	v_div_fmas_f32 v0, v0, v3, v5
	s_delay_alu instid0(VALU_DEP_1)
	v_div_fixup_f32 v0, v0, v7, v6
	global_store_b32 v[1:2], v0, off
.LBB3_24:
	s_endpgm
	.section	.rodata,"a",@progbits
	.p2align	6, 0x0
	.amdhsa_kernel _ZL33flash_attn_stream_k_fixup_generalILi96ELi8ELi8EEvPfPK15HIP_vector_typeIfLj2EEiiiiS1_IjLj3EES5_S5_S5_
		.amdhsa_group_segment_fixed_size 0
		.amdhsa_private_segment_fixed_size 0
		.amdhsa_kernarg_size 336
		.amdhsa_user_sgpr_count 2
		.amdhsa_user_sgpr_dispatch_ptr 0
		.amdhsa_user_sgpr_queue_ptr 0
		.amdhsa_user_sgpr_kernarg_segment_ptr 1
		.amdhsa_user_sgpr_dispatch_id 0
		.amdhsa_user_sgpr_private_segment_size 0
		.amdhsa_wavefront_size32 1
		.amdhsa_uses_dynamic_stack 0
		.amdhsa_enable_private_segment 0
		.amdhsa_system_sgpr_workgroup_id_x 1
		.amdhsa_system_sgpr_workgroup_id_y 1
		.amdhsa_system_sgpr_workgroup_id_z 1
		.amdhsa_system_sgpr_workgroup_info 0
		.amdhsa_system_vgpr_workitem_id 0
		.amdhsa_next_free_vgpr 9
		.amdhsa_next_free_sgpr 44
		.amdhsa_reserve_vcc 1
		.amdhsa_float_round_mode_32 0
		.amdhsa_float_round_mode_16_64 0
		.amdhsa_float_denorm_mode_32 3
		.amdhsa_float_denorm_mode_16_64 3
		.amdhsa_fp16_overflow 0
		.amdhsa_workgroup_processor_mode 1
		.amdhsa_memory_ordered 1
		.amdhsa_forward_progress 1
		.amdhsa_inst_pref_size 28
		.amdhsa_round_robin_scheduling 0
		.amdhsa_exception_fp_ieee_invalid_op 0
		.amdhsa_exception_fp_denorm_src 0
		.amdhsa_exception_fp_ieee_div_zero 0
		.amdhsa_exception_fp_ieee_overflow 0
		.amdhsa_exception_fp_ieee_underflow 0
		.amdhsa_exception_fp_ieee_inexact 0
		.amdhsa_exception_int_div_zero 0
	.end_amdhsa_kernel
	.section	.text._ZL33flash_attn_stream_k_fixup_generalILi96ELi8ELi8EEvPfPK15HIP_vector_typeIfLj2EEiiiiS1_IjLj3EES5_S5_S5_,"axG",@progbits,_ZL33flash_attn_stream_k_fixup_generalILi96ELi8ELi8EEvPfPK15HIP_vector_typeIfLj2EEiiiiS1_IjLj3EES5_S5_S5_,comdat
.Lfunc_end3:
	.size	_ZL33flash_attn_stream_k_fixup_generalILi96ELi8ELi8EEvPfPK15HIP_vector_typeIfLj2EEiiiiS1_IjLj3EES5_S5_S5_, .Lfunc_end3-_ZL33flash_attn_stream_k_fixup_generalILi96ELi8ELi8EEvPfPK15HIP_vector_typeIfLj2EEiiiiS1_IjLj3EES5_S5_S5_
                                        ; -- End function
	.set _ZL33flash_attn_stream_k_fixup_generalILi96ELi8ELi8EEvPfPK15HIP_vector_typeIfLj2EEiiiiS1_IjLj3EES5_S5_S5_.num_vgpr, 9
	.set _ZL33flash_attn_stream_k_fixup_generalILi96ELi8ELi8EEvPfPK15HIP_vector_typeIfLj2EEiiiiS1_IjLj3EES5_S5_S5_.num_agpr, 0
	.set _ZL33flash_attn_stream_k_fixup_generalILi96ELi8ELi8EEvPfPK15HIP_vector_typeIfLj2EEiiiiS1_IjLj3EES5_S5_S5_.numbered_sgpr, 44
	.set _ZL33flash_attn_stream_k_fixup_generalILi96ELi8ELi8EEvPfPK15HIP_vector_typeIfLj2EEiiiiS1_IjLj3EES5_S5_S5_.num_named_barrier, 0
	.set _ZL33flash_attn_stream_k_fixup_generalILi96ELi8ELi8EEvPfPK15HIP_vector_typeIfLj2EEiiiiS1_IjLj3EES5_S5_S5_.private_seg_size, 0
	.set _ZL33flash_attn_stream_k_fixup_generalILi96ELi8ELi8EEvPfPK15HIP_vector_typeIfLj2EEiiiiS1_IjLj3EES5_S5_S5_.uses_vcc, 1
	.set _ZL33flash_attn_stream_k_fixup_generalILi96ELi8ELi8EEvPfPK15HIP_vector_typeIfLj2EEiiiiS1_IjLj3EES5_S5_S5_.uses_flat_scratch, 0
	.set _ZL33flash_attn_stream_k_fixup_generalILi96ELi8ELi8EEvPfPK15HIP_vector_typeIfLj2EEiiiiS1_IjLj3EES5_S5_S5_.has_dyn_sized_stack, 0
	.set _ZL33flash_attn_stream_k_fixup_generalILi96ELi8ELi8EEvPfPK15HIP_vector_typeIfLj2EEiiiiS1_IjLj3EES5_S5_S5_.has_recursion, 0
	.set _ZL33flash_attn_stream_k_fixup_generalILi96ELi8ELi8EEvPfPK15HIP_vector_typeIfLj2EEiiiiS1_IjLj3EES5_S5_S5_.has_indirect_call, 0
	.section	.AMDGPU.csdata,"",@progbits
; Kernel info:
; codeLenInByte = 3540
; TotalNumSgprs: 46
; NumVgprs: 9
; ScratchSize: 0
; MemoryBound: 0
; FloatMode: 240
; IeeeMode: 1
; LDSByteSize: 0 bytes/workgroup (compile time only)
; SGPRBlocks: 0
; VGPRBlocks: 1
; NumSGPRsForWavesPerEU: 46
; NumVGPRsForWavesPerEU: 9
; Occupancy: 16
; WaveLimiterHint : 0
; COMPUTE_PGM_RSRC2:SCRATCH_EN: 0
; COMPUTE_PGM_RSRC2:USER_SGPR: 2
; COMPUTE_PGM_RSRC2:TRAP_HANDLER: 0
; COMPUTE_PGM_RSRC2:TGID_X_EN: 1
; COMPUTE_PGM_RSRC2:TGID_Y_EN: 1
; COMPUTE_PGM_RSRC2:TGID_Z_EN: 1
; COMPUTE_PGM_RSRC2:TIDIG_COMP_CNT: 0
	.section	.text._ZL26flash_attn_combine_resultsILi96EEvPKfPK15HIP_vector_typeIfLj2EEPfi,"axG",@progbits,_ZL26flash_attn_combine_resultsILi96EEvPKfPK15HIP_vector_typeIfLj2EEPfi,comdat
	.globl	_ZL26flash_attn_combine_resultsILi96EEvPKfPK15HIP_vector_typeIfLj2EEPfi ; -- Begin function _ZL26flash_attn_combine_resultsILi96EEvPKfPK15HIP_vector_typeIfLj2EEPfi
	.p2align	8
	.type	_ZL26flash_attn_combine_resultsILi96EEvPKfPK15HIP_vector_typeIfLj2EEPfi,@function
_ZL26flash_attn_combine_resultsILi96EEvPKfPK15HIP_vector_typeIfLj2EEPfi: ; @_ZL26flash_attn_combine_resultsILi96EEvPKfPK15HIP_vector_typeIfLj2EEPfi
; %bb.0:
	s_clause 0x2
	s_load_b64 s[2:3], s[0:1], 0x20
	s_load_b96 s[12:14], s[0:1], 0x10
	s_load_b128 s[8:11], s[0:1], 0x0
	s_lshr_b32 s0, ttmp7, 16
	v_lshlrev_b32_e32 v7, 2, v0
	s_mov_b32 s4, exec_lo
	s_wait_kmcnt 0x0
	s_mul_i32 s0, s2, s0
	s_and_b32 s2, ttmp7, 0xffff
	s_add_co_i32 s0, s0, ttmp9
	s_lshl_b32 s1, s14, 1
	s_mul_i32 s7, s0, s3
	s_delay_alu instid0(SALU_CYCLE_1) | instskip(NEXT) | instid1(SALU_CYCLE_1)
	s_add_co_i32 s7, s7, s2
	s_mul_i32 s2, s7, s14
	v_cmpx_gt_i32_e64 s1, v0
	s_cbranch_execz .LBB4_3
; %bb.1:
	s_ashr_i32 s3, s2, 31
	v_dual_mov_b32 v4, v0 :: v_dual_add_nc_u32 v3, 0, v7
	s_lshl_b64 s[16:17], s[2:3], 3
	s_mov_b32 s3, 0
	s_add_nc_u64 s[10:11], s[10:11], s[16:17]
	s_delay_alu instid0(SALU_CYCLE_1)
	v_add_co_u32 v1, s0, s10, v7
	s_wait_alu 0xf1ff
	v_add_co_ci_u32_e64 v2, null, s11, 0, s0
.LBB4_2:                                ; =>This Inner Loop Header: Depth=1
	global_load_b32 v5, v[1:2], off
	v_add_nc_u32_e32 v4, 0x60, v4
	v_add_co_u32 v1, vcc_lo, 0x180, v1
	s_wait_alu 0xfffd
	v_add_co_ci_u32_e64 v2, null, 0, v2, vcc_lo
	s_delay_alu instid0(VALU_DEP_3)
	v_cmp_le_i32_e64 s0, s1, v4
	s_or_b32 s3, s0, s3
	s_wait_loadcnt 0x0
	ds_store_b32 v3, v5
	v_add_nc_u32_e32 v3, 0x180, v3
	s_and_not1_b32 exec_lo, exec_lo, s3
	s_cbranch_execnz .LBB4_2
.LBB4_3:
	s_or_b32 exec_lo, exec_lo, s4
	v_mov_b32_e32 v1, 0
	s_wait_dscnt 0x0
	s_barrier_signal -1
	s_barrier_wait -1
	global_inv scope:SCOPE_SE
	ds_load_b32 v8, v1
	s_cmp_lt_i32 s14, 2
	s_cbranch_scc1 .LBB4_11
; %bb.4:
	s_add_co_i32 s1, s14, -2
	s_add_co_i32 s0, s14, -1
	s_wait_alu 0xfffe
	s_cmp_lt_u32 s1, 7
	s_cbranch_scc1 .LBB4_8
; %bb.5:
	s_mov_b32 s3, 0
	s_add_co_i32 s1, 0, 8
	s_and_b32 s4, s0, -8
.LBB4_6:                                ; =>This Inner Loop Header: Depth=1
	s_wait_alu 0xfffe
	v_mov_b32_e32 v9, s1
	s_mov_b32 s5, s3
	s_add_co_i32 s3, s3, 8
	s_add_co_i32 s1, s1, 64
	s_cmp_eq_u32 s4, s3
	ds_load_2addr_b32 v[1:2], v9 offset1:2
	ds_load_2addr_b32 v[3:4], v9 offset0:4 offset1:6
	ds_load_2addr_b32 v[5:6], v9 offset0:8 offset1:10
	;; [unrolled: 1-line block ×3, first 2 shown]
	s_wait_dscnt 0x3
	v_max3_num_f32 v1, v8, v1, v2
	s_wait_dscnt 0x2
	s_delay_alu instid0(VALU_DEP_1) | instskip(SKIP_1) | instid1(VALU_DEP_1)
	v_max3_num_f32 v1, v1, v3, v4
	s_wait_dscnt 0x1
	v_max3_num_f32 v1, v1, v5, v6
	s_wait_dscnt 0x0
	s_delay_alu instid0(VALU_DEP_1)
	v_max3_num_f32 v8, v1, v9, v10
	s_cbranch_scc0 .LBB4_6
; %bb.7:
	s_add_co_i32 s1, s5, 9
	s_and_b32 s0, s0, 7
	s_wait_alu 0xfffe
	s_cmp_eq_u32 s0, 0
	s_cbranch_scc0 .LBB4_9
	s_branch .LBB4_11
.LBB4_8:
	s_mov_b32 s1, 1
	s_and_b32 s0, s0, 7
	s_wait_alu 0xfffe
	s_cmp_eq_u32 s0, 0
	s_cbranch_scc1 .LBB4_11
.LBB4_9:
	s_lshl_b32 s1, s1, 3
	s_wait_alu 0xfffe
	s_add_co_i32 s1, s1, 0
.LBB4_10:                               ; =>This Inner Loop Header: Depth=1
	s_wait_dscnt 0x0
	s_wait_alu 0xfffe
	s_delay_alu instid0(VALU_DEP_1)
	v_dual_mov_b32 v1, s1 :: v_dual_max_num_f32 v2, v8, v8
	s_add_co_i32 s0, s0, -1
	s_add_co_i32 s1, s1, 8
	s_wait_alu 0xfffe
	s_cmp_lg_u32 s0, 0
	ds_load_b32 v1, v1
	s_wait_dscnt 0x0
	v_max_num_f32_e32 v1, v1, v1
	s_delay_alu instid0(VALU_DEP_1)
	v_max_num_f32_e32 v8, v2, v1
	s_cbranch_scc1 .LBB4_10
.LBB4_11:
	s_cmp_lt_i32 s14, 1
	s_cbranch_scc1 .LBB4_16
; %bb.12:
	s_mul_i32 s10, s2, 0x60
	s_wait_alu 0xfffe
	s_ashr_i32 s11, s10, 31
	s_cmp_lt_u32 s14, 8
	s_cbranch_scc1 .LBB4_17
; %bb.13:
	s_wait_alu 0xfffe
	s_lshl_b64 s[0:1], s[10:11], 2
	v_dual_mov_b32 v2, 0 :: v_dual_add_nc_u32 v5, 0x2a0, v0
	s_wait_alu 0xfffe
	s_add_nc_u64 s[16:17], s[8:9], s[0:1]
	v_dual_mov_b32 v9, 0 :: v_dual_mov_b32 v10, 0
	v_add_co_u32 v1, s0, s16, v7
	s_wait_alu 0xf1ff
	v_add_co_ci_u32_e64 v4, null, s17, 0, s0
	s_and_b32 s15, s14, 0x7ffffff8
	v_add_co_u32 v3, vcc_lo, 0x180, v1
	s_wait_alu 0xfffd
	v_add_co_ci_u32_e64 v4, null, 0, v4, vcc_lo
	s_mov_b32 s18, 0
	s_mov_b32 s19, 0
.LBB4_14:                               ; =>This Inner Loop Header: Depth=1
	v_dual_mov_b32 v6, v2 :: v_dual_add_nc_u32 v1, 0xfffffd60, v5
	global_load_b32 v27, v[3:4], off
	v_mov_b32_e32 v23, s19
	s_add_co_i32 s18, s18, 8
	v_lshlrev_b64_e32 v[11:12], 2, v[1:2]
	v_lshlrev_b64_e32 v[13:14], 2, v[5:6]
	v_add_nc_u32_e32 v1, 0xfffffe20, v5
	s_add_co_i32 s19, s19, 64
	s_wait_alu 0xfffe
	s_cmp_eq_u32 s15, s18
	v_add_co_u32 v11, vcc_lo, s16, v11
	s_wait_alu 0xfffd
	v_add_co_ci_u32_e64 v12, null, s17, v12, vcc_lo
	v_lshlrev_b64_e32 v[15:16], 2, v[1:2]
	v_add_nc_u32_e32 v1, 0xfffffe80, v5
	global_load_b32 v6, v[11:12], off
	v_lshlrev_b64_e32 v[17:18], 2, v[1:2]
	v_add_co_u32 v11, vcc_lo, s16, v15
	s_wait_alu 0xfffd
	v_add_co_ci_u32_e64 v12, null, s17, v16, vcc_lo
	v_add_nc_u32_e32 v1, 0xfffffee0, v5
	s_delay_alu instid0(VALU_DEP_4)
	v_add_co_u32 v17, vcc_lo, s16, v17
	s_wait_alu 0xfffd
	v_add_co_ci_u32_e64 v18, null, s17, v18, vcc_lo
	global_load_b32 v28, v[11:12], off
	v_lshlrev_b64_e32 v[15:16], 2, v[1:2]
	v_add_nc_u32_e32 v1, 0xffffff40, v5
	global_load_b32 v29, v[17:18], off
	v_lshlrev_b64_e32 v[11:12], 2, v[1:2]
	v_add_co_u32 v15, vcc_lo, s16, v15
	s_wait_alu 0xfffd
	v_add_co_ci_u32_e64 v16, null, s17, v16, vcc_lo
	v_add_nc_u32_e32 v1, 0xffffffa0, v5
	s_delay_alu instid0(VALU_DEP_4) | instskip(SKIP_2) | instid1(VALU_DEP_3)
	v_add_co_u32 v11, vcc_lo, s16, v11
	s_wait_alu 0xfffd
	v_add_co_ci_u32_e64 v12, null, s17, v12, vcc_lo
	v_lshlrev_b64_e32 v[17:18], 2, v[1:2]
	s_clause 0x1
	global_load_b32 v1, v[15:16], off
	global_load_b32 v30, v[11:12], off
	v_add_nc_u32_e32 v5, 0x300, v5
	v_add_co_u32 v11, vcc_lo, s16, v17
	s_wait_alu 0xfffd
	v_add_co_ci_u32_e64 v12, null, s17, v18, vcc_lo
	v_add_co_u32 v13, vcc_lo, s16, v13
	s_wait_alu 0xfffd
	v_add_co_ci_u32_e64 v14, null, s17, v14, vcc_lo
	s_clause 0x1
	global_load_b32 v31, v[11:12], off
	global_load_b32 v32, v[13:14], off
	ds_load_2addr_b64 v[11:14], v23 offset1:1
	ds_load_2addr_b64 v[15:18], v23 offset0:2 offset1:3
	ds_load_2addr_b64 v[19:22], v23 offset0:4 offset1:5
	;; [unrolled: 1-line block ×3, first 2 shown]
	s_wait_dscnt 0x2
	v_sub_f32_e32 v17, v17, v8
	v_sub_f32_e32 v11, v11, v8
	s_wait_dscnt 0x0
	v_sub_f32_e32 v25, v25, v8
	s_delay_alu instid0(VALU_DEP_3) | instskip(NEXT) | instid1(VALU_DEP_2)
	v_dual_sub_f32 v15, v15, v8 :: v_dual_mul_f32 v36, 0x3fb8aa3b, v17
	v_dual_mul_f32 v33, 0x3fb8aa3b, v11 :: v_dual_mul_f32 v40, 0x3fb8aa3b, v25
	v_cmp_ngt_f32_e64 s6, 0xc2ce8ed0, v11
	s_delay_alu instid0(VALU_DEP_3) | instskip(NEXT) | instid1(VALU_DEP_4)
	v_cmp_ngt_f32_e64 s0, 0xc2ce8ed0, v15
	v_xor_b32_e32 v47, 0x80000000, v36
	s_delay_alu instid0(VALU_DEP_4)
	v_xor_b32_e32 v41, 0x80000000, v33
	v_xor_b32_e32 v55, 0x80000000, v40
	v_rndne_f32_e32 v56, v40
	v_rndne_f32_e32 v42, v33
	;; [unrolled: 1-line block ×3, first 2 shown]
	v_fmac_f32_e32 v41, 0x3fb8aa3b, v11
	s_delay_alu instid0(VALU_DEP_4) | instskip(NEXT) | instid1(VALU_DEP_4)
	v_dual_fmac_f32 v55, 0x3fb8aa3b, v25 :: v_dual_sub_f32 v40, v40, v56
	v_sub_f32_e32 v33, v33, v42
	v_cvt_i32_f32_e32 v42, v42
	s_delay_alu instid0(VALU_DEP_4) | instskip(NEXT) | instid1(VALU_DEP_4)
	v_fmac_f32_e32 v41, 0x32a5705f, v11
	v_fmac_f32_e32 v55, 0x32a5705f, v25
	v_sub_f32_e32 v21, v21, v8
	v_dual_fmac_f32 v47, 0x3fb8aa3b, v17 :: v_dual_sub_f32 v36, v36, v48
	s_delay_alu instid0(VALU_DEP_3) | instskip(NEXT) | instid1(VALU_DEP_3)
	v_dual_add_f32 v33, v33, v41 :: v_dual_add_f32 v40, v40, v55
	v_dual_sub_f32 v13, v13, v8 :: v_dual_mul_f32 v38, 0x3fb8aa3b, v21
	s_delay_alu instid0(VALU_DEP_3) | instskip(NEXT) | instid1(VALU_DEP_3)
	v_fmac_f32_e32 v47, 0x32a5705f, v17
	v_exp_f32_e32 v33, v33
	v_cvt_i32_f32_e32 v48, v48
	s_delay_alu instid0(VALU_DEP_3)
	v_mul_f32_e32 v34, 0x3fb8aa3b, v13
	v_cmp_ngt_f32_e32 vcc_lo, 0xc2ce8ed0, v13
	v_add_f32_e32 v36, v36, v47
	v_xor_b32_e32 v51, 0x80000000, v38
	v_cmp_ngt_f32_e64 s1, 0xc2ce8ed0, v17
	v_xor_b32_e32 v43, 0x80000000, v34
	v_rndne_f32_e32 v44, v34
	v_exp_f32_e32 v36, v36
	v_ldexp_f32 v33, v33, v42
	v_rndne_f32_e32 v52, v38
	s_delay_alu instid0(VALU_DEP_3)
	v_dual_fmac_f32 v43, 0x3fb8aa3b, v13 :: v_dual_sub_f32 v34, v34, v44
	v_cvt_i32_f32_e32 v44, v44
	s_wait_alu 0xf1ff
	v_cndmask_b32_e64 v33, 0, v33, s6
	v_fmac_f32_e32 v51, 0x3fb8aa3b, v21
	v_dual_fmac_f32 v43, 0x32a5705f, v13 :: v_dual_sub_f32 v38, v38, v52
	s_delay_alu instid0(TRANS32_DEP_1) | instskip(SKIP_1) | instid1(VALU_DEP_3)
	v_ldexp_f32 v36, v36, v48
	v_cvt_i32_f32_e32 v52, v52
	v_dual_fmac_f32 v51, 0x32a5705f, v21 :: v_dual_add_f32 v34, v34, v43
	v_sub_f32_e32 v19, v19, v8
	s_delay_alu instid0(VALU_DEP_4) | instskip(SKIP_1) | instid1(VALU_DEP_4)
	v_cndmask_b32_e64 v36, 0, v36, s1
	v_cmp_ngt_f32_e64 s3, 0xc2ce8ed0, v21
	v_add_f32_e32 v38, v38, v51
	v_exp_f32_e32 v34, v34
	v_cmp_ngt_f32_e64 s2, 0xc2ce8ed0, v19
	v_exp_f32_e32 v40, v40
	v_cvt_i32_f32_e32 v56, v56
	v_exp_f32_e32 v38, v38
	s_delay_alu instid0(TRANS32_DEP_3)
	v_ldexp_f32 v34, v34, v44
	v_sub_f32_e32 v23, v23, v8
	s_delay_alu instid0(TRANS32_DEP_2) | instid1(VALU_DEP_3)
	v_ldexp_f32 v40, v40, v56
	s_delay_alu instid0(TRANS32_DEP_1)
	v_ldexp_f32 v38, v38, v52
	s_wait_alu 0xfffd
	v_cndmask_b32_e32 v34, 0, v34, vcc_lo
	v_cmp_nlt_f32_e32 vcc_lo, 0x42b17218, v11
	v_cmp_ngt_f32_e64 s4, 0xc2ce8ed0, v23
	s_wait_alu 0xf1ff
	v_cndmask_b32_e64 v38, 0, v38, s3
	s_wait_alu 0xfffd
	v_cndmask_b32_e32 v11, 0x7f800000, v33, vcc_lo
	v_cmp_nlt_f32_e32 vcc_lo, 0x42b17218, v13
	s_delay_alu instid0(VALU_DEP_2) | instskip(SKIP_4) | instid1(VALU_DEP_2)
	v_fmac_f32_e32 v9, v11, v12
	s_wait_alu 0xfffd
	v_cndmask_b32_e32 v13, 0x7f800000, v34, vcc_lo
	v_cmp_nlt_f32_e32 vcc_lo, 0x42b17218, v15
	s_wait_loadcnt 0x6
	v_dual_fmac_f32 v9, v13, v14 :: v_dual_fmac_f32 v10, v6, v11
	v_cmp_ngt_f32_e64 s5, 0xc2ce8ed0, v25
	s_delay_alu instid0(VALU_DEP_2) | instskip(SKIP_1) | instid1(VALU_DEP_2)
	v_dual_fmac_f32 v10, v27, v13 :: v_dual_mul_f32 v35, 0x3fb8aa3b, v15
	s_wait_alu 0xf1ff
	v_cndmask_b32_e64 v40, 0, v40, s5
	s_delay_alu instid0(VALU_DEP_2) | instskip(SKIP_1) | instid1(VALU_DEP_2)
	v_xor_b32_e32 v45, 0x80000000, v35
	v_rndne_f32_e32 v46, v35
	v_fmac_f32_e32 v45, 0x3fb8aa3b, v15
	s_delay_alu instid0(VALU_DEP_2) | instskip(SKIP_1) | instid1(VALU_DEP_3)
	v_sub_f32_e32 v35, v35, v46
	v_cvt_i32_f32_e32 v46, v46
	v_fmac_f32_e32 v45, 0x32a5705f, v15
	s_delay_alu instid0(VALU_DEP_1) | instskip(NEXT) | instid1(VALU_DEP_1)
	v_add_f32_e32 v35, v35, v45
	v_exp_f32_e32 v35, v35
	s_delay_alu instid0(TRANS32_DEP_1) | instskip(NEXT) | instid1(VALU_DEP_1)
	v_ldexp_f32 v35, v35, v46
	v_cndmask_b32_e64 v35, 0, v35, s0
	v_cmp_nlt_f32_e64 s0, 0x42b17218, v25
	s_wait_alu 0xfffd
	s_delay_alu instid0(VALU_DEP_2) | instskip(SKIP_3) | instid1(VALU_DEP_2)
	v_cndmask_b32_e32 v6, 0x7f800000, v35, vcc_lo
	v_cmp_nlt_f32_e32 vcc_lo, 0x42b17218, v17
	s_wait_loadcnt 0x5
	s_wait_alu 0xfffd
	v_dual_fmac_f32 v10, v28, v6 :: v_dual_cndmask_b32 v11, 0x7f800000, v36
	v_cmp_nlt_f32_e32 vcc_lo, 0x42b17218, v19
	s_wait_loadcnt 0x4
	s_delay_alu instid0(VALU_DEP_2) | instskip(SKIP_1) | instid1(VALU_DEP_2)
	v_dual_fmac_f32 v9, v6, v16 :: v_dual_fmac_f32 v10, v29, v11
	v_mul_f32_e32 v37, 0x3fb8aa3b, v19
	v_fmac_f32_e32 v9, v11, v18
	s_delay_alu instid0(VALU_DEP_2) | instskip(SKIP_1) | instid1(VALU_DEP_2)
	v_xor_b32_e32 v49, 0x80000000, v37
	v_rndne_f32_e32 v50, v37
	v_fmac_f32_e32 v49, 0x3fb8aa3b, v19
	s_delay_alu instid0(VALU_DEP_2) | instskip(SKIP_1) | instid1(VALU_DEP_3)
	v_sub_f32_e32 v37, v37, v50
	v_cvt_i32_f32_e32 v50, v50
	v_fmac_f32_e32 v49, 0x32a5705f, v19
	s_delay_alu instid0(VALU_DEP_1) | instskip(NEXT) | instid1(VALU_DEP_1)
	v_add_f32_e32 v37, v37, v49
	v_exp_f32_e32 v37, v37
	s_delay_alu instid0(TRANS32_DEP_1) | instskip(NEXT) | instid1(VALU_DEP_1)
	v_ldexp_f32 v37, v37, v50
	v_cndmask_b32_e64 v37, 0, v37, s2
	s_wait_alu 0xfffd
	s_delay_alu instid0(VALU_DEP_1) | instskip(SKIP_2) | instid1(VALU_DEP_2)
	v_cndmask_b32_e32 v6, 0x7f800000, v37, vcc_lo
	v_cmp_nlt_f32_e32 vcc_lo, 0x42b17218, v21
	s_wait_loadcnt 0x3
	v_fmac_f32_e32 v10, v1, v6
	s_wait_alu 0xfffd
	v_cndmask_b32_e32 v11, 0x7f800000, v38, vcc_lo
	v_fmac_f32_e32 v9, v6, v20
	v_cmp_nlt_f32_e32 vcc_lo, 0x42b17218, v23
	s_wait_alu 0xf1ff
	v_cndmask_b32_e64 v6, 0x7f800000, v40, s0
	s_wait_loadcnt 0x2
	v_fmac_f32_e32 v10, v30, v11
	v_mul_f32_e32 v39, 0x3fb8aa3b, v23
	v_fmac_f32_e32 v9, v11, v22
	s_delay_alu instid0(VALU_DEP_2) | instskip(SKIP_1) | instid1(VALU_DEP_2)
	v_xor_b32_e32 v53, 0x80000000, v39
	v_rndne_f32_e32 v54, v39
	v_fmac_f32_e32 v53, 0x3fb8aa3b, v23
	s_delay_alu instid0(VALU_DEP_2) | instskip(SKIP_1) | instid1(VALU_DEP_3)
	v_sub_f32_e32 v39, v39, v54
	v_cvt_i32_f32_e32 v54, v54
	v_fmac_f32_e32 v53, 0x32a5705f, v23
	s_delay_alu instid0(VALU_DEP_1) | instskip(NEXT) | instid1(VALU_DEP_1)
	v_add_f32_e32 v39, v39, v53
	v_exp_f32_e32 v39, v39
	s_delay_alu instid0(TRANS32_DEP_1) | instskip(NEXT) | instid1(VALU_DEP_1)
	v_ldexp_f32 v39, v39, v54
	v_cndmask_b32_e64 v39, 0, v39, s4
	s_wait_alu 0xfffd
	s_delay_alu instid0(VALU_DEP_1)
	v_cndmask_b32_e32 v1, 0x7f800000, v39, vcc_lo
	v_add_co_u32 v3, vcc_lo, 0xc00, v3
	s_wait_alu 0xfffd
	v_add_co_ci_u32_e64 v4, null, 0, v4, vcc_lo
	s_wait_loadcnt 0x1
	v_dual_fmac_f32 v9, v1, v24 :: v_dual_fmac_f32 v10, v31, v1
	s_delay_alu instid0(VALU_DEP_1) | instskip(SKIP_1) | instid1(VALU_DEP_2)
	v_fmac_f32_e32 v9, v6, v26
	s_wait_loadcnt 0x0
	v_fmac_f32_e32 v10, v32, v6
	s_cbranch_scc0 .LBB4_14
; %bb.15:
	s_and_b32 s1, s14, 7
	s_wait_alu 0xfffe
	s_cmp_eq_u32 s1, 0
	s_cbranch_scc0 .LBB4_18
	s_branch .LBB4_20
.LBB4_16:
	v_mov_b32_e32 v0, 0x7fc00000
	s_branch .LBB4_21
.LBB4_17:
	v_dual_mov_b32 v10, 0 :: v_dual_mov_b32 v9, 0
	s_mov_b32 s15, 0
	s_and_b32 s1, s14, 7
	s_wait_alu 0xfffe
	s_cmp_eq_u32 s1, 0
	s_cbranch_scc1 .LBB4_20
.LBB4_18:
	v_mad_co_u64_u32 v[0:1], null, 0x60, s15, v[0:1]
	v_mov_b32_e32 v1, 0
	s_lshl_b64 s[2:3], s[10:11], 2
	s_lshl_b32 s0, s15, 3
	s_wait_alu 0xfffe
	s_add_nc_u64 s[2:3], s[8:9], s[2:3]
	s_delay_alu instid0(VALU_DEP_2) | instskip(SKIP_1) | instid1(VALU_DEP_1)
	v_lshlrev_b64_e32 v[0:1], 2, v[0:1]
	s_wait_alu 0xfffe
	v_add_co_u32 v0, vcc_lo, s2, v0
	s_wait_alu 0xfffd
	s_delay_alu instid0(VALU_DEP_2)
	v_add_co_ci_u32_e64 v1, null, s3, v1, vcc_lo
	s_add_co_i32 s2, s0, 0
.LBB4_19:                               ; =>This Inner Loop Header: Depth=1
	global_load_b32 v4, v[0:1], off
	s_wait_alu 0xfffe
	v_mov_b32_e32 v2, s2
	s_add_co_i32 s1, s1, -1
	s_add_co_i32 s2, s2, 8
	s_wait_alu 0xfffe
	s_cmp_lg_u32 s1, 0
	ds_load_b64 v[2:3], v2
	s_wait_dscnt 0x0
	v_sub_f32_e32 v2, v2, v8
	s_delay_alu instid0(VALU_DEP_1) | instskip(NEXT) | instid1(VALU_DEP_1)
	v_mul_f32_e32 v5, 0x3fb8aa3b, v2
	v_xor_b32_e32 v6, 0x80000000, v5
	v_rndne_f32_e32 v11, v5
	s_delay_alu instid0(VALU_DEP_1) | instskip(NEXT) | instid1(VALU_DEP_1)
	v_dual_fmac_f32 v6, 0x3fb8aa3b, v2 :: v_dual_sub_f32 v5, v5, v11
	v_fmac_f32_e32 v6, 0x32a5705f, v2
	s_delay_alu instid0(VALU_DEP_1) | instskip(SKIP_3) | instid1(VALU_DEP_4)
	v_add_f32_e32 v5, v5, v6
	v_cvt_i32_f32_e32 v6, v11
	v_cmp_ngt_f32_e32 vcc_lo, 0xc2ce8ed0, v2
	v_cmp_nlt_f32_e64 s0, 0x42b17218, v2
	v_exp_f32_e32 v5, v5
	s_delay_alu instid0(TRANS32_DEP_1) | instskip(SKIP_1) | instid1(VALU_DEP_1)
	v_ldexp_f32 v5, v5, v6
	s_wait_alu 0xfffd
	v_cndmask_b32_e32 v5, 0, v5, vcc_lo
	v_add_co_u32 v0, vcc_lo, 0x180, v0
	s_wait_alu 0xfffd
	v_add_co_ci_u32_e64 v1, null, 0, v1, vcc_lo
	s_wait_alu 0xf1ff
	v_cndmask_b32_e64 v2, 0x7f800000, v5, s0
	s_wait_loadcnt 0x0
	s_delay_alu instid0(VALU_DEP_1)
	v_dual_fmac_f32 v9, v2, v3 :: v_dual_fmac_f32 v10, v4, v2
	s_cbranch_scc1 .LBB4_19
.LBB4_20:
	s_delay_alu instid0(VALU_DEP_1) | instskip(NEXT) | instid1(VALU_DEP_1)
	v_div_scale_f32 v0, null, v9, v9, v10
	v_rcp_f32_e32 v1, v0
	s_delay_alu instid0(TRANS32_DEP_1) | instskip(NEXT) | instid1(VALU_DEP_1)
	v_fma_f32 v2, -v0, v1, 1.0
	v_fmac_f32_e32 v1, v2, v1
	v_div_scale_f32 v2, vcc_lo, v10, v9, v10
	s_delay_alu instid0(VALU_DEP_1) | instskip(NEXT) | instid1(VALU_DEP_1)
	v_mul_f32_e32 v3, v2, v1
	v_fma_f32 v4, -v0, v3, v2
	s_delay_alu instid0(VALU_DEP_1) | instskip(NEXT) | instid1(VALU_DEP_1)
	v_fmac_f32_e32 v3, v4, v1
	v_fma_f32 v0, -v0, v3, v2
	s_wait_alu 0xfffd
	s_delay_alu instid0(VALU_DEP_1) | instskip(NEXT) | instid1(VALU_DEP_1)
	v_div_fmas_f32 v0, v0, v1, v3
	v_div_fixup_f32 v0, v0, v9, v10
.LBB4_21:
	s_mul_i32 s0, s7, 0x60
	s_wait_alu 0xfffe
	s_ashr_i32 s1, s0, 31
	s_wait_alu 0xfffe
	s_lshl_b64 s[0:1], s[0:1], 2
	s_wait_alu 0xfffe
	s_add_nc_u64 s[0:1], s[12:13], s[0:1]
	global_store_b32 v7, v0, s[0:1]
	s_endpgm
	.section	.rodata,"a",@progbits
	.p2align	6, 0x0
	.amdhsa_kernel _ZL26flash_attn_combine_resultsILi96EEvPKfPK15HIP_vector_typeIfLj2EEPfi
		.amdhsa_group_segment_fixed_size 0
		.amdhsa_private_segment_fixed_size 0
		.amdhsa_kernarg_size 288
		.amdhsa_user_sgpr_count 2
		.amdhsa_user_sgpr_dispatch_ptr 0
		.amdhsa_user_sgpr_queue_ptr 0
		.amdhsa_user_sgpr_kernarg_segment_ptr 1
		.amdhsa_user_sgpr_dispatch_id 0
		.amdhsa_user_sgpr_private_segment_size 0
		.amdhsa_wavefront_size32 1
		.amdhsa_uses_dynamic_stack 0
		.amdhsa_enable_private_segment 0
		.amdhsa_system_sgpr_workgroup_id_x 1
		.amdhsa_system_sgpr_workgroup_id_y 1
		.amdhsa_system_sgpr_workgroup_id_z 1
		.amdhsa_system_sgpr_workgroup_info 0
		.amdhsa_system_vgpr_workitem_id 0
		.amdhsa_next_free_vgpr 57
		.amdhsa_next_free_sgpr 20
		.amdhsa_reserve_vcc 1
		.amdhsa_float_round_mode_32 0
		.amdhsa_float_round_mode_16_64 0
		.amdhsa_float_denorm_mode_32 3
		.amdhsa_float_denorm_mode_16_64 3
		.amdhsa_fp16_overflow 0
		.amdhsa_workgroup_processor_mode 1
		.amdhsa_memory_ordered 1
		.amdhsa_forward_progress 1
		.amdhsa_inst_pref_size 21
		.amdhsa_round_robin_scheduling 0
		.amdhsa_exception_fp_ieee_invalid_op 0
		.amdhsa_exception_fp_denorm_src 0
		.amdhsa_exception_fp_ieee_div_zero 0
		.amdhsa_exception_fp_ieee_overflow 0
		.amdhsa_exception_fp_ieee_underflow 0
		.amdhsa_exception_fp_ieee_inexact 0
		.amdhsa_exception_int_div_zero 0
	.end_amdhsa_kernel
	.section	.text._ZL26flash_attn_combine_resultsILi96EEvPKfPK15HIP_vector_typeIfLj2EEPfi,"axG",@progbits,_ZL26flash_attn_combine_resultsILi96EEvPKfPK15HIP_vector_typeIfLj2EEPfi,comdat
.Lfunc_end4:
	.size	_ZL26flash_attn_combine_resultsILi96EEvPKfPK15HIP_vector_typeIfLj2EEPfi, .Lfunc_end4-_ZL26flash_attn_combine_resultsILi96EEvPKfPK15HIP_vector_typeIfLj2EEPfi
                                        ; -- End function
	.set _ZL26flash_attn_combine_resultsILi96EEvPKfPK15HIP_vector_typeIfLj2EEPfi.num_vgpr, 57
	.set _ZL26flash_attn_combine_resultsILi96EEvPKfPK15HIP_vector_typeIfLj2EEPfi.num_agpr, 0
	.set _ZL26flash_attn_combine_resultsILi96EEvPKfPK15HIP_vector_typeIfLj2EEPfi.numbered_sgpr, 20
	.set _ZL26flash_attn_combine_resultsILi96EEvPKfPK15HIP_vector_typeIfLj2EEPfi.num_named_barrier, 0
	.set _ZL26flash_attn_combine_resultsILi96EEvPKfPK15HIP_vector_typeIfLj2EEPfi.private_seg_size, 0
	.set _ZL26flash_attn_combine_resultsILi96EEvPKfPK15HIP_vector_typeIfLj2EEPfi.uses_vcc, 1
	.set _ZL26flash_attn_combine_resultsILi96EEvPKfPK15HIP_vector_typeIfLj2EEPfi.uses_flat_scratch, 0
	.set _ZL26flash_attn_combine_resultsILi96EEvPKfPK15HIP_vector_typeIfLj2EEPfi.has_dyn_sized_stack, 0
	.set _ZL26flash_attn_combine_resultsILi96EEvPKfPK15HIP_vector_typeIfLj2EEPfi.has_recursion, 0
	.set _ZL26flash_attn_combine_resultsILi96EEvPKfPK15HIP_vector_typeIfLj2EEPfi.has_indirect_call, 0
	.section	.AMDGPU.csdata,"",@progbits
; Kernel info:
; codeLenInByte = 2660
; TotalNumSgprs: 22
; NumVgprs: 57
; ScratchSize: 0
; MemoryBound: 0
; FloatMode: 240
; IeeeMode: 1
; LDSByteSize: 0 bytes/workgroup (compile time only)
; SGPRBlocks: 0
; VGPRBlocks: 7
; NumSGPRsForWavesPerEU: 22
; NumVGPRsForWavesPerEU: 57
; Occupancy: 16
; WaveLimiterHint : 0
; COMPUTE_PGM_RSRC2:SCRATCH_EN: 0
; COMPUTE_PGM_RSRC2:USER_SGPR: 2
; COMPUTE_PGM_RSRC2:TRAP_HANDLER: 0
; COMPUTE_PGM_RSRC2:TGID_X_EN: 1
; COMPUTE_PGM_RSRC2:TGID_Y_EN: 1
; COMPUTE_PGM_RSRC2:TGID_Z_EN: 1
; COMPUTE_PGM_RSRC2:TIDIG_COMP_CNT: 0
	.section	.text._ZL15flash_attn_tileILi96ELi96ELi4ELi8ELb0EEvPKcS1_S1_S1_S1_PKiPfP15HIP_vector_typeIfLj2EEffffjfiS5_IjLj3EEiiiiiiiiiiiliiliiiiil,"axG",@progbits,_ZL15flash_attn_tileILi96ELi96ELi4ELi8ELb0EEvPKcS1_S1_S1_S1_PKiPfP15HIP_vector_typeIfLj2EEffffjfiS5_IjLj3EEiiiiiiiiiiiliiliiiiil,comdat
	.globl	_ZL15flash_attn_tileILi96ELi96ELi4ELi8ELb0EEvPKcS1_S1_S1_S1_PKiPfP15HIP_vector_typeIfLj2EEffffjfiS5_IjLj3EEiiiiiiiiiiiliiliiiiil ; -- Begin function _ZL15flash_attn_tileILi96ELi96ELi4ELi8ELb0EEvPKcS1_S1_S1_S1_PKiPfP15HIP_vector_typeIfLj2EEffffjfiS5_IjLj3EEiiiiiiiiiiiliiliiiiil
	.p2align	8
	.type	_ZL15flash_attn_tileILi96ELi96ELi4ELi8ELb0EEvPKcS1_S1_S1_S1_PKiPfP15HIP_vector_typeIfLj2EEffffjfiS5_IjLj3EEiiiiiiiiiiiliiliiiiil,@function
_ZL15flash_attn_tileILi96ELi96ELi4ELi8ELb0EEvPKcS1_S1_S1_S1_PKiPfP15HIP_vector_typeIfLj2EEffffjfiS5_IjLj3EEiiiiiiiiiiiliiliiiiil: ; @_ZL15flash_attn_tileILi96ELi96ELi4ELi8ELb0EEvPKcS1_S1_S1_S1_PKiPfP15HIP_vector_typeIfLj2EEffffjfiS5_IjLj3EEiiiiiiiiiiiliiliiiiil
; %bb.0:
	s_clause 0x1
	s_load_b128 s[24:27], s[0:1], 0x5c
	s_load_b64 s[30:31], s[0:1], 0x80
	s_lshr_b32 s5, ttmp7, 16
	s_mov_b32 s37, 0
	s_mov_b64 s[34:35], 0
	s_wait_kmcnt 0x0
	s_ashr_i32 s2, s27, 31
	s_delay_alu instid0(SALU_CYCLE_1) | instskip(NEXT) | instid1(SALU_CYCLE_1)
	s_lshr_b32 s2, s2, 29
	s_add_co_i32 s2, s27, s2
	s_delay_alu instid0(SALU_CYCLE_1) | instskip(NEXT) | instid1(SALU_CYCLE_1)
	s_ashr_i32 s2, s2, 3
	s_cvt_f32_u32 s3, s2
	s_sub_co_i32 s4, 0, s2
	s_delay_alu instid0(SALU_CYCLE_2) | instskip(NEXT) | instid1(TRANS32_DEP_1)
	v_rcp_iflag_f32_e32 v1, s3
	v_readfirstlane_b32 s3, v1
	s_mul_f32 s3, s3, 0x4f7ffffe
	s_wait_alu 0xfffe
	s_delay_alu instid0(SALU_CYCLE_2) | instskip(SKIP_1) | instid1(SALU_CYCLE_2)
	s_cvt_u32_f32 s3, s3
	s_wait_alu 0xfffe
	s_mul_i32 s4, s4, s3
	s_delay_alu instid0(SALU_CYCLE_1) | instskip(NEXT) | instid1(SALU_CYCLE_1)
	s_mul_hi_u32 s4, s3, s4
	s_add_co_i32 s3, s3, s4
	s_wait_alu 0xfffe
	s_mul_hi_u32 s3, s5, s3
	s_wait_alu 0xfffe
	s_mul_i32 s4, s3, s2
	s_add_co_i32 s6, s3, 1
	s_sub_co_i32 s4, s5, s4
	s_delay_alu instid0(SALU_CYCLE_1)
	s_sub_co_i32 s7, s4, s2
	s_cmp_ge_u32 s4, s2
	s_cselect_b32 s3, s6, s3
	s_cselect_b32 s4, s7, s4
	s_wait_alu 0xfffe
	s_add_co_i32 s6, s3, 1
	s_cmp_ge_u32 s4, s2
	s_cselect_b32 s28, s6, s3
	s_abs_i32 s2, s31
	s_abs_i32 s6, s27
	s_wait_alu 0xfffe
	s_cvt_f32_u32 s3, s2
	s_sub_co_i32 s4, 0, s2
	s_wait_alu 0xfffe
	s_delay_alu instid0(SALU_CYCLE_1) | instskip(NEXT) | instid1(TRANS32_DEP_1)
	v_rcp_iflag_f32_e32 v1, s3
	v_readfirstlane_b32 s3, v1
	s_mul_f32 s3, s3, 0x4f7ffffe
	s_wait_alu 0xfffe
	s_delay_alu instid0(SALU_CYCLE_2) | instskip(SKIP_1) | instid1(SALU_CYCLE_2)
	s_cvt_u32_f32 s3, s3
	s_wait_alu 0xfffe
	s_mul_i32 s4, s4, s3
	s_delay_alu instid0(SALU_CYCLE_1) | instskip(NEXT) | instid1(SALU_CYCLE_1)
	s_mul_hi_u32 s4, s3, s4
	s_add_co_i32 s3, s3, s4
	s_lshl_b32 s4, s5, 3
	s_wait_alu 0xfffe
	s_mul_hi_u32 s3, s6, s3
	s_xor_b32 s5, s27, s31
	s_wait_alu 0xfffe
	s_mul_i32 s7, s3, s2
	s_ashr_i32 s5, s5, 31
	s_sub_co_i32 s6, s6, s7
	s_add_co_i32 s7, s3, 1
	s_sub_co_i32 s8, s6, s2
	s_cmp_ge_u32 s6, s2
	s_cselect_b32 s3, s7, s3
	s_cselect_b32 s6, s8, s6
	s_wait_alu 0xfffe
	s_add_co_i32 s7, s3, 1
	s_cmp_ge_u32 s6, s2
	s_load_b512 s[8:23], s[0:1], 0x0
	s_cselect_b32 s2, s7, s3
	s_wait_alu 0xfffe
	s_xor_b32 s2, s2, s5
	s_wait_alu 0xfffe
	s_sub_co_i32 s38, s2, s5
	s_load_b64 s[2:3], s[0:1], 0xb8
	s_abs_i32 s33, s38
	s_delay_alu instid0(SALU_CYCLE_1) | instskip(NEXT) | instid1(SALU_CYCLE_3)
	s_cvt_f32_u32 s5, s33
	v_rcp_iflag_f32_e32 v1, s5
	s_mul_i32 s5, s28, s27
	s_wait_kmcnt 0x0
	s_cmp_eq_u64 s[14:15], 0
	s_delay_alu instid0(TRANS32_DEP_1)
	v_readfirstlane_b32 s7, v1
	s_cbranch_scc1 .LBB5_2
; %bb.1:
	s_abs_i32 s2, s2
	s_load_b64 s[34:35], s[0:1], 0xc8
	s_cvt_f32_u32 s6, s2
	s_sub_co_i32 s29, 0, s2
	s_delay_alu instid0(SALU_CYCLE_2) | instskip(NEXT) | instid1(TRANS32_DEP_1)
	v_rcp_iflag_f32_e32 v1, s6
	v_readfirstlane_b32 s6, v1
	s_mul_f32 s6, s6, 0x4f7ffffe
	s_wait_alu 0xfffe
	s_delay_alu instid0(SALU_CYCLE_2) | instskip(SKIP_1) | instid1(SALU_CYCLE_2)
	s_cvt_u32_f32 s6, s6
	s_wait_alu 0xfffe
	s_mul_i32 s29, s29, s6
	s_delay_alu instid0(SALU_CYCLE_1) | instskip(NEXT) | instid1(SALU_CYCLE_1)
	s_mul_hi_u32 s29, s6, s29
	s_add_co_i32 s6, s6, s29
	s_wait_alu 0xfffe
	s_mul_hi_u32 s6, s28, s6
	s_wait_alu 0xfffe
	s_mul_i32 s6, s6, s2
	s_wait_alu 0xfffe
	s_sub_co_i32 s6, s28, s6
	s_wait_alu 0xfffe
	s_sub_co_i32 s29, s6, s2
	s_cmp_ge_u32 s6, s2
	s_cselect_b32 s6, s29, s6
	s_wait_alu 0xfffe
	s_sub_co_i32 s29, s6, s2
	s_cmp_ge_u32 s6, s2
	s_cselect_b32 s40, s29, s6
	s_delay_alu instid0(SALU_CYCLE_1) | instskip(SKIP_2) | instid1(SALU_CYCLE_1)
	s_ashr_i32 s41, s40, 31
	s_wait_kmcnt 0x0
	s_mul_u64 s[34:35], s[34:35], s[40:41]
	s_add_nc_u64 s[34:35], s[14:15], s[34:35]
.LBB5_2:
	v_lshrrev_b32_e32 v1, 10, v0
	v_and_b32_e32 v69, 0x3ff, v0
	s_wait_alu 0xfffe
	s_sub_co_i32 s31, s4, s5
	s_delay_alu instid0(VALU_DEP_2) | instskip(NEXT) | instid1(VALU_DEP_2)
	v_bfe_u32 v1, v1, 1, 9
	v_cmp_gt_u32_e64 s2, 24, v69
	v_lshlrev_b32_e32 v68, 2, v69
	v_lshlrev_b32_e32 v81, 3, v69
	s_delay_alu instid0(VALU_DEP_4) | instskip(NEXT) | instid1(VALU_DEP_1)
	v_lshl_add_u32 v70, ttmp9, 2, v1
	v_mul_hi_u32 v1, s24, v70
	s_delay_alu instid0(VALU_DEP_1) | instskip(NEXT) | instid1(VALU_DEP_1)
	v_add_nc_u32_e32 v1, v70, v1
	v_lshrrev_b32_e32 v2, s25, v1
	v_bfe_u32 v1, v0, 10, 10
	s_delay_alu instid0(VALU_DEP_2) | instskip(NEXT) | instid1(VALU_DEP_2)
	v_mul_lo_u32 v2, v2, s26
	v_lshlrev_b32_e32 v0, 2, v1
	s_delay_alu instid0(VALU_DEP_1) | instskip(NEXT) | instid1(VALU_DEP_3)
	v_and_b32_e32 v80, 4, v0
	v_sub_nc_u32_e32 v2, v70, v2
	s_and_saveexec_b32 s14, s2
	s_cbranch_execz .LBB5_4
; %bb.3:
	s_load_b96 s[4:6], s[0:1], 0x70
	v_or_b32_e32 v3, 2, v0
	v_or_b32_e32 v4, 3, v0
	;; [unrolled: 1-line block ×3, first 2 shown]
	v_mad_u32_u24 v20, 0x300, v1, v81
	s_delay_alu instid0(VALU_DEP_4) | instskip(NEXT) | instid1(VALU_DEP_4)
	v_and_b32_e32 v16, 6, v3
	v_and_b32_e32 v18, 7, v4
	s_delay_alu instid0(VALU_DEP_4)
	v_and_b32_e32 v14, 5, v19
	v_mad_u32_u24 v19, 0xc0, v19, v81
	s_wait_kmcnt 0x0
	s_ashr_i32 s43, s4, 31
	s_mov_b32 s42, s4
	s_mul_i32 s40, s31, s5
	s_ashr_i32 s45, s5, 31
	s_mov_b32 s44, s5
	s_lshr_b64 s[4:5], s[42:43], 2
	s_mul_i32 s24, s28, s6
	s_wait_alu 0xfffe
	v_mad_co_u64_u32 v[3:4], null, s4, v2, 0
	s_lshr_b64 s[4:5], s[44:45], 2
	s_lshr_b32 s6, s43, 2
	s_wait_alu 0xfffe
	v_mad_co_u64_u32 v[5:6], null, s4, v80, 0
	s_lshr_b32 s15, s45, 2
	v_mad_co_u64_u32 v[7:8], null, s4, v14, 0
	v_mul_lo_u32 v15, s15, v80
	v_mad_co_u64_u32 v[9:10], null, s4, v16, 0
	v_mad_co_u64_u32 v[11:12], null, s6, v2, v[4:5]
	;; [unrolled: 1-line block ×3, first 2 shown]
	v_lshlrev_b32_e32 v17, 2, v68
	v_or_b32_e32 v6, v6, v15
	v_mad_co_u64_u32 v[14:15], null, s15, v14, v[8:9]
	v_mov_b32_e32 v4, v11
	s_ashr_i32 s25, s24, 31
	v_mov_b32_e32 v8, v13
	s_ashr_i32 s41, s40, 31
	s_wait_alu 0xfffe
	s_add_nc_u64 s[8:9], s[8:9], s[24:25]
	v_lshlrev_b64_e32 v[3:4], 2, v[3:4]
	s_add_nc_u64 s[4:5], s[8:9], s[40:41]
	v_mad_co_u64_u32 v[10:11], null, s15, v16, v[10:11]
	v_mad_co_u64_u32 v[15:16], null, s15, v18, v[8:9]
	s_wait_alu 0xfffe
	s_delay_alu instid0(VALU_DEP_3) | instskip(SKIP_3) | instid1(VALU_DEP_4)
	v_add_co_u32 v3, vcc_lo, s4, v3
	v_mov_b32_e32 v8, v14
	v_add_co_ci_u32_e64 v4, null, s5, v4, vcc_lo
	v_lshlrev_b64_e32 v[5:6], 2, v[5:6]
	v_add_co_u32 v16, vcc_lo, v3, v17
	v_mov_b32_e32 v13, v15
	s_wait_alu 0xfffd
	v_add_co_ci_u32_e64 v17, null, 0, v4, vcc_lo
	v_lshlrev_b64_e32 v[3:4], 2, v[7:8]
	v_lshlrev_b64_e32 v[14:15], 2, v[9:10]
	v_add_co_u32 v5, vcc_lo, v16, v5
	v_lshlrev_b64_e32 v[11:12], 2, v[12:13]
	s_wait_alu 0xfffd
	v_add_co_ci_u32_e64 v6, null, v17, v6, vcc_lo
	v_add_co_u32 v7, vcc_lo, v16, v3
	s_wait_alu 0xfffd
	v_add_co_ci_u32_e64 v8, null, v17, v4, vcc_lo
	v_add_co_u32 v13, vcc_lo, v16, v14
	;; [unrolled: 3-line block ×3, first 2 shown]
	s_wait_alu 0xfffd
	v_add_co_ci_u32_e64 v16, null, v17, v12, vcc_lo
	s_clause 0x3
	global_load_b128 v[3:6], v[5:6], off
	global_load_b128 v[7:10], v[7:8], off
	;; [unrolled: 1-line block ×4, first 2 shown]
	s_load_b32 s4, s[0:1], 0x40
	s_wait_loadcnt 0x3
	s_wait_kmcnt 0x0
	v_fma_mixlo_f16 v3, s4, v3, 0
	v_fma_mixlo_f16 v4, s4, v4, 0
	;; [unrolled: 1-line block ×4, first 2 shown]
	s_wait_loadcnt 0x2
	v_fma_mixlo_f16 v7, s4, v7, 0
	v_fma_mixlo_f16 v8, s4, v8, 0
	s_wait_loadcnt 0x1
	v_fma_mixlo_f16 v11, s4, v11, 0
	v_fma_mixlo_f16 v12, s4, v12, 0
	;; [unrolled: 1-line block ×4, first 2 shown]
	s_wait_loadcnt 0x0
	v_fma_mixlo_f16 v15, s4, v15, 0
	v_fma_mixlo_f16 v16, s4, v16, 0
	v_lshlrev_b32_e32 v4, 16, v4
	v_and_b32_e32 v3, 0xffff, v3
	v_fma_mixlo_f16 v13, s4, v13, 0
	v_fma_mixlo_f16 v14, s4, v14, 0
	v_lshlrev_b32_e32 v6, 16, v6
	v_and_b32_e32 v5, 0xffff, v5
	v_lshlrev_b32_e32 v8, 16, v8
	v_and_b32_e32 v7, 0xffff, v7
	;; [unrolled: 2-line block ×3, first 2 shown]
	v_fma_mixlo_f16 v17, s4, v17, 0
	v_fma_mixlo_f16 v18, s4, v18, 0
	v_lshlrev_b32_e32 v10, 16, v10
	v_and_b32_e32 v9, 0xffff, v9
	v_lshlrev_b32_e32 v16, 16, v16
	v_and_b32_e32 v15, 0xffff, v15
	v_or_b32_e32 v3, v4, v3
	v_lshlrev_b32_e32 v14, 16, v14
	v_and_b32_e32 v13, 0xffff, v13
	v_or3_b32 v4, v6, v5, 0
	v_or_b32_e32 v5, v8, v7
	v_or_b32_e32 v7, v12, v11
	v_lshlrev_b32_e32 v18, 16, v18
	v_and_b32_e32 v17, 0xffff, v17
	v_or3_b32 v6, v10, v9, 0
	v_or_b32_e32 v9, v16, v15
	v_or3_b32 v3, 0, 0, v3
	v_or3_b32 v8, v14, v13, 0
	;; [unrolled: 1-line block ×6, first 2 shown]
	ds_store_b64 v20, v[3:4]
	ds_store_2addr_b64 v19, v[5:6], v[7:8] offset1:24
	ds_store_b64 v19, v[9:10] offset:384
.LBB5_4:
	s_or_b32 exec_lo, exec_lo, s14
	s_cmp_eq_u64 s[18:19], 0
	s_wait_dscnt 0x0
	s_barrier_signal -1
	s_barrier_wait -1
	global_inv scope:SCOPE_SE
	s_cbranch_scc1 .LBB5_6
; %bb.5:
	s_load_b32 s4, s[0:1], 0xd0
	s_mov_b32 s5, 0
	s_wait_kmcnt 0x0
	s_mul_i32 s4, s4, s28
	s_wait_alu 0xfffe
	s_add_co_i32 s4, s4, ttmp9
	s_wait_alu 0xfffe
	s_lshl_b64 s[4:5], s[4:5], 2
	s_wait_alu 0xfffe
	s_add_nc_u64 s[4:5], s[18:19], s[4:5]
	s_load_b32 s30, s[4:5], 0x0
.LBB5_6:
	s_and_b32 s15, ttmp7, 0xffff
	v_mbcnt_lo_u32_b32 v83, -1, 0
	s_wait_alu 0xfffe
	s_lshl_b32 s18, s15, 5
	s_wait_kmcnt 0x0
	s_cmp_lt_i32 s18, s30
	s_cbranch_scc1 .LBB5_9
; %bb.7:
	v_mbcnt_lo_u32_b32 v4, -1, 0
	v_mov_b32_e32 v85, 32
	s_delay_alu instid0(VALU_DEP_2)
	v_xor_b32_e32 v102, 16, v4
	v_xor_b32_e32 v107, 8, v4
	;; [unrolled: 1-line block ×5, first 2 shown]
	s_mov_b32 s29, 0
	s_cbranch_execz .LBB5_10
; %bb.8:
	v_dual_mov_b32 v100, 0 :: v_dual_mov_b32 v111, 0
	v_dual_mov_b32 v3, 0xfeffffff :: v_dual_mov_b32 v2, 0xfeffffff
	;; [unrolled: 1-line block ×8, first 2 shown]
	s_branch .LBB5_30
.LBB5_9:
                                        ; implicit-def: $vgpr4
                                        ; implicit-def: $vgpr85
                                        ; implicit-def: $vgpr102
                                        ; implicit-def: $vgpr107
                                        ; implicit-def: $vgpr108
                                        ; implicit-def: $vgpr109
                                        ; implicit-def: $vgpr110
	s_mov_b32 s29, 0
.LBB5_10:
	s_mul_f32 s14, s7, 0x4f7ffffe
	s_clause 0x1
	s_load_b128 s[4:7], s[0:1], 0x98
	s_load_b64 s[8:9], s[0:1], 0x8c
	s_sub_co_i32 s19, 0, s33
	v_lshrrev_b32_e32 v3, 1, v69
	s_cvt_u32_f32 s14, s14
	s_abs_i32 s36, s31
	s_mov_b32 s25, s37
	v_lshrrev_b32_e32 v4, 2, v69
	s_wait_alu 0xfffe
	s_mul_i32 s19, s19, s14
	v_lshl_add_u32 v5, v1, 4, v3
	s_mul_hi_u32 s19, s14, s19
	v_and_b32_e32 v10, 4, v68
	s_add_co_i32 s24, s14, s19
	v_lshl_add_u32 v9, v1, 3, v4
	s_wait_alu 0xfffe
	s_mul_u64 s[24:25], s[36:37], s[24:25]
	v_cmp_gt_u32_e32 vcc_lo, 32, v5
	s_wait_alu 0xfffe
	s_mul_i32 s19, s25, s33
	v_mul_u32_u24_e32 v4, 0x70, v5
	s_ashr_i32 s41, s38, 31
	s_load_b64 s[38:39], s[0:1], 0xa8
	s_wait_kmcnt 0x0
	s_ashr_i32 s24, s6, 2
	s_sub_co_i32 s6, s36, s19
	s_ashr_i32 s36, s8, 2
	s_ashr_i32 s40, s31, 31
	v_mul_lo_u32 v3, s36, v5
	v_dual_mov_b32 v84, 0 :: v_dual_lshlrev_b32 v5, 2, v10
	s_ashr_i32 s14, s3, 1
	s_xor_b32 s3, s40, s41
	s_add_co_i32 s37, s25, 1
	s_wait_alu 0xfffe
	s_sub_co_i32 s8, s6, s33
	v_dual_mov_b32 v82, 0 :: v_dual_and_b32 v11, 12, v68
	v_add3_u32 v91, v4, v5, 0x1840
	v_lshrrev_b32_e32 v5, 3, v69
	s_cmp_ge_u32 s6, s33
	v_mul_u32_u24_e32 v7, 0x70, v9
	s_cselect_b32 s19, s37, s25
	s_cselect_b32 s6, s8, s6
	s_add_co_i32 s8, s19, 1
	v_dual_mov_b32 v85, 32 :: v_dual_lshlrev_b32 v8, 2, v11
	v_mad_co_u64_u32 v[71:72], null, v2, s14, v[69:70]
	v_mul_u32_u24_e32 v2, 0xc0, v9
	v_dual_mov_b32 v86, 0 :: v_dual_add_nc_u32 v5, v5, v0
	s_wait_alu 0xfffe
	s_cmp_ge_u32 s6, s33
	v_mul_lo_u32 v6, s36, v9
	s_cselect_b32 s6, s8, s19
	v_mul_u32_u24_e32 v90, 0x300, v1
	s_wait_alu 0xfffe
	s_xor_b32 s6, s6, s3
	v_add3_u32 v92, v7, v8, 0x1800
	v_lshl_add_u32 v94, v1, 8, 0x2680
	v_mul_lo_u32 v0, s24, v9
	v_or_b32_e32 v1, v2, v8
	v_mul_lo_u32 v8, s24, v5
	s_wait_alu 0xfffe
	s_sub_co_i32 s3, s6, s3
	s_mul_u64 s[4:5], s[4:5], s[28:29]
	s_wait_alu 0xfffe
	s_mul_i32 s6, s3, s9
	v_dual_mov_b32 v100, 0 :: v_dual_and_b32 v95, 28, v68
	s_mul_u64 s[38:39], s[38:39], s[28:29]
	s_add_nc_u64 s[4:5], s[10:11], s[4:5]
	s_mul_i32 s8, s3, s7
	s_wait_alu 0xfffe
	s_ashr_i32 s7, s6, 31
	s_add_nc_u64 s[10:11], s[12:13], s[38:39]
	s_wait_alu 0xfffe
	s_add_nc_u64 s[38:39], s[4:5], s[6:7]
	v_cmp_gt_u32_e64 s3, 32, v9
	v_ashrrev_i32_e32 v4, 31, v3
	v_ashrrev_i32_e32 v7, 31, v6
	v_cmp_gt_u32_e64 s4, 16, v9
	v_dual_mov_b32 v93, 0 :: v_dual_add_nc_u32 v96, 0x1880, v1
	v_ashrrev_i32_e32 v1, 31, v0
	v_ashrrev_i32_e32 v9, 31, v8
	v_mul_u32_u24_e32 v2, 0xc0, v5
	v_dual_mov_b32 v87, 0 :: v_dual_lshlrev_b32 v12, 2, v95
	v_lshlrev_b64_e32 v[72:73], 2, v[3:4]
	v_lshlrev_b64_e32 v[74:75], 2, v[6:7]
	;; [unrolled: 1-line block ×4, first 2 shown]
	v_mul_u32_u24_e32 v88, 0x70, v69
	v_cmp_gt_u32_e64 s5, 16, v5
	v_add3_u32 v97, v2, v12, 0x1800
	v_dual_mov_b32 v5, 0xfeffffff :: v_dual_lshlrev_b32 v98, 2, v10
	v_mov_b32_e32 v89, 0
	v_dual_mov_b32 v6, 0xfeffffff :: v_dual_lshlrev_b32 v99, 2, v11
	v_dual_mov_b32 v101, 0 :: v_dual_mov_b32 v4, 0xfeffffff
	v_dual_mov_b32 v7, 0xfeffffff :: v_dual_mov_b32 v106, 0
	;; [unrolled: 1-line block ×3, first 2 shown]
	v_mov_b32_e32 v103, 0
	s_ashr_i32 s9, s8, 31
	s_ashr_i32 s37, s36, 31
	s_add_nc_u64 s[40:41], s[10:11], s[8:9]
	s_ashr_i32 s25, s24, 31
	s_add_nc_u64 s[42:43], s[0:1], 0xd0
.LBB5_11:                               ; =>This Inner Loop Header: Depth=1
	s_ashr_i32 s19, s18, 31
	s_wait_alu 0xfffe
	s_mul_u64 s[6:7], s[18:19], s[36:37]
	s_wait_alu 0xfffe
	s_lshl_b64 s[6:7], s[6:7], 2
	s_wait_alu 0xfffe
	s_add_nc_u64 s[8:9], s[38:39], s[6:7]
	s_and_saveexec_b32 s7, vcc_lo
	s_cbranch_execz .LBB5_13
; %bb.12:                               ;   in Loop: Header=BB5_11 Depth=1
	s_wait_alu 0xfffe
	v_add_co_u32 v0, s6, s8, v72
	s_wait_alu 0xf1ff
	v_add_co_ci_u32_e64 v1, null, s9, v73, s6
	s_delay_alu instid0(VALU_DEP_2) | instskip(SKIP_1) | instid1(VALU_DEP_2)
	v_add_co_u32 v0, s6, v0, v98
	s_wait_alu 0xf1ff
	v_add_co_ci_u32_e64 v1, null, 0, v1, s6
	global_load_b128 v[0:3], v[0:1], off offset:64
	s_wait_loadcnt 0x0
	ds_store_b128 v91, v[0:3]
.LBB5_13:                               ;   in Loop: Header=BB5_11 Depth=1
	s_wait_alu 0xfffe
	s_or_b32 exec_lo, exec_lo, s7
	s_and_saveexec_b32 s7, s3
	s_cbranch_execz .LBB5_15
; %bb.14:                               ;   in Loop: Header=BB5_11 Depth=1
	v_add_co_u32 v0, s6, s8, v74
	s_wait_alu 0xf1ff
	v_add_co_ci_u32_e64 v1, null, s9, v75, s6
	s_delay_alu instid0(VALU_DEP_2) | instskip(SKIP_1) | instid1(VALU_DEP_2)
	v_add_co_u32 v0, s6, v0, v99
	s_wait_alu 0xf1ff
	v_add_co_ci_u32_e64 v1, null, 0, v1, s6
	global_load_b128 v[0:3], v[0:1], off
	s_wait_loadcnt 0x0
	ds_store_b128 v92, v[0:3]
.LBB5_15:                               ;   in Loop: Header=BB5_11 Depth=1
	s_wait_alu 0xfffe
	s_or_b32 exec_lo, exec_lo, s7
	s_wait_loadcnt_dscnt 0x0
	s_barrier_signal -1
	s_barrier_wait -1
	global_inv scope:SCOPE_SE
	ds_load_b128 v[8:11], v88 offset:6144
	ds_load_b128 v[12:15], v90
	ds_load_b128 v[16:19], v90 offset:192
	ds_load_b128 v[20:23], v90 offset:384
	;; [unrolled: 1-line block ×3, first 2 shown]
	v_dual_mov_b32 v0, 0 :: v_dual_mov_b32 v1, 0
	v_dual_mov_b32 v2, 0 :: v_dual_mov_b32 v3, 0
	s_wait_dscnt 0x3
	;;#ASMSTART
	v_dot2_f32_f16 v0, v8, v12, v0
	;;#ASMEND
	;;#ASMSTART
	v_dot2_f32_f16 v0, v9, v13, v0
	;;#ASMEND
	;;#ASMSTART
	v_dot2_f32_f16 v0, v10, v14, v0
	;;#ASMEND
	;;#ASMSTART
	v_dot2_f32_f16 v0, v11, v15, v0
	;;#ASMEND
	s_wait_dscnt 0x2
	;;#ASMSTART
	v_dot2_f32_f16 v1, v8, v16, v1
	;;#ASMEND
	;;#ASMSTART
	v_dot2_f32_f16 v1, v9, v17, v1
	;;#ASMEND
	;;#ASMSTART
	v_dot2_f32_f16 v1, v10, v18, v1
	;;#ASMEND
	;;#ASMSTART
	v_dot2_f32_f16 v1, v11, v19, v1
	;;#ASMEND
	s_wait_dscnt 0x1
	;;#ASMSTART
	v_dot2_f32_f16 v2, v8, v20, v2
	;;#ASMEND
	;;#ASMSTART
	v_dot2_f32_f16 v2, v9, v21, v2
	;;#ASMEND
	;;#ASMSTART
	v_dot2_f32_f16 v2, v10, v22, v2
	;;#ASMEND
	;;#ASMSTART
	v_dot2_f32_f16 v2, v11, v23, v2
	;;#ASMEND
	s_wait_dscnt 0x0
	;;#ASMSTART
	v_dot2_f32_f16 v3, v8, v24, v3
	;;#ASMEND
	;;#ASMSTART
	v_dot2_f32_f16 v3, v9, v25, v3
	;;#ASMEND
	;;#ASMSTART
	v_dot2_f32_f16 v3, v10, v26, v3
	;;#ASMEND
	;;#ASMSTART
	v_dot2_f32_f16 v3, v11, v27, v3
	;;#ASMEND
	ds_load_b128 v[8:11], v88 offset:6160
	ds_load_b128 v[12:15], v90 offset:16
	ds_load_b128 v[16:19], v90 offset:208
	ds_load_b128 v[20:23], v90 offset:400
	ds_load_b128 v[24:27], v90 offset:592
	s_wait_dscnt 0x3
	;;#ASMSTART
	v_dot2_f32_f16 v0, v8, v12, v0
	;;#ASMEND
	;;#ASMSTART
	v_dot2_f32_f16 v0, v9, v13, v0
	;;#ASMEND
	;;#ASMSTART
	v_dot2_f32_f16 v0, v10, v14, v0
	;;#ASMEND
	;;#ASMSTART
	v_dot2_f32_f16 v0, v11, v15, v0
	;;#ASMEND
	s_wait_dscnt 0x2
	;;#ASMSTART
	v_dot2_f32_f16 v1, v8, v16, v1
	;;#ASMEND
	;;#ASMSTART
	v_dot2_f32_f16 v1, v9, v17, v1
	;;#ASMEND
	;;#ASMSTART
	v_dot2_f32_f16 v1, v10, v18, v1
	;;#ASMEND
	;;#ASMSTART
	v_dot2_f32_f16 v1, v11, v19, v1
	;;#ASMEND
	s_wait_dscnt 0x1
	;;#ASMSTART
	v_dot2_f32_f16 v2, v8, v20, v2
	;;#ASMEND
	;;#ASMSTART
	v_dot2_f32_f16 v2, v9, v21, v2
	;;#ASMEND
	;;#ASMSTART
	v_dot2_f32_f16 v2, v10, v22, v2
	;;#ASMEND
	;;#ASMSTART
	v_dot2_f32_f16 v2, v11, v23, v2
	;;#ASMEND
	s_wait_dscnt 0x0
	;;#ASMSTART
	v_dot2_f32_f16 v3, v8, v24, v3
	;;#ASMEND
	;;#ASMSTART
	v_dot2_f32_f16 v3, v9, v25, v3
	;;#ASMEND
	;;#ASMSTART
	v_dot2_f32_f16 v3, v10, v26, v3
	;;#ASMEND
	;;#ASMSTART
	v_dot2_f32_f16 v3, v11, v27, v3
	;;#ASMEND
	ds_load_b128 v[8:11], v88 offset:6176
	ds_load_b128 v[12:15], v90 offset:32
	ds_load_b128 v[16:19], v90 offset:224
	ds_load_b128 v[20:23], v90 offset:416
	ds_load_b128 v[24:27], v90 offset:608
	;; [unrolled: 57-line block ×5, first 2 shown]
	s_wait_dscnt 0x3
	;;#ASMSTART
	v_dot2_f32_f16 v0, v8, v12, v0
	;;#ASMEND
	;;#ASMSTART
	v_dot2_f32_f16 v0, v9, v13, v0
	;;#ASMEND
	;;#ASMSTART
	v_dot2_f32_f16 v0, v10, v14, v0
	;;#ASMEND
	;;#ASMSTART
	v_dot2_f32_f16 v0, v11, v15, v0
	;;#ASMEND
	s_wait_dscnt 0x2
	;;#ASMSTART
	v_dot2_f32_f16 v1, v8, v16, v1
	;;#ASMEND
	;;#ASMSTART
	v_dot2_f32_f16 v1, v9, v17, v1
	;;#ASMEND
	;;#ASMSTART
	v_dot2_f32_f16 v1, v10, v18, v1
	;;#ASMEND
	;;#ASMSTART
	v_dot2_f32_f16 v1, v11, v19, v1
	;;#ASMEND
	;; [unrolled: 13-line block ×4, first 2 shown]
	s_wait_loadcnt 0x0
	s_barrier_signal -1
	s_barrier_wait -1
	global_inv scope:SCOPE_SE
	s_and_saveexec_b32 s7, vcc_lo
	s_cbranch_execz .LBB5_17
; %bb.16:                               ;   in Loop: Header=BB5_11 Depth=1
	v_add_co_u32 v8, s6, s8, v72
	s_wait_alu 0xf1ff
	v_add_co_ci_u32_e64 v9, null, s9, v73, s6
	s_delay_alu instid0(VALU_DEP_2) | instskip(SKIP_1) | instid1(VALU_DEP_2)
	v_add_co_u32 v8, s6, v8, v98
	s_wait_alu 0xf1ff
	v_add_co_ci_u32_e64 v9, null, 0, v9, s6
	global_load_b128 v[8:11], v[8:9], off offset:160
	s_wait_loadcnt 0x0
	ds_store_b128 v91, v[8:11]
.LBB5_17:                               ;   in Loop: Header=BB5_11 Depth=1
	s_wait_alu 0xfffe
	s_or_b32 exec_lo, exec_lo, s7
	s_and_saveexec_b32 s7, s3
	s_cbranch_execz .LBB5_19
; %bb.18:                               ;   in Loop: Header=BB5_11 Depth=1
	v_add_co_u32 v8, s6, s8, v74
	s_wait_alu 0xf1ff
	v_add_co_ci_u32_e64 v9, null, s9, v75, s6
	s_delay_alu instid0(VALU_DEP_2) | instskip(SKIP_1) | instid1(VALU_DEP_2)
	v_add_co_u32 v8, s6, v8, v99
	s_wait_alu 0xf1ff
	v_add_co_ci_u32_e64 v9, null, 0, v9, s6
	global_load_b128 v[8:11], v[8:9], off offset:96
	s_wait_loadcnt 0x0
	ds_store_b128 v92, v[8:11]
.LBB5_19:                               ;   in Loop: Header=BB5_11 Depth=1
	s_wait_alu 0xfffe
	s_or_b32 exec_lo, exec_lo, s7
	s_wait_loadcnt_dscnt 0x0
	s_barrier_signal -1
	s_barrier_wait -1
	global_inv scope:SCOPE_SE
	ds_load_b128 v[8:11], v88 offset:6144
	ds_load_b128 v[12:15], v90 offset:96
	;; [unrolled: 1-line block ×5, first 2 shown]
	v_xor_b32_e32 v102, 16, v83
	v_xor_b32_e32 v107, 8, v83
	;; [unrolled: 1-line block ×5, first 2 shown]
	s_mul_u64 s[44:45], s[18:19], s[24:25]
	s_wait_dscnt 0x3
	;;#ASMSTART
	v_dot2_f32_f16 v0, v8, v12, v0
	;;#ASMEND
	;;#ASMSTART
	v_dot2_f32_f16 v0, v9, v13, v0
	;;#ASMEND
	;;#ASMSTART
	v_dot2_f32_f16 v0, v10, v14, v0
	;;#ASMEND
	;;#ASMSTART
	v_dot2_f32_f16 v0, v11, v15, v0
	;;#ASMEND
	s_wait_dscnt 0x2
	;;#ASMSTART
	v_dot2_f32_f16 v1, v8, v16, v1
	;;#ASMEND
	;;#ASMSTART
	v_dot2_f32_f16 v1, v9, v17, v1
	;;#ASMEND
	;;#ASMSTART
	v_dot2_f32_f16 v1, v10, v18, v1
	;;#ASMEND
	;;#ASMSTART
	v_dot2_f32_f16 v1, v11, v19, v1
	;;#ASMEND
	s_wait_dscnt 0x1
	;;#ASMSTART
	v_dot2_f32_f16 v2, v8, v20, v2
	;;#ASMEND
	;;#ASMSTART
	v_dot2_f32_f16 v2, v9, v21, v2
	;;#ASMEND
	;;#ASMSTART
	v_dot2_f32_f16 v2, v10, v22, v2
	;;#ASMEND
	;;#ASMSTART
	v_dot2_f32_f16 v2, v11, v23, v2
	;;#ASMEND
	s_wait_dscnt 0x0
	;;#ASMSTART
	v_dot2_f32_f16 v3, v8, v24, v3
	;;#ASMEND
	;;#ASMSTART
	v_dot2_f32_f16 v3, v9, v25, v3
	;;#ASMEND
	;;#ASMSTART
	v_dot2_f32_f16 v3, v10, v26, v3
	;;#ASMEND
	;;#ASMSTART
	v_dot2_f32_f16 v3, v11, v27, v3
	;;#ASMEND
	ds_load_b128 v[8:11], v88 offset:6160
	ds_load_b128 v[12:15], v90 offset:112
	ds_load_b128 v[16:19], v90 offset:304
	ds_load_b128 v[20:23], v90 offset:496
	ds_load_b128 v[24:27], v90 offset:688
	s_wait_alu 0xfffe
	s_lshl_b64 s[44:45], s[44:45], 2
	s_wait_dscnt 0x3
	;;#ASMSTART
	v_dot2_f32_f16 v0, v8, v12, v0
	;;#ASMEND
	;;#ASMSTART
	v_dot2_f32_f16 v0, v9, v13, v0
	;;#ASMEND
	;;#ASMSTART
	v_dot2_f32_f16 v0, v10, v14, v0
	;;#ASMEND
	;;#ASMSTART
	v_dot2_f32_f16 v0, v11, v15, v0
	;;#ASMEND
	s_wait_dscnt 0x2
	;;#ASMSTART
	v_dot2_f32_f16 v1, v8, v16, v1
	;;#ASMEND
	;;#ASMSTART
	v_dot2_f32_f16 v1, v9, v17, v1
	;;#ASMEND
	;;#ASMSTART
	v_dot2_f32_f16 v1, v10, v18, v1
	;;#ASMEND
	;;#ASMSTART
	v_dot2_f32_f16 v1, v11, v19, v1
	;;#ASMEND
	;; [unrolled: 13-line block ×4, first 2 shown]
	ds_load_b128 v[8:11], v88 offset:6176
	ds_load_b128 v[12:15], v90 offset:128
	;; [unrolled: 1-line block ×5, first 2 shown]
	s_wait_alu 0xfffe
	s_add_nc_u64 s[44:45], s[40:41], s[44:45]
	s_wait_dscnt 0x3
	;;#ASMSTART
	v_dot2_f32_f16 v0, v8, v12, v0
	;;#ASMEND
	;;#ASMSTART
	v_dot2_f32_f16 v0, v9, v13, v0
	;;#ASMEND
	;;#ASMSTART
	v_dot2_f32_f16 v0, v10, v14, v0
	;;#ASMEND
	;;#ASMSTART
	v_dot2_f32_f16 v0, v11, v15, v0
	;;#ASMEND
	s_wait_dscnt 0x2
	;;#ASMSTART
	v_dot2_f32_f16 v1, v8, v16, v1
	;;#ASMEND
	;;#ASMSTART
	v_dot2_f32_f16 v1, v9, v17, v1
	;;#ASMEND
	;;#ASMSTART
	v_dot2_f32_f16 v1, v10, v18, v1
	;;#ASMEND
	;;#ASMSTART
	v_dot2_f32_f16 v1, v11, v19, v1
	;;#ASMEND
	;; [unrolled: 13-line block ×4, first 2 shown]
	ds_load_b128 v[8:11], v88 offset:6192
	ds_load_b128 v[12:15], v90 offset:144
	;; [unrolled: 1-line block ×5, first 2 shown]
	s_wait_dscnt 0x3
	;;#ASMSTART
	v_dot2_f32_f16 v0, v8, v12, v0
	;;#ASMEND
	;;#ASMSTART
	v_dot2_f32_f16 v0, v9, v13, v0
	;;#ASMEND
	;;#ASMSTART
	v_dot2_f32_f16 v0, v10, v14, v0
	;;#ASMEND
	;;#ASMSTART
	v_dot2_f32_f16 v0, v11, v15, v0
	;;#ASMEND
	s_wait_dscnt 0x2
	;;#ASMSTART
	v_dot2_f32_f16 v1, v8, v16, v1
	;;#ASMEND
	;;#ASMSTART
	v_dot2_f32_f16 v1, v9, v17, v1
	;;#ASMEND
	;;#ASMSTART
	v_dot2_f32_f16 v1, v10, v18, v1
	;;#ASMEND
	;;#ASMSTART
	v_dot2_f32_f16 v1, v11, v19, v1
	;;#ASMEND
	;; [unrolled: 13-line block ×4, first 2 shown]
	ds_load_b128 v[8:11], v88 offset:6208
	ds_load_b128 v[12:15], v90 offset:160
	;; [unrolled: 1-line block ×5, first 2 shown]
	s_wait_dscnt 0x3
	;;#ASMSTART
	v_dot2_f32_f16 v0, v8, v12, v0
	;;#ASMEND
	;;#ASMSTART
	v_dot2_f32_f16 v0, v9, v13, v0
	;;#ASMEND
	;;#ASMSTART
	v_dot2_f32_f16 v0, v10, v14, v0
	;;#ASMEND
	;;#ASMSTART
	v_dot2_f32_f16 v0, v11, v15, v0
	;;#ASMEND
	s_wait_dscnt 0x2
	;;#ASMSTART
	v_dot2_f32_f16 v1, v8, v16, v1
	;;#ASMEND
	;;#ASMSTART
	v_dot2_f32_f16 v1, v9, v17, v1
	;;#ASMEND
	;;#ASMSTART
	v_dot2_f32_f16 v1, v10, v18, v1
	;;#ASMEND
	;;#ASMSTART
	v_dot2_f32_f16 v1, v11, v19, v1
	;;#ASMEND
	;; [unrolled: 13-line block ×4, first 2 shown]
	ds_load_b128 v[8:11], v88 offset:6224
	ds_load_b128 v[12:15], v90 offset:176
	v_add_nc_u32_e32 v24, s18, v71
	ds_load_b128 v[16:19], v90 offset:368
	ds_load_b128 v[20:23], v90 offset:560
	v_ashrrev_i32_e32 v25, 31, v24
	s_delay_alu instid0(VALU_DEP_1)
	v_lshlrev_b64_e32 v[28:29], 1, v[24:25]
	ds_load_b128 v[24:27], v90 offset:752
	s_wait_dscnt 0x3
	;;#ASMSTART
	v_dot2_f32_f16 v0, v8, v12, v0
	;;#ASMEND
	;;#ASMSTART
	v_dot2_f32_f16 v0, v9, v13, v0
	;;#ASMEND
	;; [unrolled: 3-line block ×4, first 2 shown]
	s_wait_dscnt 0x2
	;;#ASMSTART
	v_dot2_f32_f16 v1, v8, v16, v1
	;;#ASMEND
	;;#ASMSTART
	v_dot2_f32_f16 v1, v9, v17, v1
	;;#ASMEND
	v_add_co_u32 v28, s6, s34, v28
	;;#ASMSTART
	v_dot2_f32_f16 v1, v10, v18, v1
	;;#ASMEND
	;;#ASMSTART
	v_dot2_f32_f16 v1, v11, v19, v1
	;;#ASMEND
	s_wait_dscnt 0x1
	;;#ASMSTART
	v_dot2_f32_f16 v2, v8, v20, v2
	;;#ASMEND
	s_wait_alu 0xf1ff
	v_add_co_ci_u32_e64 v29, null, s35, v29, s6
	;;#ASMSTART
	v_dot2_f32_f16 v2, v9, v21, v2
	;;#ASMEND
	;;#ASMSTART
	v_dot2_f32_f16 v2, v10, v22, v2
	;;#ASMEND
	;; [unrolled: 3-line block ×3, first 2 shown]
	s_wait_dscnt 0x0
	;;#ASMSTART
	v_dot2_f32_f16 v3, v8, v24, v3
	;;#ASMEND
	;;#ASMSTART
	v_dot2_f32_f16 v3, v9, v25, v3
	;;#ASMEND
	;; [unrolled: 3-line block ×4, first 2 shown]
	global_load_u16 v8, v[28:29], off
	v_cmp_gt_i32_e64 s6, 32, v102
	v_dual_max_num_f32 v9, v5, v5 :: v_dual_max_num_f32 v10, v7, v7
	v_max_num_f32_e32 v11, v6, v6
	s_wait_loadcnt 0x0
	s_barrier_signal -1
	s_barrier_wait -1
	global_inv scope:SCOPE_SE
	v_cvt_f32_f16_e32 v8, v8
	s_delay_alu instid0(VALU_DEP_1)
	v_add_f32_e32 v15, v2, v8
	v_add_f32_e32 v14, v1, v8
	;; [unrolled: 1-line block ×3, first 2 shown]
	s_wait_alu 0xf1ff
	v_cndmask_b32_e64 v0, v83, v102, s6
	v_dual_add_f32 v8, v3, v8 :: v_dual_add_f32 v3, 0x40051340, v15
	v_add_f32_e32 v2, 0x40051340, v14
	v_dual_max_num_f32 v12, v4, v4 :: v_dual_add_f32 v1, 0x40051340, v13
	s_delay_alu instid0(VALU_DEP_3) | instskip(NEXT) | instid1(VALU_DEP_3)
	v_dual_max_num_f32 v3, v11, v3 :: v_dual_lshlrev_b32 v0, 2, v0
	v_max_num_f32_e32 v2, v10, v2
	v_cmp_gt_i32_e64 s6, 32, v107
	s_delay_alu instid0(VALU_DEP_4)
	v_max_num_f32_e32 v1, v9, v1
	ds_bpermute_b32 v11, v0, v2
	v_add_f32_e32 v16, 0x40051340, v8
	ds_bpermute_b32 v10, v0, v1
	s_wait_dscnt 0x1
	v_max_num_f32_e32 v11, v11, v11
	v_max_num_f32_e32 v9, v12, v16
	ds_bpermute_b32 v12, v0, v3
	s_wait_alu 0xf1ff
	v_cndmask_b32_e64 v16, v83, v107, s6
	v_cmp_gt_i32_e64 s6, 32, v108
	ds_bpermute_b32 v0, v0, v9
	s_wait_dscnt 0x1
	v_max_num_f32_e32 v12, v12, v12
	s_delay_alu instid0(VALU_DEP_1) | instskip(NEXT) | instid1(VALU_DEP_1)
	v_dual_max_num_f32 v10, v10, v10 :: v_dual_max_num_f32 v3, v3, v12
	v_dual_max_num_f32 v1, v1, v10 :: v_dual_lshlrev_b32 v16, 2, v16
	v_max_num_f32_e32 v2, v2, v11
	ds_bpermute_b32 v11, v16, v3
	s_wait_dscnt 0x0
	v_dual_max_num_f32 v0, v0, v0 :: v_dual_max_num_f32 v11, v11, v11
	s_delay_alu instid0(VALU_DEP_1)
	v_max_num_f32_e32 v0, v9, v0
	ds_bpermute_b32 v9, v16, v1
	v_max_num_f32_e32 v3, v3, v11
	ds_bpermute_b32 v12, v16, v0
	s_wait_dscnt 0x1
	v_max_num_f32_e32 v9, v9, v9
	s_delay_alu instid0(VALU_DEP_1) | instskip(SKIP_4) | instid1(VALU_DEP_2)
	v_max_num_f32_e32 v1, v1, v9
	ds_bpermute_b32 v10, v16, v2
	s_wait_alu 0xf1ff
	v_cndmask_b32_e64 v16, v83, v108, s6
	v_cmp_gt_i32_e64 s6, 32, v109
	v_lshlrev_b32_e32 v16, 2, v16
	ds_bpermute_b32 v9, v16, v1
	s_wait_dscnt 0x0
	v_max_num_f32_e32 v9, v9, v9
	ds_bpermute_b32 v11, v16, v3
	v_max_num_f32_e32 v10, v10, v10
	v_dual_max_num_f32 v12, v12, v12 :: v_dual_max_num_f32 v1, v1, v9
	s_delay_alu instid0(VALU_DEP_1) | instskip(SKIP_3) | instid1(VALU_DEP_1)
	v_max_num_f32_e32 v0, v0, v12
	ds_bpermute_b32 v12, v16, v0
	s_wait_dscnt 0x1
	v_dual_max_num_f32 v11, v11, v11 :: v_dual_max_num_f32 v2, v2, v10
	v_max_num_f32_e32 v3, v3, v11
	ds_bpermute_b32 v10, v16, v2
	s_wait_alu 0xf1ff
	v_cndmask_b32_e64 v16, v83, v109, s6
	v_cmp_gt_i32_e64 s6, 32, v110
	s_delay_alu instid0(VALU_DEP_2)
	v_lshlrev_b32_e32 v16, 2, v16
	ds_bpermute_b32 v11, v16, v3
	s_wait_dscnt 0x0
	v_max_num_f32_e32 v11, v11, v11
	ds_bpermute_b32 v9, v16, v1
	v_dual_max_num_f32 v12, v12, v12 :: v_dual_max_num_f32 v3, v3, v11
	s_wait_dscnt 0x0
	s_delay_alu instid0(VALU_DEP_1) | instskip(NEXT) | instid1(VALU_DEP_1)
	v_dual_max_num_f32 v9, v9, v9 :: v_dual_max_num_f32 v0, v0, v12
	v_dual_max_num_f32 v10, v10, v10 :: v_dual_max_num_f32 v1, v1, v9
	ds_bpermute_b32 v12, v16, v0
	s_wait_dscnt 0x0
	v_max_num_f32_e32 v12, v12, v12
	s_delay_alu instid0(VALU_DEP_1)
	v_dual_max_num_f32 v2, v2, v10 :: v_dual_max_num_f32 v9, v0, v12
	ds_bpermute_b32 v10, v16, v2
	s_wait_alu 0xf1ff
	v_cndmask_b32_e64 v16, v83, v110, s6
	s_wait_dscnt 0x0
	v_max_num_f32_e32 v10, v10, v10
	s_delay_alu instid0(VALU_DEP_1) | instskip(NEXT) | instid1(VALU_DEP_3)
	v_max_num_f32_e32 v2, v2, v10
	v_lshlrev_b32_e32 v16, 2, v16
	ds_bpermute_b32 v0, v16, v1
	s_wait_dscnt 0x0
	v_max_num_f32_e32 v0, v0, v0
	s_delay_alu instid0(VALU_DEP_1) | instskip(NEXT) | instid1(VALU_DEP_1)
	v_max_num_f32_e32 v0, v1, v0
	v_sub_f32_e32 v119, v5, v0
	ds_bpermute_b32 v10, v16, v2
	v_sub_f32_e32 v5, v13, v0
	v_cmp_ngt_f32_e64 s6, 0xc2ce8ed0, v119
	v_cmp_nlt_f32_e64 s7, 0x42b17218, v119
	s_delay_alu instid0(VALU_DEP_3) | instskip(SKIP_2) | instid1(VALU_DEP_1)
	v_cmp_ngt_f32_e64 s9, 0xc2ce8ed0, v5
	s_wait_dscnt 0x0
	v_max_num_f32_e32 v10, v10, v10
	v_max_num_f32_e32 v1, v2, v10
	ds_bpermute_b32 v11, v16, v3
	ds_bpermute_b32 v12, v16, v9
	v_add_nc_u32_e32 v16, v94, v81
	v_mul_f32_e32 v10, 0x3fb8aa3b, v5
	s_delay_alu instid0(VALU_DEP_1) | instskip(NEXT) | instid1(VALU_DEP_1)
	v_fma_f32 v13, 0x3fb8aa3b, v5, -v10
	v_fmac_f32_e32 v13, 0x32a5705f, v5
	s_wait_dscnt 0x0
	v_dual_max_num_f32 v11, v11, v11 :: v_dual_max_num_f32 v12, v12, v12
	s_delay_alu instid0(VALU_DEP_1) | instskip(SKIP_2) | instid1(VALU_DEP_3)
	v_dual_max_num_f32 v2, v3, v11 :: v_dual_max_num_f32 v3, v9, v12
	v_sub_f32_e32 v120, v7, v1
	v_sub_f32_e32 v7, v14, v1
	v_dual_sub_f32 v9, v15, v2 :: v_dual_sub_f32 v8, v8, v3
	v_sub_f32_e32 v121, v4, v3
	s_delay_alu instid0(VALU_DEP_4) | instskip(NEXT) | instid1(VALU_DEP_3)
	v_cmp_ngt_f32_e64 s8, 0xc2ce8ed0, v120
	v_dual_mul_f32 v11, 0x3fb8aa3b, v9 :: v_dual_mul_f32 v12, 0x3fb8aa3b, v8
	s_delay_alu instid0(VALU_DEP_3) | instskip(SKIP_1) | instid1(VALU_DEP_3)
	v_cmp_ngt_f32_e64 s13, 0xc2ce8ed0, v121
	v_cmp_nlt_f32_e64 s12, 0x42b17218, v121
	v_rndne_f32_e32 v19, v11
	s_delay_alu instid0(VALU_DEP_4) | instskip(SKIP_2) | instid1(VALU_DEP_4)
	v_fma_f32 v20, 0x3fb8aa3b, v8, -v12
	v_rndne_f32_e32 v21, v12
	v_fma_f32 v18, 0x3fb8aa3b, v9, -v11
	v_sub_f32_e32 v11, v11, v19
	v_rndne_f32_e32 v14, v10
	v_fmac_f32_e32 v20, 0x32a5705f, v8
	v_sub_f32_e32 v12, v12, v21
	v_sub_f32_e32 v118, v6, v2
	v_mul_f32_e32 v6, 0x3fb8aa3b, v7
	v_sub_f32_e32 v10, v10, v14
	v_fmac_f32_e32 v18, 0x32a5705f, v9
	s_delay_alu instid0(VALU_DEP_3) | instskip(SKIP_1) | instid1(VALU_DEP_4)
	v_fma_f32 v15, 0x3fb8aa3b, v7, -v6
	v_rndne_f32_e32 v17, v6
	v_add_f32_e32 v4, v10, v13
	s_delay_alu instid0(VALU_DEP_4) | instskip(NEXT) | instid1(VALU_DEP_3)
	v_dual_add_f32 v10, v11, v18 :: v_dual_add_f32 v11, v12, v20
	v_dual_fmac_f32 v15, 0x32a5705f, v7 :: v_dual_sub_f32 v6, v6, v17
	s_delay_alu instid0(VALU_DEP_3) | instskip(SKIP_1) | instid1(VALU_DEP_3)
	v_exp_f32_e32 v4, v4
	v_cvt_i32_f32_e32 v12, v14
	v_exp_f32_e32 v10, v10
	v_cvt_i32_f32_e32 v13, v17
	v_add_f32_e32 v6, v6, v15
	v_exp_f32_e32 v11, v11
	v_cvt_i32_f32_e32 v14, v19
	v_cvt_i32_f32_e32 v15, v21
	v_cmp_ngt_f32_e64 s11, 0xc2ce8ed0, v118
	v_exp_f32_e32 v6, v6
	v_ldexp_f32 v4, v4, v12
	v_cmp_nlt_f32_e64 s10, 0x42b17218, v118
	v_ldexp_f32 v10, v10, v14
	s_wait_alu 0xf1ff
	s_delay_alu instid0(VALU_DEP_3) | instskip(SKIP_2) | instid1(TRANS32_DEP_1)
	v_cndmask_b32_e64 v4, 0, v4, s9
	v_cmp_ngt_f32_e64 s9, 0xc2ce8ed0, v7
	v_ldexp_f32 v11, v11, v15
	v_ldexp_f32 v6, v6, v13
	s_wait_alu 0xf1ff
	s_delay_alu instid0(VALU_DEP_1) | instskip(SKIP_2) | instid1(VALU_DEP_1)
	v_cndmask_b32_e64 v6, 0, v6, s9
	v_cmp_ngt_f32_e64 s9, 0xc2ce8ed0, v9
	s_wait_alu 0xf1ff
	v_cndmask_b32_e64 v10, 0, v10, s9
	v_cmp_ngt_f32_e64 s9, 0xc2ce8ed0, v8
	s_wait_alu 0xf1ff
	s_delay_alu instid0(VALU_DEP_1) | instskip(SKIP_2) | instid1(VALU_DEP_1)
	v_cndmask_b32_e64 v11, 0, v11, s9
	v_cmp_nlt_f32_e64 s9, 0x42b17218, v5
	s_wait_alu 0xf1ff
	v_cndmask_b32_e64 v113, 0x7f800000, v4, s9
	v_cmp_nlt_f32_e64 s9, 0x42b17218, v9
	s_delay_alu instid0(VALU_DEP_2) | instskip(SKIP_1) | instid1(VALU_DEP_2)
	v_cvt_f16_f32_e32 v4, v113
	s_wait_alu 0xf1ff
	v_cndmask_b32_e64 v112, 0x7f800000, v10, s9
	v_cmp_nlt_f32_e64 s9, 0x42b17218, v8
	s_delay_alu instid0(VALU_DEP_2) | instskip(SKIP_1) | instid1(VALU_DEP_2)
	v_cvt_f16_f32_e32 v5, v112
	s_wait_alu 0xf1ff
	v_cndmask_b32_e64 v111, 0x7f800000, v11, s9
	v_cmp_nlt_f32_e64 s9, 0x42b17218, v7
	s_wait_alu 0xf1ff
	s_delay_alu instid0(VALU_DEP_1) | instskip(NEXT) | instid1(VALU_DEP_3)
	v_cndmask_b32_e64 v114, 0x7f800000, v6, s9
	v_cvt_f16_f32_e32 v6, v111
	v_cmp_nlt_f32_e64 s9, 0x42b17218, v120
	s_delay_alu instid0(VALU_DEP_3) | instskip(NEXT) | instid1(VALU_DEP_3)
	v_cvt_f16_f32_e32 v7, v114
	v_pack_b32_f16 v5, v5, v6
	s_delay_alu instid0(VALU_DEP_2)
	v_pack_b32_f16 v4, v4, v7
	ds_store_b64 v16, v[4:5]
	s_and_saveexec_b32 s19, s4
	s_cbranch_execz .LBB5_21
; %bb.20:                               ;   in Loop: Header=BB5_11 Depth=1
	s_wait_alu 0xfffe
	v_add_co_u32 v4, s14, s44, v76
	s_wait_alu 0xf1ff
	v_add_co_ci_u32_e64 v5, null, s45, v77, s14
	s_delay_alu instid0(VALU_DEP_2) | instskip(SKIP_1) | instid1(VALU_DEP_2)
	v_add_co_u32 v4, s14, v4, v99
	s_wait_alu 0xf1ff
	v_add_co_ci_u32_e64 v5, null, 0, v5, s14
	global_load_b128 v[4:7], v[4:5], off offset:128
	s_wait_loadcnt 0x0
	ds_store_b128 v96, v[4:7]
.LBB5_21:                               ;   in Loop: Header=BB5_11 Depth=1
	s_wait_alu 0xfffe
	s_or_b32 exec_lo, exec_lo, s19
	v_lshlrev_b32_e32 v122, 2, v95
	s_and_saveexec_b32 s19, s5
	s_cbranch_execz .LBB5_23
; %bb.22:                               ;   in Loop: Header=BB5_11 Depth=1
	v_add_co_u32 v4, s14, s44, v78
	s_wait_alu 0xf1ff
	v_add_co_ci_u32_e64 v5, null, s45, v79, s14
	s_delay_alu instid0(VALU_DEP_2) | instskip(SKIP_1) | instid1(VALU_DEP_2)
	v_add_co_u32 v4, s14, v4, v122
	s_wait_alu 0xf1ff
	v_add_co_ci_u32_e64 v5, null, 0, v5, s14
	global_load_b128 v[4:7], v[4:5], off
	s_wait_loadcnt 0x0
	ds_store_b128 v97, v[4:7]
.LBB5_23:                               ;   in Loop: Header=BB5_11 Depth=1
	s_wait_alu 0xfffe
	s_or_b32 exec_lo, exec_lo, s19
	v_add_nc_u32_e32 v117, 0x1800, v81
	v_add_nc_u32_e32 v116, 0x1c00, v81
	;; [unrolled: 1-line block ×3, first 2 shown]
	s_wait_loadcnt_dscnt 0x0
	s_barrier_signal -1
	s_barrier_wait -1
	global_inv scope:SCOPE_SE
	ds_load_2addr_b64 v[32:35], v117 offset1:24
	ds_load_b128 v[64:67], v94
	ds_load_b128 v[60:63], v94 offset:16
	ds_load_b128 v[56:59], v94 offset:32
	;; [unrolled: 1-line block ×3, first 2 shown]
	ds_load_2addr_b64 v[28:31], v117 offset0:48 offset1:72
	ds_load_2addr_b64 v[24:27], v117 offset0:96 offset1:120
	;; [unrolled: 1-line block ×5, first 2 shown]
	ds_load_b128 v[48:51], v94 offset:64
	ds_load_b128 v[44:47], v94 offset:80
	ds_load_2addr_b64 v[8:11], v115 offset0:32 offset1:56
	ds_load_2addr_b64 v[4:7], v115 offset0:80 offset1:104
	ds_load_b128 v[40:43], v94 offset:96
	ds_load_b128 v[36:39], v94 offset:112
	s_or_b32 s44, s18, 16
	s_wait_loadcnt_dscnt 0x0
	s_wait_alu 0xfffe
	s_ashr_i32 s45, s44, 31
	s_barrier_signal -1
	s_wait_alu 0xfffe
	s_mul_u64 s[44:45], s[44:45], s[24:25]
	s_barrier_wait -1
	s_wait_alu 0xfffe
	s_lshl_b64 s[44:45], s[44:45], 2
	global_inv scope:SCOPE_SE
	s_wait_alu 0xfffe
	s_add_nc_u64 s[44:45], s[40:41], s[44:45]
	s_and_saveexec_b32 s19, s4
	s_cbranch_execz .LBB5_25
; %bb.24:                               ;   in Loop: Header=BB5_11 Depth=1
	s_wait_alu 0xfffe
	v_add_co_u32 v123, s14, s44, v76
	s_wait_alu 0xf1ff
	v_add_co_ci_u32_e64 v124, null, s45, v77, s14
	s_delay_alu instid0(VALU_DEP_2) | instskip(SKIP_1) | instid1(VALU_DEP_2)
	v_add_co_u32 v123, s14, v123, v99
	s_wait_alu 0xf1ff
	v_add_co_ci_u32_e64 v124, null, 0, v124, s14
	global_load_b128 v[123:126], v[123:124], off offset:128
	s_wait_loadcnt 0x0
	ds_store_b128 v96, v[123:126]
.LBB5_25:                               ;   in Loop: Header=BB5_11 Depth=1
	s_wait_alu 0xfffe
	s_or_b32 exec_lo, exec_lo, s19
	s_and_saveexec_b32 s19, s5
	s_cbranch_execz .LBB5_27
; %bb.26:                               ;   in Loop: Header=BB5_11 Depth=1
	v_add_co_u32 v123, s14, s44, v78
	s_wait_alu 0xf1ff
	v_add_co_ci_u32_e64 v124, null, s45, v79, s14
	s_delay_alu instid0(VALU_DEP_2) | instskip(SKIP_1) | instid1(VALU_DEP_2)
	v_add_co_u32 v122, s14, v123, v122
	s_wait_alu 0xf1ff
	v_add_co_ci_u32_e64 v123, null, 0, v124, s14
	global_load_b128 v[122:125], v[122:123], off
	s_wait_loadcnt 0x0
	ds_store_b128 v97, v[122:125]
.LBB5_27:                               ;   in Loop: Header=BB5_11 Depth=1
	s_wait_alu 0xfffe
	s_or_b32 exec_lo, exec_lo, s19
	v_dual_mul_f32 v122, 0x3fb8aa3b, v119 :: v_dual_mul_f32 v123, 0x3fb8aa3b, v120
	v_and_b32_e32 v132, 0xffff, v54
	v_lshrrev_b32_e32 v54, 16, v54
	v_and_b32_e32 v133, 0xffff, v55
	s_delay_alu instid0(VALU_DEP_4)
	v_fma_f32 v125, 0x3fb8aa3b, v119, -v122
	v_rndne_f32_e32 v126, v122
	v_fma_f32 v127, 0x3fb8aa3b, v120, -v123
	v_mul_f32_e32 v128, 0x3fb8aa3b, v121
	v_rndne_f32_e32 v129, v123
	v_mul_f32_e32 v124, 0x3fb8aa3b, v118
	v_lshrrev_b32_e32 v55, 16, v55
	v_mul_u32_u24_e32 v132, 0x10001, v132
	v_mul_u32_u24_e32 v54, 0x10001, v54
	v_sub_f32_e32 v123, v123, v129
	v_fmac_f32_e32 v127, 0x32a5705f, v120
	v_fma_f32 v120, 0x3fb8aa3b, v118, -v124
	v_fmac_f32_e32 v125, 0x32a5705f, v119
	v_sub_f32_e32 v119, v122, v126
	v_rndne_f32_e32 v122, v124
	v_fma_f32 v130, 0x3fb8aa3b, v121, -v128
	v_rndne_f32_e32 v131, v128
	v_fmac_f32_e32 v120, 0x32a5705f, v118
	v_mul_u32_u24_e32 v133, 0x10001, v133
	v_sub_f32_e32 v118, v124, v122
	s_delay_alu instid0(VALU_DEP_4) | instskip(SKIP_1) | instid1(VALU_DEP_3)
	v_dual_fmac_f32 v130, 0x32a5705f, v121 :: v_dual_sub_f32 v121, v128, v131
	v_add_f32_e32 v119, v119, v125
	v_dual_add_f32 v123, v123, v127 :: v_dual_add_f32 v118, v118, v120
	v_cvt_i32_f32_e32 v124, v129
	s_delay_alu instid0(VALU_DEP_4) | instskip(NEXT) | instid1(VALU_DEP_4)
	v_add_f32_e32 v120, v121, v130
	v_exp_f32_e32 v119, v119
	s_delay_alu instid0(VALU_DEP_3)
	v_exp_f32_e32 v121, v123
	v_exp_f32_e32 v118, v118
	v_cvt_i32_f32_e32 v123, v126
	v_exp_f32_e32 v120, v120
	v_cvt_i32_f32_e32 v122, v122
	v_cvt_i32_f32_e32 v125, v131
	v_and_b32_e32 v126, 0xffff, v56
	v_lshrrev_b32_e32 v56, 16, v56
	v_and_b32_e32 v127, 0xffff, v57
	v_ldexp_f32 v119, v119, v123
	v_ldexp_f32 v121, v121, v124
	;; [unrolled: 1-line block ×3, first 2 shown]
	v_and_b32_e32 v122, 0xffff, v60
	v_ldexp_f32 v120, v120, v125
	v_cndmask_b32_e64 v119, 0, v119, s6
	v_cndmask_b32_e64 v121, 0, v121, s8
	;; [unrolled: 1-line block ×3, first 2 shown]
	v_lshrrev_b32_e32 v60, 16, v60
	v_cndmask_b32_e64 v120, 0, v120, s13
	v_cndmask_b32_e64 v119, 0x7f800000, v119, s7
	;; [unrolled: 1-line block ×4, first 2 shown]
	v_and_b32_e32 v123, 0xffff, v61
	v_cndmask_b32_e64 v120, 0x7f800000, v120, s12
	s_delay_alu instid0(VALU_DEP_4)
	v_dual_fmac_f32 v113, v106, v119 :: v_dual_fmac_f32 v114, v105, v121
	v_cvt_f16_f32_e32 v106, v119
	v_cvt_f16_f32_e32 v119, v121
	;; [unrolled: 1-line block ×3, first 2 shown]
	v_fmac_f32_e32 v112, v104, v118
	v_cvt_f16_f32_e32 v118, v120
	v_dual_fmac_f32 v111, v103, v120 :: v_dual_and_b32 v104, 0xffff, v106
	v_and_b32_e32 v106, 0xffff, v119
	v_and_b32_e32 v119, 0xffff, v65
	;; [unrolled: 1-line block ×3, first 2 shown]
	s_delay_alu instid0(VALU_DEP_4)
	v_mul_u32_u24_e32 v103, 0x10001, v104
	v_lshrrev_b32_e32 v65, 16, v65
	v_mul_u32_u24_e32 v104, 0x10001, v106
	v_and_b32_e32 v106, 0xffff, v118
	v_and_b32_e32 v118, 0xffff, v64
	v_lshrrev_b32_e32 v64, 16, v64
	v_mul_u32_u24_e32 v119, 0x10001, v119
	v_mul_u32_u24_e32 v105, 0x10001, v105
	;; [unrolled: 1-line block ×5, first 2 shown]
	v_and_b32_e32 v120, 0xffff, v66
	v_lshrrev_b32_e32 v66, 16, v66
	v_and_b32_e32 v121, 0xffff, v67
	v_mul_u32_u24_e32 v65, 0x10001, v65
	v_lshrrev_b32_e32 v67, 16, v67
	v_pk_mul_f16 v101, v101, v103
	v_pk_mul_f16 v93, v93, v104
	;; [unrolled: 1-line block ×6, first 2 shown]
	v_mul_u32_u24_e32 v120, 0x10001, v120
	v_mul_u32_u24_e32 v66, 0x10001, v66
	;; [unrolled: 1-line block ×4, first 2 shown]
	v_lshrrev_b32_e32 v61, 16, v61
	v_pk_mul_f16 v87, v87, v105
	v_pk_mul_f16 v82, v82, v106
	v_pk_fma_f16 v100, v100, v103, v150
	v_pk_fma_f16 v89, v89, v104, v151
	;; [unrolled: 1-line block ×6, first 2 shown]
	v_mul_u32_u24_e32 v122, 0x10001, v122
	v_mul_u32_u24_e32 v60, 0x10001, v60
	;; [unrolled: 1-line block ×3, first 2 shown]
	v_and_b32_e32 v124, 0xffff, v62
	v_lshrrev_b32_e32 v62, 16, v62
	v_and_b32_e32 v125, 0xffff, v63
	v_mul_u32_u24_e32 v61, 0x10001, v61
	v_lshrrev_b32_e32 v63, 16, v63
	v_pk_fma_f16 v87, v33, v119, v87
	v_pk_fma_f16 v33, v33, v65, v82
	;; [unrolled: 1-line block ×8, first 2 shown]
	v_mul_u32_u24_e32 v124, 0x10001, v124
	v_mul_u32_u24_e32 v62, 0x10001, v62
	;; [unrolled: 1-line block ×4, first 2 shown]
	v_lshrrev_b32_e32 v57, 16, v57
	v_pk_fma_f16 v66, v35, v121, v87
	v_pk_fma_f16 v33, v35, v67, v33
	v_pk_fma_f16 v35, v28, v122, v65
	v_pk_fma_f16 v65, v28, v60, v82
	v_pk_fma_f16 v67, v28, v123, v86
	v_pk_fma_f16 v28, v28, v61, v32
	v_pk_fma_f16 v32, v29, v122, v34
	v_pk_fma_f16 v34, v29, v60, v64
	v_mul_u32_u24_e32 v126, 0x10001, v126
	v_mul_u32_u24_e32 v56, 0x10001, v56
	;; [unrolled: 1-line block ×3, first 2 shown]
	v_and_b32_e32 v128, 0xffff, v58
	v_lshrrev_b32_e32 v58, 16, v58
	v_and_b32_e32 v129, 0xffff, v59
	v_mul_u32_u24_e32 v57, 0x10001, v57
	v_lshrrev_b32_e32 v59, 16, v59
	v_pk_fma_f16 v60, v29, v123, v66
	v_pk_fma_f16 v29, v29, v61, v33
	;; [unrolled: 1-line block ×8, first 2 shown]
	v_mul_u32_u24_e32 v128, 0x10001, v128
	v_mul_u32_u24_e32 v58, 0x10001, v58
	;; [unrolled: 1-line block ×3, first 2 shown]
	v_and_b32_e32 v130, 0xffff, v52
	v_lshrrev_b32_e32 v52, 16, v52
	v_and_b32_e32 v131, 0xffff, v53
	v_mul_u32_u24_e32 v59, 0x10001, v59
	v_lshrrev_b32_e32 v53, 16, v53
	v_pk_fma_f16 v34, v31, v125, v60
	v_pk_fma_f16 v29, v31, v63, v29
	;; [unrolled: 1-line block ×8, first 2 shown]
	v_mul_u32_u24_e32 v130, 0x10001, v130
	v_mul_u32_u24_e32 v52, 0x10001, v52
	;; [unrolled: 1-line block ×4, first 2 shown]
	v_pk_fma_f16 v32, v25, v127, v34
	v_pk_fma_f16 v25, v25, v57, v29
	;; [unrolled: 1-line block ×8, first 2 shown]
	v_and_b32_e32 v134, 0xffff, v48
	v_lshrrev_b32_e32 v48, 16, v48
	v_and_b32_e32 v135, 0xffff, v49
	v_mul_u32_u24_e32 v55, 0x10001, v55
	v_lshrrev_b32_e32 v49, 16, v49
	v_pk_fma_f16 v30, v27, v129, v32
	v_pk_fma_f16 v25, v27, v59, v25
	v_pk_fma_f16 v27, v20, v130, v29
	v_pk_fma_f16 v29, v20, v52, v31
	v_pk_fma_f16 v31, v20, v131, v33
	v_pk_fma_f16 v20, v20, v53, v24
	v_pk_fma_f16 v24, v21, v130, v26
	v_pk_fma_f16 v26, v21, v52, v28
	v_mul_u32_u24_e32 v134, 0x10001, v134
	v_mul_u32_u24_e32 v48, 0x10001, v48
	v_mul_u32_u24_e32 v135, 0x10001, v135
	v_and_b32_e32 v136, 0xffff, v50
	v_lshrrev_b32_e32 v50, 16, v50
	v_and_b32_e32 v137, 0xffff, v51
	v_mul_u32_u24_e32 v49, 0x10001, v49
	v_lshrrev_b32_e32 v51, 16, v51
	v_pk_fma_f16 v28, v21, v131, v30
	v_pk_fma_f16 v21, v21, v53, v25
	v_pk_fma_f16 v25, v22, v132, v27
	v_pk_fma_f16 v27, v22, v54, v29
	v_pk_fma_f16 v29, v22, v133, v31
	v_pk_fma_f16 v20, v22, v55, v20
	v_pk_fma_f16 v22, v23, v132, v24
	v_pk_fma_f16 v24, v23, v54, v26
	v_mul_u32_u24_e32 v136, 0x10001, v136
	v_mul_u32_u24_e32 v50, 0x10001, v50
	v_mul_u32_u24_e32 v137, 0x10001, v137
	;; [unrolled: 16-line block ×6, first 2 shown]
	v_mul_u32_u24_e32 v43, 0x10001, v43
	v_pk_fma_f16 v18, v15, v141, v20
	v_pk_fma_f16 v13, v15, v47, v13
	;; [unrolled: 1-line block ×8, first 2 shown]
	v_and_b32_e32 v146, 0xffff, v36
	v_lshrrev_b32_e32 v36, 16, v36
	v_and_b32_e32 v147, 0xffff, v37
	v_lshrrev_b32_e32 v37, 16, v37
	v_pk_fma_f16 v16, v9, v143, v18
	v_pk_fma_f16 v9, v9, v41, v13
	;; [unrolled: 1-line block ×8, first 2 shown]
	s_wait_loadcnt_dscnt 0x0
	s_barrier_signal -1
	s_barrier_wait -1
	global_inv scope:SCOPE_SE
	ds_load_b128 v[12:15], v94 offset:128
	v_mul_u32_u24_e32 v146, 0x10001, v146
	v_mul_u32_u24_e32 v36, 0x10001, v36
	;; [unrolled: 1-line block ×4, first 2 shown]
	v_pk_fma_f16 v16, v11, v145, v16
	v_pk_fma_f16 v9, v11, v43, v9
	v_and_b32_e32 v148, 0xffff, v38
	v_lshrrev_b32_e32 v38, 16, v38
	v_and_b32_e32 v149, 0xffff, v39
	v_lshrrev_b32_e32 v39, 16, v39
	v_pk_fma_f16 v18, v4, v146, v18
	v_pk_fma_f16 v17, v4, v36, v17
	v_pk_fma_f16 v19, v4, v147, v19
	v_pk_fma_f16 v4, v4, v37, v8
	v_pk_fma_f16 v21, v5, v146, v10
	v_pk_fma_f16 v20, v5, v36, v20
	v_pk_fma_f16 v16, v5, v147, v16
	v_pk_fma_f16 v5, v5, v37, v9
	ds_load_2addr_b64 v[8:11], v117 offset1:24
	v_mul_u32_u24_e32 v148, 0x10001, v148
	v_mul_u32_u24_e32 v38, 0x10001, v38
	;; [unrolled: 1-line block ×4, first 2 shown]
	s_delay_alu instid0(VALU_DEP_4) | instskip(NEXT) | instid1(VALU_DEP_4)
	v_pk_fma_f16 v24, v6, v148, v18
	v_pk_fma_f16 v25, v6, v38, v17
	s_delay_alu instid0(VALU_DEP_4) | instskip(NEXT) | instid1(VALU_DEP_4)
	v_pk_fma_f16 v26, v6, v149, v19
	v_pk_fma_f16 v27, v6, v39, v4
	;; [unrolled: 1-line block ×3, first 2 shown]
	ds_load_b128 v[16:19], v94 offset:144
	s_wait_dscnt 0x2
	v_and_b32_e32 v4, 0xffff, v12
	v_lshrrev_b32_e32 v6, 16, v12
	v_and_b32_e32 v12, 0xffff, v13
	v_lshrrev_b32_e32 v13, 16, v13
	v_pk_fma_f16 v28, v7, v148, v21
	v_pk_fma_f16 v29, v7, v38, v20
	v_mul_u32_u24_e32 v32, 0x10001, v4
	v_mul_u32_u24_e32 v33, 0x10001, v6
	;; [unrolled: 1-line block ×4, first 2 shown]
	v_and_b32_e32 v13, 0xffff, v14
	v_lshrrev_b32_e32 v14, 16, v14
	v_pk_fma_f16 v31, v7, v39, v5
	ds_load_b128 v[4:7], v94 offset:160
	ds_load_b128 v[20:23], v94 offset:176
	s_wait_dscnt 0x3
	v_pk_fma_f16 v24, v8, v32, v24
	v_pk_fma_f16 v25, v8, v33, v25
	;; [unrolled: 1-line block ×7, first 2 shown]
	v_and_b32_e32 v30, 0xffff, v15
	v_lshrrev_b32_e32 v32, 16, v15
	v_mul_u32_u24_e32 v33, 0x10001, v13
	v_mul_u32_u24_e32 v35, 0x10001, v14
	ds_load_2addr_b64 v[12:15], v117 offset0:48 offset1:72
	v_mul_u32_u24_e32 v30, 0x10001, v30
	v_mul_u32_u24_e32 v32, 0x10001, v32
	v_pk_fma_f16 v9, v9, v34, v31
	v_pk_fma_f16 v24, v10, v33, v24
	;; [unrolled: 1-line block ×7, first 2 shown]
	s_wait_dscnt 0x3
	v_and_b32_e32 v28, 0xffff, v16
	v_lshrrev_b32_e32 v16, 16, v16
	v_and_b32_e32 v31, 0xffff, v17
	v_lshrrev_b32_e32 v17, 16, v17
	v_pk_fma_f16 v29, v11, v30, v29
	v_mul_u32_u24_e32 v28, 0x10001, v28
	v_mul_u32_u24_e32 v16, 0x10001, v16
	;; [unrolled: 1-line block ×4, first 2 shown]
	v_pk_fma_f16 v31, v11, v32, v9
	s_wait_dscnt 0x0
	v_pk_fma_f16 v24, v12, v28, v24
	v_pk_fma_f16 v25, v12, v16, v25
	;; [unrolled: 1-line block ×4, first 2 shown]
	v_and_b32_e32 v8, 0xffff, v18
	v_lshrrev_b32_e32 v9, 16, v18
	v_pk_fma_f16 v28, v13, v28, v10
	v_pk_fma_f16 v16, v13, v16, v27
	;; [unrolled: 1-line block ×3, first 2 shown]
	v_and_b32_e32 v27, 0xffff, v19
	v_lshrrev_b32_e32 v19, 16, v19
	v_mul_u32_u24_e32 v29, 0x10001, v8
	v_mul_u32_u24_e32 v30, 0x10001, v9
	ds_load_2addr_b64 v[8:11], v117 offset0:96 offset1:120
	v_mul_u32_u24_e32 v27, 0x10001, v27
	v_mul_u32_u24_e32 v19, 0x10001, v19
	v_pk_fma_f16 v13, v13, v17, v31
	v_pk_fma_f16 v17, v14, v29, v24
	;; [unrolled: 1-line block ×6, first 2 shown]
	v_and_b32_e32 v26, 0xffff, v4
	v_lshrrev_b32_e32 v4, 16, v4
	v_and_b32_e32 v28, 0xffff, v5
	v_lshrrev_b32_e32 v5, 16, v5
	v_pk_fma_f16 v16, v15, v30, v16
	v_pk_fma_f16 v18, v15, v27, v18
	v_mul_u32_u24_e32 v26, 0x10001, v26
	v_mul_u32_u24_e32 v4, 0x10001, v4
	;; [unrolled: 1-line block ×4, first 2 shown]
	v_pk_fma_f16 v13, v15, v19, v13
	s_wait_dscnt 0x0
	v_pk_fma_f16 v15, v8, v26, v17
	v_pk_fma_f16 v17, v8, v4, v24
	;; [unrolled: 1-line block ×6, first 2 shown]
	v_and_b32_e32 v4, 0xffff, v6
	v_lshrrev_b32_e32 v5, 16, v6
	v_pk_fma_f16 v16, v9, v27, v18
	v_and_b32_e32 v18, 0xffff, v7
	v_lshrrev_b32_e32 v24, 16, v7
	v_mul_u32_u24_e32 v25, 0x10001, v4
	v_mul_u32_u24_e32 v26, 0x10001, v5
	ds_load_2addr_b64 v[4:7], v117 offset0:144 offset1:168
	v_mul_u32_u24_e32 v18, 0x10001, v18
	v_mul_u32_u24_e32 v24, 0x10001, v24
	v_pk_fma_f16 v9, v9, v28, v13
	v_pk_fma_f16 v13, v10, v25, v15
	;; [unrolled: 1-line block ×7, first 2 shown]
	v_and_b32_e32 v14, 0xffff, v20
	v_lshrrev_b32_e32 v19, 16, v20
	v_and_b32_e32 v20, 0xffff, v21
	v_lshrrev_b32_e32 v21, 16, v21
	v_pk_fma_f16 v16, v11, v18, v16
	v_mul_u32_u24_e32 v14, 0x10001, v14
	v_mul_u32_u24_e32 v18, 0x10001, v19
	;; [unrolled: 1-line block ×4, first 2 shown]
	v_pk_fma_f16 v21, v11, v24, v9
	s_wait_dscnt 0x0
	v_pk_fma_f16 v24, v4, v14, v13
	v_pk_fma_f16 v25, v4, v18, v15
	;; [unrolled: 1-line block ×5, first 2 shown]
	ds_load_b128 v[8:11], v94 offset:192
	v_pk_fma_f16 v18, v5, v18, v12
	v_and_b32_e32 v12, 0xffff, v22
	v_lshrrev_b32_e32 v13, 16, v22
	v_and_b32_e32 v14, 0xffff, v23
	v_pk_fma_f16 v22, v5, v19, v16
	v_lshrrev_b32_e32 v16, 16, v23
	v_mul_u32_u24_e32 v19, 0x10001, v12
	v_mul_u32_u24_e32 v23, 0x10001, v13
	;; [unrolled: 1-line block ×3, first 2 shown]
	ds_load_2addr_b64 v[12:15], v117 offset0:192 offset1:216
	v_mul_u32_u24_e32 v28, 0x10001, v16
	v_pk_fma_f16 v5, v5, v20, v21
	v_pk_fma_f16 v20, v6, v19, v24
	;; [unrolled: 1-line block ×7, first 2 shown]
	ds_load_b128 v[16:19], v94 offset:208
	s_wait_dscnt 0x2
	v_and_b32_e32 v25, 0xffff, v8
	v_lshrrev_b32_e32 v8, 16, v8
	v_and_b32_e32 v26, 0xffff, v9
	v_lshrrev_b32_e32 v9, 16, v9
	v_pk_fma_f16 v22, v7, v27, v22
	v_mul_u32_u24_e32 v25, 0x10001, v25
	v_mul_u32_u24_e32 v8, 0x10001, v8
	;; [unrolled: 1-line block ×4, first 2 shown]
	v_pk_fma_f16 v27, v7, v28, v5
	s_wait_dscnt 0x1
	v_pk_fma_f16 v20, v12, v25, v20
	v_pk_fma_f16 v21, v12, v8, v21
	;; [unrolled: 1-line block ×4, first 2 shown]
	v_and_b32_e32 v4, 0xffff, v10
	v_lshrrev_b32_e32 v5, 16, v10
	v_pk_fma_f16 v25, v13, v25, v6
	v_pk_fma_f16 v8, v13, v8, v23
	;; [unrolled: 1-line block ×3, first 2 shown]
	v_and_b32_e32 v22, 0xffff, v11
	v_lshrrev_b32_e32 v11, 16, v11
	v_mul_u32_u24_e32 v23, 0x10001, v4
	v_mul_u32_u24_e32 v26, 0x10001, v5
	ds_load_2addr_b64 v[4:7], v116 offset0:112 offset1:136
	v_mul_u32_u24_e32 v22, 0x10001, v22
	v_mul_u32_u24_e32 v11, 0x10001, v11
	v_pk_fma_f16 v9, v13, v9, v27
	v_pk_fma_f16 v13, v14, v23, v20
	v_pk_fma_f16 v20, v14, v26, v21
	v_pk_fma_f16 v21, v14, v22, v24
	v_pk_fma_f16 v12, v14, v11, v12
	v_pk_fma_f16 v14, v15, v23, v25
	v_pk_fma_f16 v23, v15, v26, v8
	s_wait_dscnt 0x1
	v_and_b32_e32 v8, 0xffff, v16
	v_lshrrev_b32_e32 v16, 16, v16
	v_and_b32_e32 v24, 0xffff, v17
	v_lshrrev_b32_e32 v17, 16, v17
	v_pk_fma_f16 v22, v15, v22, v10
	v_mul_u32_u24_e32 v8, 0x10001, v8
	v_mul_u32_u24_e32 v16, 0x10001, v16
	;; [unrolled: 1-line block ×4, first 2 shown]
	v_pk_fma_f16 v25, v15, v11, v9
	s_wait_dscnt 0x0
	v_pk_fma_f16 v26, v4, v8, v13
	v_pk_fma_f16 v27, v5, v8, v14
	ds_load_b128 v[8:11], v94 offset:224
	v_pk_fma_f16 v20, v4, v16, v20
	v_pk_fma_f16 v21, v4, v24, v21
	;; [unrolled: 1-line block ×3, first 2 shown]
	v_and_b32_e32 v12, 0xffff, v18
	v_lshrrev_b32_e32 v13, 16, v18
	v_and_b32_e32 v14, 0xffff, v19
	v_pk_fma_f16 v16, v5, v16, v23
	v_pk_fma_f16 v22, v5, v24, v22
	v_lshrrev_b32_e32 v18, 16, v19
	v_mul_u32_u24_e32 v19, 0x10001, v12
	v_mul_u32_u24_e32 v23, 0x10001, v13
	;; [unrolled: 1-line block ×3, first 2 shown]
	ds_load_2addr_b64 v[12:15], v115 offset0:32 offset1:56
	v_mul_u32_u24_e32 v28, 0x10001, v18
	v_pk_fma_f16 v5, v5, v17, v25
	v_pk_fma_f16 v25, v6, v19, v26
	;; [unrolled: 1-line block ×7, first 2 shown]
	ds_load_b128 v[16:19], v94 offset:240
	s_wait_dscnt 0x2
	v_and_b32_e32 v26, 0xffff, v8
	v_lshrrev_b32_e32 v8, 16, v8
	v_and_b32_e32 v27, 0xffff, v9
	v_lshrrev_b32_e32 v9, 16, v9
	v_pk_fma_f16 v22, v7, v24, v22
	v_mul_u32_u24_e32 v24, 0x10001, v26
	v_mul_u32_u24_e32 v8, 0x10001, v8
	;; [unrolled: 1-line block ×4, first 2 shown]
	v_pk_fma_f16 v27, v7, v28, v5
	s_wait_dscnt 0x1
	v_pk_fma_f16 v25, v12, v24, v25
	v_pk_fma_f16 v20, v12, v8, v20
	;; [unrolled: 1-line block ×4, first 2 shown]
	v_and_b32_e32 v4, 0xffff, v10
	v_lshrrev_b32_e32 v5, 16, v10
	v_pk_fma_f16 v24, v13, v24, v6
	v_pk_fma_f16 v8, v13, v8, v23
	;; [unrolled: 1-line block ×3, first 2 shown]
	v_and_b32_e32 v22, 0xffff, v11
	v_lshrrev_b32_e32 v11, 16, v11
	v_mul_u32_u24_e32 v23, 0x10001, v4
	v_mul_u32_u24_e32 v26, 0x10001, v5
	ds_load_2addr_b64 v[4:7], v115 offset0:80 offset1:104
	v_mul_u32_u24_e32 v22, 0x10001, v22
	v_mul_u32_u24_e32 v11, 0x10001, v11
	s_wait_loadcnt_dscnt 0x0
	s_barrier_signal -1
	s_barrier_wait -1
	global_inv scope:SCOPE_SE
	s_load_b32 s6, s[42:43], 0x4
	v_pk_fma_f16 v9, v13, v9, v27
	v_pk_fma_f16 v13, v14, v23, v25
	;; [unrolled: 1-line block ×6, first 2 shown]
	v_and_b32_e32 v23, 0xffff, v16
	v_lshrrev_b32_e32 v16, 16, v16
	v_and_b32_e32 v24, 0xffff, v17
	v_lshrrev_b32_e32 v17, 16, v17
	v_pk_fma_f16 v8, v15, v26, v8
	v_pk_fma_f16 v10, v15, v22, v10
	v_mul_u32_u24_e32 v22, 0x10001, v23
	v_mul_u32_u24_e32 v16, 0x10001, v16
	;; [unrolled: 1-line block ×4, first 2 shown]
	v_pk_fma_f16 v9, v15, v11, v9
	v_pk_fma_f16 v11, v4, v22, v13
	v_pk_fma_f16 v13, v4, v16, v20
	v_pk_fma_f16 v15, v4, v23, v21
	v_pk_fma_f16 v4, v4, v17, v12
	v_pk_fma_f16 v12, v5, v22, v14
	v_pk_fma_f16 v8, v5, v16, v8
	v_and_b32_e32 v14, 0xffff, v18
	v_lshrrev_b32_e32 v16, 16, v18
	v_and_b32_e32 v18, 0xffff, v19
	v_lshrrev_b32_e32 v19, 16, v19
	v_pk_fma_f16 v10, v5, v23, v10
	v_mul_u32_u24_e32 v14, 0x10001, v14
	v_mul_u32_u24_e32 v16, 0x10001, v16
	;; [unrolled: 1-line block ×4, first 2 shown]
	v_pk_fma_f16 v5, v5, v17, v9
	s_wait_kmcnt 0x0
	s_lshl_b32 s6, s6, 5
	v_pk_fma_f16 v100, v6, v14, v11
	v_pk_fma_f16 v89, v6, v16, v13
	;; [unrolled: 1-line block ×8, first 2 shown]
	s_wait_alu 0xfffe
	s_add_co_i32 s18, s6, s18
	s_wait_alu 0xfffe
	s_cmp_ge_i32 s18, s30
	s_cbranch_scc1 .LBB5_29
; %bb.28:                               ;   in Loop: Header=BB5_11 Depth=1
	v_dual_mov_b32 v5, v0 :: v_dual_mov_b32 v6, v2
	v_dual_mov_b32 v7, v1 :: v_dual_mov_b32 v4, v3
	v_dual_mov_b32 v106, v113 :: v_dual_mov_b32 v105, v114
	v_dual_mov_b32 v104, v112 :: v_dual_mov_b32 v103, v111
	s_branch .LBB5_11
.LBB5_29:
	v_mov_b32_e32 v4, v83
.LBB5_30:
	v_cmp_lt_i32_e32 vcc_lo, v102, v85
	s_cmp_lg_u64 s[16:17], 0
	s_cselect_b32 s3, -1, 0
	s_cmp_eq_u32 s15, 0
	s_wait_alu 0xfffd
	v_cndmask_b32_e32 v5, v4, v102, vcc_lo
	v_cmp_lt_i32_e32 vcc_lo, v107, v85
	s_cselect_b32 s4, -1, 0
	s_wait_alu 0xfffe
	s_and_b32 s3, s4, s3
	v_lshlrev_b32_e32 v5, 2, v5
	ds_bpermute_b32 v6, v5, v113
	s_wait_dscnt 0x0
	v_add_f32_e32 v6, v113, v6
	ds_bpermute_b32 v8, v5, v112
	s_wait_alu 0xfffd
	v_cndmask_b32_e32 v9, v4, v107, vcc_lo
	ds_bpermute_b32 v7, v5, v114
	v_cmp_lt_i32_e32 vcc_lo, v108, v85
	ds_bpermute_b32 v5, v5, v111
	v_lshlrev_b32_e32 v9, 2, v9
	s_wait_alu 0xfffd
	v_cndmask_b32_e32 v13, v4, v108, vcc_lo
	v_cmp_lt_i32_e32 vcc_lo, v109, v85
	s_wait_dscnt 0x2
	s_delay_alu instid0(VALU_DEP_2)
	v_dual_add_f32 v8, v112, v8 :: v_dual_lshlrev_b32 v13, 2, v13
	ds_bpermute_b32 v10, v9, v6
	ds_bpermute_b32 v12, v9, v8
	s_wait_dscnt 0x3
	v_add_f32_e32 v7, v114, v7
	s_wait_dscnt 0x1
	v_add_f32_e32 v6, v6, v10
	;; [unrolled: 2-line block ×3, first 2 shown]
	ds_bpermute_b32 v11, v9, v7
	s_wait_dscnt 0x0
	v_add_f32_e32 v7, v7, v11
	ds_bpermute_b32 v11, v13, v8
	v_add_f32_e32 v5, v111, v5
	ds_bpermute_b32 v10, v13, v7
	s_wait_dscnt 0x1
	v_add_f32_e32 v8, v8, v11
	ds_bpermute_b32 v9, v9, v5
	s_wait_dscnt 0x0
	v_add_f32_e32 v5, v5, v9
	ds_bpermute_b32 v9, v13, v6
	ds_bpermute_b32 v12, v13, v5
	s_wait_alu 0xfffd
	v_cndmask_b32_e32 v13, v4, v109, vcc_lo
	v_cmp_lt_i32_e32 vcc_lo, v110, v85
	s_wait_alu 0xfffd
	s_delay_alu instid0(VALU_DEP_2)
	v_dual_cndmask_b32 v4, v4, v110 :: v_dual_lshlrev_b32 v13, 2, v13
	s_wait_alu 0xfffe
	s_and_b32 vcc_lo, exec_lo, s3
	ds_bpermute_b32 v11, v13, v8
	v_lshlrev_b32_e32 v4, 2, v4
	s_wait_dscnt 0x2
	v_add_f32_e32 v6, v6, v9
	ds_bpermute_b32 v9, v13, v6
	s_wait_dscnt 0x1
	v_dual_add_f32 v8, v8, v11 :: v_dual_add_f32 v5, v5, v12
	ds_bpermute_b32 v11, v4, v8
	ds_bpermute_b32 v12, v13, v5
	s_wait_dscnt 0x0
	v_dual_add_f32 v6, v6, v9 :: v_dual_add_f32 v9, v5, v12
	ds_bpermute_b32 v5, v4, v6
	v_add_f32_e32 v7, v7, v10
	ds_bpermute_b32 v12, v4, v9
	ds_bpermute_b32 v10, v13, v7
	s_wait_dscnt 0x0
	v_add_f32_e32 v7, v7, v10
	ds_bpermute_b32 v10, v4, v7
	v_add_f32_e32 v4, v6, v5
	s_wait_dscnt 0x0
	v_dual_add_f32 v6, v8, v11 :: v_dual_add_f32 v5, v7, v10
	v_add_f32_e32 v7, v9, v12
	s_wait_alu 0xfffe
	s_cbranch_vccz .LBB5_33
; %bb.31:
	v_dual_max_num_f32 v13, v1, v1 :: v_dual_add_nc_u32 v8, s31, v80
	s_delay_alu instid0(VALU_DEP_1) | instskip(NEXT) | instid1(VALU_DEP_1)
	v_ashrrev_i32_e32 v9, 31, v8
	v_lshlrev_b64_e32 v[8:9], 2, v[8:9]
	s_delay_alu instid0(VALU_DEP_1) | instskip(SKIP_1) | instid1(VALU_DEP_2)
	v_add_co_u32 v8, vcc_lo, s16, v8
	s_wait_alu 0xfffd
	v_add_co_ci_u32_e64 v9, null, s17, v9, vcc_lo
	global_load_b128 v[8:11], v[8:9], off
	v_max_num_f32_e32 v12, v0, v0
	s_wait_loadcnt 0x0
	v_dual_max_num_f32 v14, v2, v2 :: v_dual_max_num_f32 v15, v8, v8
	v_dual_max_num_f32 v17, v9, v9 :: v_dual_max_num_f32 v16, v3, v3
	;; [unrolled: 1-line block ×3, first 2 shown]
	s_delay_alu instid0(VALU_DEP_2) | instskip(NEXT) | instid1(VALU_DEP_2)
	v_dual_max_num_f32 v13, v13, v17 :: v_dual_max_num_f32 v12, v12, v15
	v_dual_max_num_f32 v14, v14, v18 :: v_dual_max_num_f32 v15, v16, v19
	s_delay_alu instid0(VALU_DEP_2) | instskip(SKIP_1) | instid1(VALU_DEP_3)
	v_dual_sub_f32 v17, v1, v13 :: v_dual_sub_f32 v16, v0, v12
	v_dual_sub_f32 v9, v9, v13 :: v_dual_sub_f32 v8, v8, v12
	;; [unrolled: 1-line block ×3, first 2 shown]
	v_dual_sub_f32 v11, v11, v15 :: v_dual_mov_b32 v0, v12
	v_dual_mov_b32 v3, v15 :: v_dual_sub_f32 v10, v10, v14
	v_dual_mov_b32 v1, v13 :: v_dual_mov_b32 v2, v14
	v_mul_f32_e32 v13, 0x3fb8aa3b, v8
	v_dual_mul_f32 v12, 0x3fb8aa3b, v16 :: v_dual_mul_f32 v15, 0x3fb8aa3b, v9
	s_delay_alu instid0(VALU_DEP_4) | instskip(NEXT) | instid1(VALU_DEP_3)
	v_dual_mul_f32 v14, 0x3fb8aa3b, v17 :: v_dual_mul_f32 v21, 0x3fb8aa3b, v10
	v_fma_f32 v26, 0x3fb8aa3b, v8, -v13
	s_delay_alu instid0(VALU_DEP_3)
	v_fma_f32 v24, 0x3fb8aa3b, v16, -v12
	v_rndne_f32_e32 v25, v12
	v_rndne_f32_e32 v27, v13
	;; [unrolled: 1-line block ×3, first 2 shown]
	v_fma_f32 v30, 0x3fb8aa3b, v9, -v15
	v_fmac_f32_e32 v24, 0x32a5705f, v16
	v_sub_f32_e32 v12, v12, v25
	v_fma_f32 v34, 0x3fb8aa3b, v10, -v21
	v_rndne_f32_e32 v35, v21
	v_dual_fmac_f32 v26, 0x32a5705f, v8 :: v_dual_sub_f32 v13, v13, v27
	s_delay_alu instid0(VALU_DEP_4)
	v_dual_sub_f32 v15, v15, v31 :: v_dual_add_f32 v12, v12, v24
	v_dual_mul_f32 v20, 0x3fb8aa3b, v18 :: v_dual_mul_f32 v23, 0x3fb8aa3b, v11
	v_fma_f32 v28, 0x3fb8aa3b, v17, -v14
	v_rndne_f32_e32 v29, v14
	v_dual_fmac_f32 v34, 0x32a5705f, v10 :: v_dual_sub_f32 v21, v21, v35
	v_dual_mul_f32 v22, 0x3fb8aa3b, v19 :: v_dual_add_f32 v13, v13, v26
	v_exp_f32_e32 v12, v12
	v_rndne_f32_e32 v39, v23
	v_cvt_i32_f32_e32 v25, v25
	v_fmac_f32_e32 v28, 0x32a5705f, v17
	v_dual_fmac_f32 v30, 0x32a5705f, v9 :: v_dual_add_f32 v21, v21, v34
	v_sub_f32_e32 v14, v14, v29
	v_exp_f32_e32 v13, v13
	v_fma_f32 v32, 0x3fb8aa3b, v18, -v20
	v_rndne_f32_e32 v33, v20
	v_fma_f32 v38, 0x3fb8aa3b, v11, -v23
	v_cvt_i32_f32_e32 v27, v27
	v_sub_f32_e32 v23, v23, v39
	v_dual_add_f32 v15, v15, v30 :: v_dual_add_f32 v14, v14, v28
	v_ldexp_f32 v12, v12, v25
	v_cmp_ngt_f32_e32 vcc_lo, 0xc2ce8ed0, v16
	v_fmac_f32_e32 v38, 0x32a5705f, v11
	v_sub_f32_e32 v20, v20, v33
	v_exp_f32_e32 v14, v14
	v_ldexp_f32 v13, v13, v27
	s_wait_alu 0xfffd
	v_cndmask_b32_e32 v12, 0, v12, vcc_lo
	v_cmp_ngt_f32_e32 vcc_lo, 0xc2ce8ed0, v8
	v_fmac_f32_e32 v32, 0x32a5705f, v18
	v_cvt_i32_f32_e32 v29, v29
	v_add_f32_e32 v23, v23, v38
	v_exp_f32_e32 v15, v15
	s_wait_alu 0xfffd
	v_dual_cndmask_b32 v13, 0, v13 :: v_dual_add_f32 v20, v20, v32
	v_cvt_i32_f32_e32 v31, v31
	v_ldexp_f32 v14, v14, v29
	v_cmp_ngt_f32_e32 vcc_lo, 0xc2ce8ed0, v17
	v_cvt_i32_f32_e32 v33, v33
	v_exp_f32_e32 v20, v20
	v_exp_f32_e32 v21, v21
	;; [unrolled: 1-line block ×3, first 2 shown]
	v_ldexp_f32 v15, v15, v31
	s_wait_alu 0xfffd
	v_cndmask_b32_e32 v14, 0, v14, vcc_lo
	v_cmp_ngt_f32_e32 vcc_lo, 0xc2ce8ed0, v9
	v_fma_f32 v36, 0x3fb8aa3b, v19, -v22
	v_rndne_f32_e32 v37, v22
	v_cvt_i32_f32_e32 v35, v35
	v_cvt_i32_f32_e32 v26, v39
	v_ldexp_f32 v20, v20, v33
	s_wait_alu 0xfffd
	v_cndmask_b32_e32 v15, 0, v15, vcc_lo
	v_cmp_ngt_f32_e32 vcc_lo, 0xc2ce8ed0, v18
	v_ldexp_f32 v21, v21, v35
	v_ldexp_f32 v23, v23, v26
	v_sub_f32_e32 v22, v22, v37
	v_cvt_i32_f32_e32 v24, v37
	s_wait_alu 0xfffd
	v_cndmask_b32_e32 v20, 0, v20, vcc_lo
	v_cmp_ngt_f32_e32 vcc_lo, 0xc2ce8ed0, v10
	s_wait_alu 0xfffd
	v_dual_fmac_f32 v36, 0x32a5705f, v19 :: v_dual_cndmask_b32 v21, 0, v21
	s_delay_alu instid0(VALU_DEP_1) | instskip(SKIP_1) | instid1(VALU_DEP_2)
	v_add_f32_e32 v22, v22, v36
	v_cmp_ngt_f32_e32 vcc_lo, 0xc2ce8ed0, v19
	v_exp_f32_e32 v22, v22
	s_delay_alu instid0(TRANS32_DEP_1) | instskip(SKIP_1) | instid1(VALU_DEP_1)
	v_ldexp_f32 v22, v22, v24
	s_wait_alu 0xfffd
	v_cndmask_b32_e32 v22, 0, v22, vcc_lo
	v_cmp_ngt_f32_e32 vcc_lo, 0xc2ce8ed0, v11
	s_wait_alu 0xfffd
	v_cndmask_b32_e32 v23, 0, v23, vcc_lo
	v_cmp_nlt_f32_e32 vcc_lo, 0x42b17218, v16
	s_wait_alu 0xfffd
	v_cndmask_b32_e32 v12, 0x7f800000, v12, vcc_lo
	v_cmp_nlt_f32_e32 vcc_lo, 0x42b17218, v8
	s_wait_alu 0xfffd
	v_cndmask_b32_e32 v8, 0x7f800000, v13, vcc_lo
	v_cmp_nlt_f32_e32 vcc_lo, 0x42b17218, v17
	s_wait_alu 0xfffd
	s_delay_alu instid0(VALU_DEP_2)
	v_dual_fmac_f32 v8, v4, v12 :: v_dual_cndmask_b32 v13, 0x7f800000, v14
	v_cmp_nlt_f32_e32 vcc_lo, 0x42b17218, v9
	v_cvt_f16_f32_e32 v4, v12
	s_wait_alu 0xfffd
	v_cndmask_b32_e32 v9, 0x7f800000, v15, vcc_lo
	v_cmp_nlt_f32_e32 vcc_lo, 0x42b17218, v18
	s_delay_alu instid0(VALU_DEP_2) | instskip(SKIP_1) | instid1(VALU_DEP_1)
	v_fmac_f32_e32 v9, v5, v13
	v_cvt_f16_f32_e32 v5, v13
	v_and_b32_e32 v13, 0xffff, v5
	s_wait_alu 0xfffd
	v_cndmask_b32_e32 v14, 0x7f800000, v20, vcc_lo
	v_cmp_nlt_f32_e32 vcc_lo, 0x42b17218, v10
	v_mov_b32_e32 v5, v9
	v_mul_u32_u24_e32 v13, 0x10001, v13
	s_wait_alu 0xfffd
	v_cndmask_b32_e32 v10, 0x7f800000, v21, vcc_lo
	v_cmp_nlt_f32_e32 vcc_lo, 0x42b17218, v19
	s_delay_alu instid0(VALU_DEP_3) | instskip(SKIP_1) | instid1(VALU_DEP_4)
	v_pk_mul_f16 v89, v89, v13
	v_pk_mul_f16 v93, v93, v13
	v_fmac_f32_e32 v10, v6, v14
	s_wait_alu 0xfffd
	v_cndmask_b32_e32 v15, 0x7f800000, v22, vcc_lo
	v_cmp_nlt_f32_e32 vcc_lo, 0x42b17218, v11
	v_cvt_f16_f32_e32 v6, v14
	s_delay_alu instid0(VALU_DEP_3) | instskip(SKIP_2) | instid1(VALU_DEP_3)
	v_cvt_f16_f32_e32 v12, v15
	s_wait_alu 0xfffd
	v_cndmask_b32_e32 v11, 0x7f800000, v23, vcc_lo
	v_and_b32_e32 v14, 0xffff, v6
	v_mov_b32_e32 v6, v10
	s_delay_alu instid0(VALU_DEP_3) | instskip(SKIP_1) | instid1(VALU_DEP_4)
	v_dual_fmac_f32 v11, v7, v15 :: v_dual_and_b32 v12, 0xffff, v12
	v_and_b32_e32 v7, 0xffff, v4
	v_mul_u32_u24_e32 v14, 0x10001, v14
	v_mov_b32_e32 v4, v8
	s_delay_alu instid0(VALU_DEP_4) | instskip(NEXT) | instid1(VALU_DEP_4)
	v_mul_u32_u24_e32 v12, 0x10001, v12
	v_mul_u32_u24_e32 v7, 0x10001, v7
	s_delay_alu instid0(VALU_DEP_4) | instskip(SKIP_1) | instid1(VALU_DEP_4)
	v_pk_mul_f16 v86, v86, v14
	v_pk_mul_f16 v87, v87, v14
	;; [unrolled: 1-line block ×6, first 2 shown]
	v_mov_b32_e32 v7, v11
	s_mov_b32 s3, exec_lo
	v_cmpx_gt_i32_e64 s26, v70
	s_cbranch_execnz .LBB5_34
.LBB5_32:
	s_nop 0
	s_sendmsg sendmsg(MSG_DEALLOC_VGPRS)
	s_endpgm
.LBB5_33:
	s_delay_alu instid0(VALU_DEP_1)
	v_dual_mov_b32 v11, v7 :: v_dual_mov_b32 v10, v6
	v_dual_mov_b32 v9, v5 :: v_dual_mov_b32 v8, v4
	s_mov_b32 s3, exec_lo
	v_cmpx_gt_i32_e64 s26, v70
	s_cbranch_execz .LBB5_32
.LBB5_34:
	s_load_b32 s0, s[0:1], 0xd4
	v_mov_b32_e32 v13, 1.0
	s_wait_kmcnt 0x0
	s_cmp_lg_u32 s0, 1
	s_cselect_b32 s1, -1, 0
	s_cmp_eq_u32 s0, 1
	s_cselect_b32 s3, -1, 0
	s_wait_alu 0xfffe
	s_and_b32 vcc_lo, exec_lo, s1
	s_wait_alu 0xfffe
	s_cbranch_vccnz .LBB5_36
; %bb.35:
	v_div_scale_f32 v12, null, v4, v4, 1.0
	s_delay_alu instid0(VALU_DEP_1) | instskip(NEXT) | instid1(TRANS32_DEP_1)
	v_rcp_f32_e32 v13, v12
	v_fma_f32 v14, -v12, v13, 1.0
	s_delay_alu instid0(VALU_DEP_1) | instskip(SKIP_1) | instid1(VALU_DEP_1)
	v_fmac_f32_e32 v13, v14, v13
	v_div_scale_f32 v14, vcc_lo, 1.0, v4, 1.0
	v_mul_f32_e32 v15, v14, v13
	s_delay_alu instid0(VALU_DEP_1) | instskip(NEXT) | instid1(VALU_DEP_1)
	v_fma_f32 v16, -v12, v15, v14
	v_fmac_f32_e32 v15, v16, v13
	s_delay_alu instid0(VALU_DEP_1) | instskip(SKIP_1) | instid1(VALU_DEP_1)
	v_fma_f32 v12, -v12, v15, v14
	s_wait_alu 0xfffd
	v_div_fmas_f32 v12, v12, v13, v15
	s_delay_alu instid0(VALU_DEP_1)
	v_div_fixup_f32 v13, v12, v4, 1.0
.LBB5_36:
	v_mad_co_u64_u32 v[14:15], null, s28, s26, v[70:71]
	s_delay_alu instid0(VALU_DEP_1) | instskip(NEXT) | instid1(VALU_DEP_1)
	v_mul_lo_u32 v4, v14, s27
	v_add3_u32 v4, s31, v80, v4
	s_delay_alu instid0(VALU_DEP_1) | instskip(NEXT) | instid1(VALU_DEP_1)
	v_mul_lo_u32 v4, s0, v4
	v_add_nc_u32_e32 v12, s15, v4
	s_and_saveexec_b32 s4, s2
	s_cbranch_execz .LBB5_38
; %bb.37:
	v_lshrrev_b32_e32 v16, 16, v101
	s_delay_alu instid0(VALU_DEP_2) | instskip(SKIP_2) | instid1(VALU_DEP_4)
	v_mad_co_u64_u32 v[14:15], null, 0x60, v12, v[68:69]
	v_lshrrev_b32_e32 v17, 16, v100
	v_cvt_f32_f16_e32 v19, v101
	v_cvt_f32_f16_e32 v16, v16
	v_mov_b32_e32 v15, 0
	v_cvt_f32_f16_e32 v20, v100
	v_cvt_f32_f16_e32 v21, v17
	s_delay_alu instid0(VALU_DEP_4) | instskip(NEXT) | instid1(VALU_DEP_4)
	v_mul_f32_e32 v16, v13, v16
	v_lshlrev_b64_e32 v[14:15], 2, v[14:15]
	s_delay_alu instid0(VALU_DEP_1) | instskip(SKIP_1) | instid1(VALU_DEP_2)
	v_add_co_u32 v17, vcc_lo, s20, v14
	s_wait_alu 0xfffd
	v_add_co_ci_u32_e64 v18, null, s21, v15, vcc_lo
	v_mul_f32_e32 v15, v13, v19
	v_mul_f32_e32 v14, v13, v21
	;; [unrolled: 1-line block ×3, first 2 shown]
	global_store_b128 v[17:18], v[13:16], off
.LBB5_38:
	s_wait_alu 0xfffe
	s_or_b32 exec_lo, exec_lo, s4
	v_cmp_eq_u32_e32 vcc_lo, 0, v69
	s_and_b32 s1, vcc_lo, s1
	s_wait_alu 0xfffe
	s_and_saveexec_b32 s4, s1
	s_cbranch_execz .LBB5_40
; %bb.39:
	v_ashrrev_i32_e32 v13, 31, v12
	v_dual_mov_b32 v14, v0 :: v_dual_mov_b32 v15, v8
	s_delay_alu instid0(VALU_DEP_2) | instskip(NEXT) | instid1(VALU_DEP_1)
	v_lshlrev_b64_e32 v[12:13], 3, v[12:13]
	v_add_co_u32 v12, vcc_lo, s22, v12
	s_wait_alu 0xfffd
	s_delay_alu instid0(VALU_DEP_2)
	v_add_co_ci_u32_e64 v13, null, s23, v13, vcc_lo
	global_store_b64 v[12:13], v[14:15], off
.LBB5_40:
	s_wait_alu 0xfffe
	s_or_b32 exec_lo, exec_lo, s4
	v_cndmask_b32_e64 v12, 0, 1, s3
	v_mov_b32_e32 v8, 1.0
	s_and_not1_b32 vcc_lo, exec_lo, s3
	s_wait_alu 0xfffe
	s_cbranch_vccz .LBB5_51
; %bb.41:
	v_add_nc_u32_e32 v0, s0, v4
	s_delay_alu instid0(VALU_DEP_1)
	v_add_nc_u32_e32 v4, s15, v0
	s_and_saveexec_b32 s3, s2
	s_cbranch_execnz .LBB5_52
.LBB5_42:
	s_wait_alu 0xfffe
	s_or_b32 exec_lo, exec_lo, s3
	s_and_saveexec_b32 s3, s1
	s_cbranch_execz .LBB5_44
.LBB5_43:
	v_ashrrev_i32_e32 v5, 31, v4
	v_mov_b32_e32 v8, v1
	s_delay_alu instid0(VALU_DEP_2) | instskip(NEXT) | instid1(VALU_DEP_1)
	v_lshlrev_b64_e32 v[4:5], 3, v[4:5]
	v_add_co_u32 v4, vcc_lo, s22, v4
	s_wait_alu 0xfffd
	s_delay_alu instid0(VALU_DEP_2)
	v_add_co_ci_u32_e64 v5, null, s23, v5, vcc_lo
	global_store_b64 v[4:5], v[8:9], off
.LBB5_44:
	s_wait_alu 0xfffe
	s_or_b32 exec_lo, exec_lo, s3
	v_cmp_ne_u32_e32 vcc_lo, 1, v12
	v_mov_b32_e32 v1, 1.0
	s_cbranch_vccz .LBB5_53
; %bb.45:
	v_add_nc_u32_e32 v4, s0, v0
	s_delay_alu instid0(VALU_DEP_1)
	v_add_nc_u32_e32 v0, s15, v4
	s_and_saveexec_b32 s3, s2
	s_cbranch_execnz .LBB5_54
.LBB5_46:
	s_wait_alu 0xfffe
	s_or_b32 exec_lo, exec_lo, s3
	s_and_saveexec_b32 s3, s1
	s_cbranch_execz .LBB5_48
.LBB5_47:
	v_ashrrev_i32_e32 v1, 31, v0
	v_mov_b32_e32 v9, v2
	s_delay_alu instid0(VALU_DEP_2) | instskip(NEXT) | instid1(VALU_DEP_1)
	v_lshlrev_b64_e32 v[0:1], 3, v[0:1]
	v_add_co_u32 v0, vcc_lo, s22, v0
	s_wait_alu 0xfffd
	s_delay_alu instid0(VALU_DEP_2)
	v_add_co_ci_u32_e64 v1, null, s23, v1, vcc_lo
	global_store_b64 v[0:1], v[9:10], off
.LBB5_48:
	s_wait_alu 0xfffe
	s_or_b32 exec_lo, exec_lo, s3
	v_cmp_ne_u32_e32 vcc_lo, 1, v12
	v_mov_b32_e32 v1, 1.0
	s_cbranch_vccz .LBB5_55
; %bb.49:
	v_add3_u32 v0, s15, s0, v4
	s_and_saveexec_b32 s0, s2
	s_cbranch_execnz .LBB5_56
.LBB5_50:
	s_wait_alu 0xfffe
	s_or_b32 exec_lo, exec_lo, s0
	s_delay_alu instid0(SALU_CYCLE_1)
	s_and_b32 exec_lo, exec_lo, s1
	s_cbranch_execz .LBB5_32
	s_branch .LBB5_57
.LBB5_51:
	v_div_scale_f32 v0, null, v5, v5, 1.0
	s_delay_alu instid0(VALU_DEP_1) | instskip(NEXT) | instid1(TRANS32_DEP_1)
	v_rcp_f32_e32 v8, v0
	v_fma_f32 v13, -v0, v8, 1.0
	s_delay_alu instid0(VALU_DEP_1) | instskip(SKIP_1) | instid1(VALU_DEP_1)
	v_fmac_f32_e32 v8, v13, v8
	v_div_scale_f32 v13, vcc_lo, 1.0, v5, 1.0
	v_mul_f32_e32 v14, v13, v8
	s_delay_alu instid0(VALU_DEP_1) | instskip(NEXT) | instid1(VALU_DEP_1)
	v_fma_f32 v15, -v0, v14, v13
	v_fmac_f32_e32 v14, v15, v8
	s_delay_alu instid0(VALU_DEP_1) | instskip(SKIP_1) | instid1(VALU_DEP_1)
	v_fma_f32 v0, -v0, v14, v13
	s_wait_alu 0xfffd
	v_div_fmas_f32 v0, v0, v8, v14
	s_delay_alu instid0(VALU_DEP_1) | instskip(SKIP_1) | instid1(VALU_DEP_1)
	v_div_fixup_f32 v8, v0, v5, 1.0
	v_add_nc_u32_e32 v0, s0, v4
	v_add_nc_u32_e32 v4, s15, v0
	s_and_saveexec_b32 s3, s2
	s_cbranch_execz .LBB5_42
.LBB5_52:
	s_delay_alu instid0(VALU_DEP_1)
	v_mad_co_u64_u32 v[13:14], null, 0x60, v4, v[68:69]
	v_lshrrev_b32_e32 v15, 16, v89
	v_cvt_f32_f16_e32 v19, v93
	v_mov_b32_e32 v14, 0
	v_lshrrev_b32_e32 v5, 16, v93
	v_cvt_f32_f16_e32 v20, v89
	v_cvt_f32_f16_e32 v21, v15
	v_mul_f32_e32 v15, v8, v19
	v_lshlrev_b64_e32 v[13:14], 2, v[13:14]
	v_cvt_f32_f16_e32 v5, v5
	s_delay_alu instid0(VALU_DEP_1) | instskip(NEXT) | instid1(VALU_DEP_3)
	v_mul_f32_e32 v16, v8, v5
	v_add_co_u32 v17, vcc_lo, s20, v13
	s_wait_alu 0xfffd
	s_delay_alu instid0(VALU_DEP_4)
	v_add_co_ci_u32_e64 v18, null, s21, v14, vcc_lo
	v_mul_f32_e32 v14, v8, v21
	v_mul_f32_e32 v13, v8, v20
	global_store_b128 v[17:18], v[13:16], off
	s_wait_alu 0xfffe
	s_or_b32 exec_lo, exec_lo, s3
	s_and_saveexec_b32 s3, s1
	s_cbranch_execnz .LBB5_43
	s_branch .LBB5_44
.LBB5_53:
	v_div_scale_f32 v1, null, v6, v6, 1.0
	s_delay_alu instid0(VALU_DEP_1) | instskip(NEXT) | instid1(TRANS32_DEP_1)
	v_rcp_f32_e32 v4, v1
	v_fma_f32 v5, -v1, v4, 1.0
	s_delay_alu instid0(VALU_DEP_1) | instskip(SKIP_1) | instid1(VALU_DEP_1)
	v_fmac_f32_e32 v4, v5, v4
	v_div_scale_f32 v5, vcc_lo, 1.0, v6, 1.0
	v_mul_f32_e32 v8, v5, v4
	s_delay_alu instid0(VALU_DEP_1) | instskip(NEXT) | instid1(VALU_DEP_1)
	v_fma_f32 v9, -v1, v8, v5
	v_fmac_f32_e32 v8, v9, v4
	s_delay_alu instid0(VALU_DEP_1) | instskip(SKIP_1) | instid1(VALU_DEP_1)
	v_fma_f32 v1, -v1, v8, v5
	s_wait_alu 0xfffd
	v_div_fmas_f32 v1, v1, v4, v8
	s_delay_alu instid0(VALU_DEP_1) | instskip(SKIP_1) | instid1(VALU_DEP_1)
	v_div_fixup_f32 v1, v1, v6, 1.0
	v_add_nc_u32_e32 v4, s0, v0
	v_add_nc_u32_e32 v0, s15, v4
	s_and_saveexec_b32 s3, s2
	s_cbranch_execz .LBB5_46
.LBB5_54:
	s_delay_alu instid0(VALU_DEP_1)
	v_mad_co_u64_u32 v[5:6], null, 0x60, v0, v[68:69]
	v_cvt_f32_f16_e32 v13, v87
	v_mov_b32_e32 v6, 0
	v_lshrrev_b32_e32 v8, 16, v87
	v_lshrrev_b32_e32 v9, 16, v86
	v_cvt_f32_f16_e32 v17, v86
	v_mul_f32_e32 v15, v1, v13
	v_lshlrev_b64_e32 v[5:6], 2, v[5:6]
	v_cvt_f32_f16_e32 v8, v8
	v_cvt_f32_f16_e32 v9, v9
	v_mul_f32_e32 v13, v1, v17
	s_delay_alu instid0(VALU_DEP_3)
	v_mul_f32_e32 v16, v1, v8
	v_add_co_u32 v5, vcc_lo, s20, v5
	s_wait_alu 0xfffd
	v_add_co_ci_u32_e64 v6, null, s21, v6, vcc_lo
	v_mul_f32_e32 v14, v1, v9
	global_store_b128 v[5:6], v[13:16], off
	s_wait_alu 0xfffe
	s_or_b32 exec_lo, exec_lo, s3
	s_and_saveexec_b32 s3, s1
	s_cbranch_execnz .LBB5_47
	s_branch .LBB5_48
.LBB5_55:
	v_div_scale_f32 v0, null, v7, v7, 1.0
	s_delay_alu instid0(VALU_DEP_1) | instskip(NEXT) | instid1(TRANS32_DEP_1)
	v_rcp_f32_e32 v1, v0
	v_fma_f32 v2, -v0, v1, 1.0
	s_delay_alu instid0(VALU_DEP_1) | instskip(SKIP_1) | instid1(VALU_DEP_1)
	v_fmac_f32_e32 v1, v2, v1
	v_div_scale_f32 v2, vcc_lo, 1.0, v7, 1.0
	v_mul_f32_e32 v5, v2, v1
	s_delay_alu instid0(VALU_DEP_1) | instskip(NEXT) | instid1(VALU_DEP_1)
	v_fma_f32 v6, -v0, v5, v2
	v_fmac_f32_e32 v5, v6, v1
	s_delay_alu instid0(VALU_DEP_1) | instskip(SKIP_1) | instid1(VALU_DEP_1)
	v_fma_f32 v0, -v0, v5, v2
	s_wait_alu 0xfffd
	v_div_fmas_f32 v0, v0, v1, v5
	s_delay_alu instid0(VALU_DEP_1)
	v_div_fixup_f32 v1, v0, v7, 1.0
	v_add3_u32 v0, s15, s0, v4
	s_and_saveexec_b32 s0, s2
	s_cbranch_execz .LBB5_50
.LBB5_56:
	s_delay_alu instid0(VALU_DEP_1)
	v_mad_co_u64_u32 v[4:5], null, 0x60, v0, v[68:69]
	v_lshrrev_b32_e32 v6, 16, v84
	v_cvt_f32_f16_e32 v10, v82
	v_mov_b32_e32 v5, 0
	v_lshrrev_b32_e32 v2, 16, v82
	v_cvt_f32_f16_e32 v12, v84
	v_cvt_f32_f16_e32 v13, v6
	v_mul_f32_e32 v6, v1, v10
	v_lshlrev_b64_e32 v[4:5], 2, v[4:5]
	v_cvt_f32_f16_e32 v2, v2
	s_delay_alu instid0(VALU_DEP_1) | instskip(NEXT) | instid1(VALU_DEP_3)
	v_mul_f32_e32 v7, v1, v2
	v_add_co_u32 v8, vcc_lo, s20, v4
	s_wait_alu 0xfffd
	s_delay_alu instid0(VALU_DEP_4)
	v_add_co_ci_u32_e64 v9, null, s21, v5, vcc_lo
	v_mul_f32_e32 v5, v1, v13
	v_mul_f32_e32 v4, v1, v12
	global_store_b128 v[8:9], v[4:7], off
	s_wait_alu 0xfffe
	s_or_b32 exec_lo, exec_lo, s0
	s_delay_alu instid0(SALU_CYCLE_1)
	s_and_b32 exec_lo, exec_lo, s1
	s_cbranch_execz .LBB5_32
.LBB5_57:
	v_ashrrev_i32_e32 v1, 31, v0
	v_mov_b32_e32 v10, v3
	s_delay_alu instid0(VALU_DEP_2) | instskip(NEXT) | instid1(VALU_DEP_1)
	v_lshlrev_b64_e32 v[0:1], 3, v[0:1]
	v_add_co_u32 v0, vcc_lo, s22, v0
	s_wait_alu 0xfffd
	s_delay_alu instid0(VALU_DEP_2)
	v_add_co_ci_u32_e64 v1, null, s23, v1, vcc_lo
	global_store_b64 v[0:1], v[10:11], off
	s_nop 0
	s_sendmsg sendmsg(MSG_DEALLOC_VGPRS)
	s_endpgm
	.section	.rodata,"a",@progbits
	.p2align	6, 0x0
	.amdhsa_kernel _ZL15flash_attn_tileILi96ELi96ELi4ELi8ELb0EEvPKcS1_S1_S1_S1_PKiPfP15HIP_vector_typeIfLj2EEffffjfiS5_IjLj3EEiiiiiiiiiiiliiliiiiil
		.amdhsa_group_segment_fixed_size 11904
		.amdhsa_private_segment_fixed_size 0
		.amdhsa_kernarg_size 464
		.amdhsa_user_sgpr_count 2
		.amdhsa_user_sgpr_dispatch_ptr 0
		.amdhsa_user_sgpr_queue_ptr 0
		.amdhsa_user_sgpr_kernarg_segment_ptr 1
		.amdhsa_user_sgpr_dispatch_id 0
		.amdhsa_user_sgpr_private_segment_size 0
		.amdhsa_wavefront_size32 1
		.amdhsa_uses_dynamic_stack 0
		.amdhsa_enable_private_segment 0
		.amdhsa_system_sgpr_workgroup_id_x 1
		.amdhsa_system_sgpr_workgroup_id_y 1
		.amdhsa_system_sgpr_workgroup_id_z 1
		.amdhsa_system_sgpr_workgroup_info 0
		.amdhsa_system_vgpr_workitem_id 1
		.amdhsa_next_free_vgpr 153
		.amdhsa_next_free_sgpr 46
		.amdhsa_reserve_vcc 1
		.amdhsa_float_round_mode_32 0
		.amdhsa_float_round_mode_16_64 0
		.amdhsa_float_denorm_mode_32 3
		.amdhsa_float_denorm_mode_16_64 3
		.amdhsa_fp16_overflow 0
		.amdhsa_workgroup_processor_mode 1
		.amdhsa_memory_ordered 1
		.amdhsa_forward_progress 1
		.amdhsa_inst_pref_size 103
		.amdhsa_round_robin_scheduling 0
		.amdhsa_exception_fp_ieee_invalid_op 0
		.amdhsa_exception_fp_denorm_src 0
		.amdhsa_exception_fp_ieee_div_zero 0
		.amdhsa_exception_fp_ieee_overflow 0
		.amdhsa_exception_fp_ieee_underflow 0
		.amdhsa_exception_fp_ieee_inexact 0
		.amdhsa_exception_int_div_zero 0
	.end_amdhsa_kernel
	.section	.text._ZL15flash_attn_tileILi96ELi96ELi4ELi8ELb0EEvPKcS1_S1_S1_S1_PKiPfP15HIP_vector_typeIfLj2EEffffjfiS5_IjLj3EEiiiiiiiiiiiliiliiiiil,"axG",@progbits,_ZL15flash_attn_tileILi96ELi96ELi4ELi8ELb0EEvPKcS1_S1_S1_S1_PKiPfP15HIP_vector_typeIfLj2EEffffjfiS5_IjLj3EEiiiiiiiiiiiliiliiiiil,comdat
.Lfunc_end5:
	.size	_ZL15flash_attn_tileILi96ELi96ELi4ELi8ELb0EEvPKcS1_S1_S1_S1_PKiPfP15HIP_vector_typeIfLj2EEffffjfiS5_IjLj3EEiiiiiiiiiiiliiliiiiil, .Lfunc_end5-_ZL15flash_attn_tileILi96ELi96ELi4ELi8ELb0EEvPKcS1_S1_S1_S1_PKiPfP15HIP_vector_typeIfLj2EEffffjfiS5_IjLj3EEiiiiiiiiiiiliiliiiiil
                                        ; -- End function
	.set _ZL15flash_attn_tileILi96ELi96ELi4ELi8ELb0EEvPKcS1_S1_S1_S1_PKiPfP15HIP_vector_typeIfLj2EEffffjfiS5_IjLj3EEiiiiiiiiiiiliiliiiiil.num_vgpr, 153
	.set _ZL15flash_attn_tileILi96ELi96ELi4ELi8ELb0EEvPKcS1_S1_S1_S1_PKiPfP15HIP_vector_typeIfLj2EEffffjfiS5_IjLj3EEiiiiiiiiiiiliiliiiiil.num_agpr, 0
	.set _ZL15flash_attn_tileILi96ELi96ELi4ELi8ELb0EEvPKcS1_S1_S1_S1_PKiPfP15HIP_vector_typeIfLj2EEffffjfiS5_IjLj3EEiiiiiiiiiiiliiliiiiil.numbered_sgpr, 46
	.set _ZL15flash_attn_tileILi96ELi96ELi4ELi8ELb0EEvPKcS1_S1_S1_S1_PKiPfP15HIP_vector_typeIfLj2EEffffjfiS5_IjLj3EEiiiiiiiiiiiliiliiiiil.num_named_barrier, 0
	.set _ZL15flash_attn_tileILi96ELi96ELi4ELi8ELb0EEvPKcS1_S1_S1_S1_PKiPfP15HIP_vector_typeIfLj2EEffffjfiS5_IjLj3EEiiiiiiiiiiiliiliiiiil.private_seg_size, 0
	.set _ZL15flash_attn_tileILi96ELi96ELi4ELi8ELb0EEvPKcS1_S1_S1_S1_PKiPfP15HIP_vector_typeIfLj2EEffffjfiS5_IjLj3EEiiiiiiiiiiiliiliiiiil.uses_vcc, 1
	.set _ZL15flash_attn_tileILi96ELi96ELi4ELi8ELb0EEvPKcS1_S1_S1_S1_PKiPfP15HIP_vector_typeIfLj2EEffffjfiS5_IjLj3EEiiiiiiiiiiiliiliiiiil.uses_flat_scratch, 0
	.set _ZL15flash_attn_tileILi96ELi96ELi4ELi8ELb0EEvPKcS1_S1_S1_S1_PKiPfP15HIP_vector_typeIfLj2EEffffjfiS5_IjLj3EEiiiiiiiiiiiliiliiiiil.has_dyn_sized_stack, 0
	.set _ZL15flash_attn_tileILi96ELi96ELi4ELi8ELb0EEvPKcS1_S1_S1_S1_PKiPfP15HIP_vector_typeIfLj2EEffffjfiS5_IjLj3EEiiiiiiiiiiiliiliiiiil.has_recursion, 0
	.set _ZL15flash_attn_tileILi96ELi96ELi4ELi8ELb0EEvPKcS1_S1_S1_S1_PKiPfP15HIP_vector_typeIfLj2EEffffjfiS5_IjLj3EEiiiiiiiiiiiliiliiiiil.has_indirect_call, 0
	.section	.AMDGPU.csdata,"",@progbits
; Kernel info:
; codeLenInByte = 13084
; TotalNumSgprs: 48
; NumVgprs: 153
; ScratchSize: 0
; MemoryBound: 0
; FloatMode: 240
; IeeeMode: 1
; LDSByteSize: 11904 bytes/workgroup (compile time only)
; SGPRBlocks: 0
; VGPRBlocks: 19
; NumSGPRsForWavesPerEU: 48
; NumVGPRsForWavesPerEU: 153
; Occupancy: 9
; WaveLimiterHint : 1
; COMPUTE_PGM_RSRC2:SCRATCH_EN: 0
; COMPUTE_PGM_RSRC2:USER_SGPR: 2
; COMPUTE_PGM_RSRC2:TRAP_HANDLER: 0
; COMPUTE_PGM_RSRC2:TGID_X_EN: 1
; COMPUTE_PGM_RSRC2:TGID_Y_EN: 1
; COMPUTE_PGM_RSRC2:TGID_Z_EN: 1
; COMPUTE_PGM_RSRC2:TIDIG_COMP_CNT: 1
	.section	.text._ZL25flash_attn_mask_to_KV_maxILi4EEvPK7__half2Piiii,"axG",@progbits,_ZL25flash_attn_mask_to_KV_maxILi4EEvPK7__half2Piiii,comdat
	.globl	_ZL25flash_attn_mask_to_KV_maxILi4EEvPK7__half2Piiii ; -- Begin function _ZL25flash_attn_mask_to_KV_maxILi4EEvPK7__half2Piiii
	.p2align	8
	.type	_ZL25flash_attn_mask_to_KV_maxILi4EEvPK7__half2Piiii,@function
_ZL25flash_attn_mask_to_KV_maxILi4EEvPK7__half2Piiii: ; @_ZL25flash_attn_mask_to_KV_maxILi4EEvPK7__half2Piiii
; %bb.0:
	s_load_b64 s[8:9], s[0:1], 0x0
	s_mov_b32 s2, exec_lo
	v_cmpx_gt_u32_e32 32, v0
; %bb.1:
	v_dual_mov_b32 v2, 1 :: v_dual_lshlrev_b32 v1, 2, v0
	ds_store_b32 v1, v2
; %bb.2:
	s_or_b32 exec_lo, exec_lo, s2
	s_clause 0x2
	s_load_b96 s[4:6], s[0:1], 0x10
	s_load_b64 s[2:3], s[0:1], 0x8
	s_load_b32 s1, s[0:1], 0x20
	v_dual_mov_b32 v2, 0 :: v_dual_and_b32 v1, 31, v0
	v_lshrrev_b32_e32 v5, 3, v0
	s_wait_dscnt 0x0
	s_barrier_signal -1
	s_delay_alu instid0(VALU_DEP_2)
	v_lshlrev_b32_e32 v6, 2, v1
	s_barrier_wait -1
	global_inv scope:SCOPE_SE
	s_wait_kmcnt 0x0
	s_mul_i32 s0, ttmp9, s5
	s_mul_i32 s6, s6, ttmp7
	s_lshl_b32 s0, s0, 2
	s_delay_alu instid0(SALU_CYCLE_1) | instskip(SKIP_2) | instid1(SALU_CYCLE_1)
	s_add_co_i32 s6, s6, s0
	v_cmp_eq_u32_e64 s0, 0, v1
	s_ashr_i32 s7, s6, 31
	s_lshl_b64 s[6:7], s[6:7], 2
	s_delay_alu instid0(SALU_CYCLE_1)
	s_add_nc_u64 s[6:7], s[8:9], s[6:7]
	s_lshl_b32 s8, s4, 8
	s_branch .LBB6_4
.LBB6_3:                                ;   in Loop: Header=BB6_4 Depth=1
	s_wait_alu 0xfffe
	s_or_b32 exec_lo, exec_lo, s9
	s_wait_dscnt 0x0
	s_barrier_signal -1
	s_barrier_wait -1
	global_inv scope:SCOPE_SE
	ds_load_b32 v1, v6
	s_wait_loadcnt_dscnt 0x0
	s_barrier_signal -1
	s_barrier_wait -1
	global_inv scope:SCOPE_SE
	v_cmp_ne_u32_e32 vcc_lo, 0, v1
	s_cmp_lg_u32 vcc_lo, exec_lo
	s_cselect_b32 s9, -1, 0
	s_wait_alu 0xfffe
	s_and_b32 vcc_lo, exec_lo, s9
	s_wait_alu 0xfffe
	s_cbranch_vccnz .LBB6_20
.LBB6_4:                                ; =>This Inner Loop Header: Depth=1
	s_mov_b32 s4, s8
	s_addk_co_i32 s8, 0xff00
	s_wait_alu 0xfffe
	s_cmp_lt_i32 s8, 0
	s_cbranch_scc1 .LBB6_19
; %bb.5:                                ;   in Loop: Header=BB6_4 Depth=1
	s_lshr_b32 s9, s8, 1
	s_wait_alu 0xfffe
	v_add_nc_u32_e32 v1, s9, v0
	s_delay_alu instid0(VALU_DEP_1) | instskip(NEXT) | instid1(VALU_DEP_1)
	v_lshlrev_b64_e32 v[3:4], 2, v[1:2]
	v_add_co_u32 v3, vcc_lo, s6, v3
	s_wait_alu 0xfffd
	s_delay_alu instid0(VALU_DEP_2) | instskip(SKIP_4) | instid1(VALU_DEP_2)
	v_add_co_ci_u32_e64 v4, null, s7, v4, vcc_lo
	global_load_b32 v3, v[3:4], off
	s_wait_loadcnt 0x0
	v_lshrrev_b32_e32 v4, 16, v3
	v_cmp_class_f16_e64 s9, v3, 0x204
	v_cmp_class_f16_e64 s10, v4, 0x204
	s_and_b32 s11, s9, s10
	s_mov_b32 s10, 0
	s_wait_alu 0xfffe
	s_and_saveexec_b32 s9, s11
	s_cbranch_execz .LBB6_17
; %bb.6:                                ;   in Loop: Header=BB6_4 Depth=1
	v_add_nc_u32_e32 v3, s5, v1
	s_mov_b32 s11, 0
	s_delay_alu instid0(VALU_DEP_1) | instskip(NEXT) | instid1(VALU_DEP_1)
	v_ashrrev_i32_e32 v4, 31, v3
	v_lshlrev_b64_e32 v[7:8], 2, v[3:4]
	s_delay_alu instid0(VALU_DEP_1) | instskip(SKIP_1) | instid1(VALU_DEP_2)
	v_add_co_u32 v7, vcc_lo, s6, v7
	s_wait_alu 0xfffd
	v_add_co_ci_u32_e64 v8, null, s7, v8, vcc_lo
	global_load_b32 v1, v[7:8], off
	s_wait_loadcnt 0x0
	v_cmp_class_f16_e64 s12, v1, 0x204
	s_and_saveexec_b32 s10, s12
	s_cbranch_execz .LBB6_16
; %bb.7:                                ;   in Loop: Header=BB6_4 Depth=1
	v_lshrrev_b32_e32 v1, 16, v1
	s_mov_b32 s12, 0
	s_delay_alu instid0(VALU_DEP_1)
	v_cmp_class_f16_e64 s13, v1, 0x204
	s_and_saveexec_b32 s11, s13
	s_cbranch_execz .LBB6_15
; %bb.8:                                ;   in Loop: Header=BB6_4 Depth=1
	v_add_nc_u32_e32 v3, s5, v3
	s_mov_b32 s13, 0
	s_delay_alu instid0(VALU_DEP_1) | instskip(NEXT) | instid1(VALU_DEP_1)
	v_ashrrev_i32_e32 v4, 31, v3
	v_lshlrev_b64_e32 v[7:8], 2, v[3:4]
	s_delay_alu instid0(VALU_DEP_1) | instskip(SKIP_1) | instid1(VALU_DEP_2)
	v_add_co_u32 v7, vcc_lo, s6, v7
	s_wait_alu 0xfffd
	v_add_co_ci_u32_e64 v8, null, s7, v8, vcc_lo
	global_load_b32 v1, v[7:8], off
	s_wait_loadcnt 0x0
	v_cmp_class_f16_e64 s14, v1, 0x204
	s_and_saveexec_b32 s12, s14
	s_cbranch_execz .LBB6_14
; %bb.9:                                ;   in Loop: Header=BB6_4 Depth=1
	v_lshrrev_b32_e32 v1, 16, v1
	s_mov_b32 s14, 0
	s_delay_alu instid0(VALU_DEP_1)
	v_cmp_class_f16_e64 s15, v1, 0x204
	s_and_saveexec_b32 s13, s15
	s_cbranch_execz .LBB6_13
; %bb.10:                               ;   in Loop: Header=BB6_4 Depth=1
	v_add_nc_u32_e32 v3, s5, v3
	s_delay_alu instid0(VALU_DEP_1) | instskip(NEXT) | instid1(VALU_DEP_1)
	v_ashrrev_i32_e32 v4, 31, v3
	v_lshlrev_b64_e32 v[3:4], 2, v[3:4]
	s_delay_alu instid0(VALU_DEP_1) | instskip(SKIP_1) | instid1(VALU_DEP_2)
	v_add_co_u32 v3, vcc_lo, s6, v3
	s_wait_alu 0xfffd
	v_add_co_ci_u32_e64 v4, null, s7, v4, vcc_lo
	global_load_b32 v1, v[3:4], off
	s_wait_loadcnt 0x0
	v_cmp_class_f16_e64 s16, v1, 0x204
	s_and_saveexec_b32 s15, s16
; %bb.11:                               ;   in Loop: Header=BB6_4 Depth=1
	v_lshrrev_b32_e32 v1, 16, v1
	s_delay_alu instid0(VALU_DEP_1)
	v_cmp_class_f16_e64 s14, v1, 0x204
	s_and_b32 s14, s14, exec_lo
; %bb.12:                               ;   in Loop: Header=BB6_4 Depth=1
	s_or_b32 exec_lo, exec_lo, s15
	s_delay_alu instid0(SALU_CYCLE_1)
	s_and_b32 s14, s14, exec_lo
.LBB6_13:                               ;   in Loop: Header=BB6_4 Depth=1
	s_or_b32 exec_lo, exec_lo, s13
	s_delay_alu instid0(SALU_CYCLE_1)
	s_and_b32 s13, s14, exec_lo
.LBB6_14:                               ;   in Loop: Header=BB6_4 Depth=1
	s_or_b32 exec_lo, exec_lo, s12
	s_delay_alu instid0(SALU_CYCLE_1)
	s_and_b32 s12, s13, exec_lo
.LBB6_15:                               ;   in Loop: Header=BB6_4 Depth=1
	s_wait_alu 0xfffe
	s_or_b32 exec_lo, exec_lo, s11
	s_delay_alu instid0(SALU_CYCLE_1)
	s_and_b32 s11, s12, exec_lo
.LBB6_16:                               ;   in Loop: Header=BB6_4 Depth=1
	s_wait_alu 0xfffe
	s_or_b32 exec_lo, exec_lo, s10
	s_delay_alu instid0(SALU_CYCLE_1)
	s_and_b32 s10, s11, exec_lo
.LBB6_17:                               ;   in Loop: Header=BB6_4 Depth=1
	s_wait_alu 0xfffe
	s_or_b32 exec_lo, exec_lo, s9
	v_cndmask_b32_e64 v1, 0, 1, s10
	s_mov_b32 s11, exec_lo
	s_delay_alu instid0(VALU_DEP_1)
	v_cmp_ne_u32_e32 vcc_lo, 0, v1
	s_and_saveexec_b32 s9, s0
	s_cbranch_execz .LBB6_3
; %bb.18:                               ;   in Loop: Header=BB6_4 Depth=1
	s_wait_alu 0xfffe
	s_cmp_eq_u32 vcc_lo, s11
	s_cselect_b32 s10, -1, 0
	s_wait_alu 0xfffe
	v_cndmask_b32_e64 v1, 0, 1, s10
	ds_store_b32 v5, v1
	s_branch .LBB6_3
.LBB6_19:                               ;   in Loop: Header=BB6_4 Depth=1
	s_cbranch_execz .LBB6_4
.LBB6_20:
	s_mov_b32 s0, exec_lo
	v_cmpx_eq_u32_e32 0, v0
	s_cbranch_execz .LBB6_22
; %bb.21:
	s_mul_i32 s0, s1, ttmp7
	v_dual_mov_b32 v0, 0 :: v_dual_mov_b32 v1, s4
	s_add_co_i32 s0, s0, ttmp9
	s_delay_alu instid0(SALU_CYCLE_1) | instskip(NEXT) | instid1(SALU_CYCLE_1)
	s_ashr_i32 s1, s0, 31
	s_lshl_b64 s[0:1], s[0:1], 2
	s_delay_alu instid0(SALU_CYCLE_1)
	s_add_nc_u64 s[0:1], s[2:3], s[0:1]
	global_store_b32 v0, v1, s[0:1]
.LBB6_22:
	s_endpgm
	.section	.rodata,"a",@progbits
	.p2align	6, 0x0
	.amdhsa_kernel _ZL25flash_attn_mask_to_KV_maxILi4EEvPK7__half2Piiii
		.amdhsa_group_segment_fixed_size 128
		.amdhsa_private_segment_fixed_size 0
		.amdhsa_kernarg_size 288
		.amdhsa_user_sgpr_count 2
		.amdhsa_user_sgpr_dispatch_ptr 0
		.amdhsa_user_sgpr_queue_ptr 0
		.amdhsa_user_sgpr_kernarg_segment_ptr 1
		.amdhsa_user_sgpr_dispatch_id 0
		.amdhsa_user_sgpr_private_segment_size 0
		.amdhsa_wavefront_size32 1
		.amdhsa_uses_dynamic_stack 0
		.amdhsa_enable_private_segment 0
		.amdhsa_system_sgpr_workgroup_id_x 1
		.amdhsa_system_sgpr_workgroup_id_y 1
		.amdhsa_system_sgpr_workgroup_id_z 0
		.amdhsa_system_sgpr_workgroup_info 0
		.amdhsa_system_vgpr_workitem_id 0
		.amdhsa_next_free_vgpr 9
		.amdhsa_next_free_sgpr 17
		.amdhsa_reserve_vcc 1
		.amdhsa_float_round_mode_32 0
		.amdhsa_float_round_mode_16_64 0
		.amdhsa_float_denorm_mode_32 3
		.amdhsa_float_denorm_mode_16_64 3
		.amdhsa_fp16_overflow 0
		.amdhsa_workgroup_processor_mode 1
		.amdhsa_memory_ordered 1
		.amdhsa_forward_progress 1
		.amdhsa_inst_pref_size 8
		.amdhsa_round_robin_scheduling 0
		.amdhsa_exception_fp_ieee_invalid_op 0
		.amdhsa_exception_fp_denorm_src 0
		.amdhsa_exception_fp_ieee_div_zero 0
		.amdhsa_exception_fp_ieee_overflow 0
		.amdhsa_exception_fp_ieee_underflow 0
		.amdhsa_exception_fp_ieee_inexact 0
		.amdhsa_exception_int_div_zero 0
	.end_amdhsa_kernel
	.section	.text._ZL25flash_attn_mask_to_KV_maxILi4EEvPK7__half2Piiii,"axG",@progbits,_ZL25flash_attn_mask_to_KV_maxILi4EEvPK7__half2Piiii,comdat
.Lfunc_end6:
	.size	_ZL25flash_attn_mask_to_KV_maxILi4EEvPK7__half2Piiii, .Lfunc_end6-_ZL25flash_attn_mask_to_KV_maxILi4EEvPK7__half2Piiii
                                        ; -- End function
	.set _ZL25flash_attn_mask_to_KV_maxILi4EEvPK7__half2Piiii.num_vgpr, 9
	.set _ZL25flash_attn_mask_to_KV_maxILi4EEvPK7__half2Piiii.num_agpr, 0
	.set _ZL25flash_attn_mask_to_KV_maxILi4EEvPK7__half2Piiii.numbered_sgpr, 17
	.set _ZL25flash_attn_mask_to_KV_maxILi4EEvPK7__half2Piiii.num_named_barrier, 0
	.set _ZL25flash_attn_mask_to_KV_maxILi4EEvPK7__half2Piiii.private_seg_size, 0
	.set _ZL25flash_attn_mask_to_KV_maxILi4EEvPK7__half2Piiii.uses_vcc, 1
	.set _ZL25flash_attn_mask_to_KV_maxILi4EEvPK7__half2Piiii.uses_flat_scratch, 0
	.set _ZL25flash_attn_mask_to_KV_maxILi4EEvPK7__half2Piiii.has_dyn_sized_stack, 0
	.set _ZL25flash_attn_mask_to_KV_maxILi4EEvPK7__half2Piiii.has_recursion, 0
	.set _ZL25flash_attn_mask_to_KV_maxILi4EEvPK7__half2Piiii.has_indirect_call, 0
	.section	.AMDGPU.csdata,"",@progbits
; Kernel info:
; codeLenInByte = 912
; TotalNumSgprs: 19
; NumVgprs: 9
; ScratchSize: 0
; MemoryBound: 0
; FloatMode: 240
; IeeeMode: 1
; LDSByteSize: 128 bytes/workgroup (compile time only)
; SGPRBlocks: 0
; VGPRBlocks: 1
; NumSGPRsForWavesPerEU: 19
; NumVGPRsForWavesPerEU: 9
; Occupancy: 16
; WaveLimiterHint : 0
; COMPUTE_PGM_RSRC2:SCRATCH_EN: 0
; COMPUTE_PGM_RSRC2:USER_SGPR: 2
; COMPUTE_PGM_RSRC2:TRAP_HANDLER: 0
; COMPUTE_PGM_RSRC2:TGID_X_EN: 1
; COMPUTE_PGM_RSRC2:TGID_Y_EN: 1
; COMPUTE_PGM_RSRC2:TGID_Z_EN: 0
; COMPUTE_PGM_RSRC2:TIDIG_COMP_CNT: 0
	.section	.text._ZL33flash_attn_stream_k_fixup_uniformILi96ELi4ELi8EEvPfPK15HIP_vector_typeIfLj2EEiiiiiiS1_IjLj3EES5_S5_,"axG",@progbits,_ZL33flash_attn_stream_k_fixup_uniformILi96ELi4ELi8EEvPfPK15HIP_vector_typeIfLj2EEiiiiiiS1_IjLj3EES5_S5_,comdat
	.globl	_ZL33flash_attn_stream_k_fixup_uniformILi96ELi4ELi8EEvPfPK15HIP_vector_typeIfLj2EEiiiiiiS1_IjLj3EES5_S5_ ; -- Begin function _ZL33flash_attn_stream_k_fixup_uniformILi96ELi4ELi8EEvPfPK15HIP_vector_typeIfLj2EEiiiiiiS1_IjLj3EES5_S5_
	.p2align	8
	.type	_ZL33flash_attn_stream_k_fixup_uniformILi96ELi4ELi8EEvPfPK15HIP_vector_typeIfLj2EEiiiiiiS1_IjLj3EES5_S5_,@function
_ZL33flash_attn_stream_k_fixup_uniformILi96ELi4ELi8EEvPfPK15HIP_vector_typeIfLj2EEiiiiiiS1_IjLj3EES5_S5_: ; @_ZL33flash_attn_stream_k_fixup_uniformILi96ELi4ELi8EEvPfPK15HIP_vector_typeIfLj2EEiiiiiiS1_IjLj3EES5_S5_
; %bb.0:
	s_clause 0x1
	s_load_b256 s[4:11], s[0:1], 0x1c
	s_load_b128 s[12:15], s[0:1], 0x3c
	s_wait_kmcnt 0x0
	s_mul_hi_u32 s2, s7, ttmp9
	s_delay_alu instid0(SALU_CYCLE_1) | instskip(NEXT) | instid1(SALU_CYCLE_1)
	s_add_co_i32 s2, ttmp9, s2
	s_lshr_b32 s2, s2, s8
	s_delay_alu instid0(SALU_CYCLE_1) | instskip(SKIP_2) | instid1(SALU_CYCLE_1)
	s_mul_i32 s3, s2, s9
	s_load_b64 s[8:9], s[0:1], 0x10
	s_sub_co_i32 s3, ttmp9, s3
	s_mul_hi_u32 s7, s3, s10
	s_delay_alu instid0(SALU_CYCLE_1) | instskip(NEXT) | instid1(SALU_CYCLE_1)
	s_add_co_i32 s7, s3, s7
	s_lshr_b32 s7, s7, s11
	s_lshr_b32 s11, ttmp7, 16
	s_mul_i32 s10, s7, s12
	s_delay_alu instid0(SALU_CYCLE_1) | instskip(NEXT) | instid1(SALU_CYCLE_1)
	s_sub_co_i32 s3, s3, s10
	s_mul_hi_u32 s10, s3, s13
	s_delay_alu instid0(SALU_CYCLE_1) | instskip(NEXT) | instid1(SALU_CYCLE_1)
	s_add_co_i32 s10, s3, s10
	s_lshr_b32 s13, s10, s14
	s_delay_alu instid0(SALU_CYCLE_1) | instskip(SKIP_4) | instid1(SALU_CYCLE_1)
	s_mul_i32 s10, s13, s15
	s_lshl_b32 s13, s13, 3
	s_sub_co_i32 s12, s3, s10
	s_and_b32 s10, ttmp7, 0xffff
	s_lshl_b32 s3, s12, 2
	s_add_co_i32 s3, s3, s10
	s_wait_kmcnt 0x0
	s_cmp_lt_i32 s3, s8
	s_cselect_b32 s3, -1, 0
	s_add_co_i32 s13, s13, s11
	s_delay_alu instid0(SALU_CYCLE_1) | instskip(SKIP_1) | instid1(SALU_CYCLE_1)
	s_cmp_lt_i32 s13, s5
	s_cselect_b32 s14, -1, 0
	s_and_b32 s3, s3, s14
	s_delay_alu instid0(SALU_CYCLE_1)
	s_and_not1_b32 vcc_lo, exec_lo, s3
	s_cbranch_vccnz .LBB7_6
; %bb.1:
	s_mul_i32 s8, s2, s8
	s_mul_i32 s7, s7, s5
	s_add_co_i32 s8, s8, s10
	s_add_co_i32 s5, s13, s7
	s_mul_i32 s8, s8, s9
	s_load_b128 s[0:3], s[0:1], 0x0
	s_mul_i32 s7, s9, s12
	s_add_co_i32 s5, s5, s8
	s_mulk_i32 s7, 0x180
	s_mulk_i32 s5, 0x60
	s_mul_i32 s8, s6, ttmp9
	v_add3_u32 v1, s5, s7, v0
	s_lshl_b32 s5, s10, 3
	s_add_co_i32 s9, s8, s6
	s_delay_alu instid0(SALU_CYCLE_1) | instskip(NEXT) | instid1(VALU_DEP_1)
	s_add_co_i32 s7, s9, -2
	v_ashrrev_i32_e32 v2, 31, v1
	s_delay_alu instid0(VALU_DEP_1) | instskip(SKIP_1) | instid1(VALU_DEP_1)
	v_lshlrev_b64_e32 v[1:2], 2, v[1:2]
	s_wait_kmcnt 0x0
	v_add_co_u32 v1, vcc_lo, s0, v1
	s_delay_alu instid0(VALU_DEP_1)
	v_add_co_ci_u32_e64 v2, null, s1, v2, vcc_lo
	s_wait_alu 0xfffe
	s_add_co_i32 s0, s5, s11
	s_lshl_b32 s1, s9, 5
	global_load_b32 v5, v[1:2], off
	s_wait_alu 0xfffe
	s_add_co_i32 s0, s0, s1
	s_wait_alu 0xfffe
	s_sub_co_i32 s0, s0, 32
	s_wait_alu 0xfffe
	s_ashr_i32 s1, s0, 31
	s_wait_alu 0xfffe
	s_lshl_b64 s[0:1], s[0:1], 3
	s_cmp_lt_i32 s7, s8
	s_wait_alu 0xfffe
	s_add_nc_u64 s[0:1], s[2:3], s[0:1]
	s_load_b32 s12, s[0:1], 0x4
	s_cbranch_scc1 .LBB7_4
; %bb.2:
	s_load_b32 s0, s[0:1], 0x0
	s_add_co_i32 s1, ttmp9, 1
	s_mulk_i32 s10, 0x300
	s_wait_alu 0xfffe
	s_mul_i32 s1, s6, s1
	s_lshl_b32 s14, s4, 7
	s_wait_alu 0xfffe
	s_lshl_b32 s13, s1, 5
	s_mulk_i32 s1, 0xc00
	s_add_co_i32 s13, s11, s13
	s_mulk_i32 s11, 0x60
	s_lshl_b32 s4, s4, 5
	s_add_co_i32 s10, s11, s10
	s_ashr_i32 s15, s14, 31
	s_wait_alu 0xfffe
	s_add_co_i32 s10, s10, s1
	s_add_co_i32 s1, s13, s4
	v_add3_u32 v3, s10, v0, 0xffffe800
	s_wait_kmcnt 0x0
	v_mov_b32_e32 v6, s12
	s_lshl_b64 s[6:7], s[14:15], 2
	s_wait_alu 0xfffe
	s_add_co_i32 s4, s1, s5
	s_add_nc_u64 s[6:7], s[2:3], s[6:7]
	s_add_co_i32 s1, s9, -1
	s_wait_alu 0xfffe
	s_sub_co_i32 s4, s4, 64
.LBB7_3:                                ; =>This Inner Loop Header: Depth=1
	v_ashrrev_i32_e32 v4, 31, v3
	s_wait_alu 0xfffe
	s_ashr_i32 s5, s4, 31
	v_mov_b32_e32 v10, v6
	s_wait_alu 0xfffe
	s_lshl_b64 s[10:11], s[4:5], 3
	s_wait_loadcnt 0x0
	v_mov_b32_e32 v9, v5
	v_lshlrev_b64_e32 v[7:8], 2, v[3:4]
	s_wait_alu 0xfffe
	s_add_nc_u64 s[10:11], s[2:3], s[10:11]
	v_max_num_f32_e64 v4, s0, s0
	s_load_b64 s[10:11], s[10:11], 0x0
	v_add_nc_u32_e32 v3, 0xfffff400, v3
	v_add_co_u32 v7, vcc_lo, s6, v7
	s_wait_alu 0xfffd
	v_add_co_ci_u32_e64 v8, null, s7, v8, vcc_lo
	v_readfirstlane_b32 s5, v4
	global_load_b32 v0, v[7:8], off
	s_wait_kmcnt 0x0
	v_max_num_f32_e64 v4, s10, s10
	s_delay_alu instid0(VALU_DEP_1) | instskip(SKIP_2) | instid1(SALU_CYCLE_2)
	v_readfirstlane_b32 s9, v4
	s_max_num_f32 s5, s5, s9
	s_wait_alu 0xfffe
	s_sub_f32 s0, s0, s5
	s_sub_f32 s9, s10, s5
	s_wait_alu 0xfffe
	s_delay_alu instid0(SALU_CYCLE_1) | instskip(NEXT) | instid1(SALU_CYCLE_1)
	s_mul_f32 s10, s0, 0x3fb8aa3b
	s_mul_f32 s12, s9, 0x3fb8aa3b
	s_wait_alu 0xfffe
	s_delay_alu instid0(SALU_CYCLE_1)
	s_xor_b32 s13, s10, 0x80000000
	s_rndne_f32 s14, s10
	s_wait_alu 0xfffe
	s_fmamk_f32 s13, s0, 0x3fb8aa3b, s13
	s_cmp_nlt_f32 s0, 0xc2ce8ed0
	s_rndne_f32 s15, s12
	s_sub_f32 s10, s10, s14
	s_wait_alu 0xfffe
	s_fmamk_f32 s13, s0, 0x32a5705f, s13
	s_cvt_i32_f32 s14, s14
	s_cselect_b32 vcc_lo, -1, 0
	s_cmp_ngt_f32 s0, 0x42b17218
	s_wait_alu 0xfffe
	s_add_f32 s10, s10, s13
	s_sub_f32 s13, s12, s15
	s_wait_alu 0xfffe
	s_delay_alu instid0(SALU_CYCLE_1) | instskip(SKIP_1) | instid1(TRANS32_DEP_1)
	v_s_exp_f32 s10, s10
	s_wait_alu 0xf1ff
	v_ldexp_f32 v4, s10, s14
	s_cvt_i32_f32 s10, s15
	s_delay_alu instid0(VALU_DEP_1) | instskip(SKIP_3) | instid1(VALU_DEP_1)
	v_cndmask_b32_e32 v4, 0, v4, vcc_lo
	s_cselect_b32 vcc_lo, -1, 0
	s_cmp_ge_f32 s0, 0xc1a00000
	s_wait_alu 0xfffe
	v_cndmask_b32_e32 v4, 0x7f800000, v4, vcc_lo
	s_cselect_b32 vcc_lo, -1, 0
	s_xor_b32 s0, s12, 0x80000000
	s_cmp_nlt_f32 s9, 0xc2ce8ed0
	s_wait_alu 0xfffe
	s_fmamk_f32 s0, s9, 0x3fb8aa3b, s0
	s_wait_alu 0xfffe
	s_delay_alu instid0(SALU_CYCLE_2) | instskip(SKIP_1) | instid1(SALU_CYCLE_2)
	s_fmamk_f32 s0, s9, 0x32a5705f, s0
	s_wait_alu 0xfffe
	s_add_f32 s0, s13, s0
	s_wait_alu 0xfffe
	s_delay_alu instid0(SALU_CYCLE_2) | instskip(SKIP_1) | instid1(TRANS32_DEP_1)
	v_s_exp_f32 s0, s0
	s_wait_alu 0xf1ff
	v_ldexp_f32 v7, s0, s10
	s_cselect_b32 s0, -1, 0
	s_cmp_ngt_f32 s9, 0x42b17218
	s_wait_alu 0xfffe
	s_delay_alu instid0(VALU_DEP_1) | instskip(SKIP_3) | instid1(VALU_DEP_1)
	v_cndmask_b32_e64 v7, 0, v7, s0
	s_cselect_b32 s0, -1, 0
	s_cmp_ge_f32 s9, 0xc1a00000
	s_wait_alu 0xfffe
	v_cndmask_b32_e64 v7, 0x7f800000, v7, s0
	s_cselect_b32 s0, -1, 0
	s_add_co_i32 s1, s1, -1
	s_sub_co_i32 s4, s4, 32
	s_wait_alu 0xfffe
	s_cmp_le_i32 s1, s8
	v_cndmask_b32_e64 v7, 0, v7, s0
	s_mov_b32 s0, s5
	s_wait_loadcnt 0x0
	s_delay_alu instid0(VALU_DEP_1) | instskip(NEXT) | instid1(VALU_DEP_1)
	v_dual_mul_f32 v5, v0, v7 :: v_dual_cndmask_b32 v4, 0, v4
	v_dual_mul_f32 v8, s11, v7 :: v_dual_fmac_f32 v5, v9, v4
	s_delay_alu instid0(VALU_DEP_1) | instskip(NEXT) | instid1(VALU_DEP_1)
	v_mov_b32_e32 v6, v8
	v_fmac_f32_e32 v6, v10, v4
	s_cbranch_scc0 .LBB7_3
	s_branch .LBB7_5
.LBB7_4:
	s_wait_kmcnt 0x0
	v_mov_b32_e32 v6, s12
.LBB7_5:
	s_wait_loadcnt 0x0
	s_delay_alu instid0(VALU_DEP_1) | instskip(NEXT) | instid1(VALU_DEP_1)
	v_div_scale_f32 v0, null, v6, v6, v5
	v_rcp_f32_e32 v3, v0
	s_delay_alu instid0(TRANS32_DEP_1) | instskip(NEXT) | instid1(VALU_DEP_1)
	v_fma_f32 v4, -v0, v3, 1.0
	v_fmac_f32_e32 v3, v4, v3
	v_div_scale_f32 v4, vcc_lo, v5, v6, v5
	s_delay_alu instid0(VALU_DEP_1) | instskip(NEXT) | instid1(VALU_DEP_1)
	v_mul_f32_e32 v7, v4, v3
	v_fma_f32 v8, -v0, v7, v4
	s_delay_alu instid0(VALU_DEP_1) | instskip(NEXT) | instid1(VALU_DEP_1)
	v_fmac_f32_e32 v7, v8, v3
	v_fma_f32 v0, -v0, v7, v4
	s_wait_alu 0xfffd
	s_delay_alu instid0(VALU_DEP_1) | instskip(NEXT) | instid1(VALU_DEP_1)
	v_div_fmas_f32 v0, v0, v3, v7
	v_div_fixup_f32 v0, v0, v6, v5
	global_store_b32 v[1:2], v0, off
.LBB7_6:
	s_endpgm
	.section	.rodata,"a",@progbits
	.p2align	6, 0x0
	.amdhsa_kernel _ZL33flash_attn_stream_k_fixup_uniformILi96ELi4ELi8EEvPfPK15HIP_vector_typeIfLj2EEiiiiiiS1_IjLj3EES5_S5_
		.amdhsa_group_segment_fixed_size 0
		.amdhsa_private_segment_fixed_size 0
		.amdhsa_kernarg_size 76
		.amdhsa_user_sgpr_count 2
		.amdhsa_user_sgpr_dispatch_ptr 0
		.amdhsa_user_sgpr_queue_ptr 0
		.amdhsa_user_sgpr_kernarg_segment_ptr 1
		.amdhsa_user_sgpr_dispatch_id 0
		.amdhsa_user_sgpr_private_segment_size 0
		.amdhsa_wavefront_size32 1
		.amdhsa_uses_dynamic_stack 0
		.amdhsa_enable_private_segment 0
		.amdhsa_system_sgpr_workgroup_id_x 1
		.amdhsa_system_sgpr_workgroup_id_y 1
		.amdhsa_system_sgpr_workgroup_id_z 1
		.amdhsa_system_sgpr_workgroup_info 0
		.amdhsa_system_vgpr_workitem_id 0
		.amdhsa_next_free_vgpr 11
		.amdhsa_next_free_sgpr 16
		.amdhsa_reserve_vcc 1
		.amdhsa_float_round_mode_32 0
		.amdhsa_float_round_mode_16_64 0
		.amdhsa_float_denorm_mode_32 3
		.amdhsa_float_denorm_mode_16_64 3
		.amdhsa_fp16_overflow 0
		.amdhsa_workgroup_processor_mode 1
		.amdhsa_memory_ordered 1
		.amdhsa_forward_progress 1
		.amdhsa_inst_pref_size 9
		.amdhsa_round_robin_scheduling 0
		.amdhsa_exception_fp_ieee_invalid_op 0
		.amdhsa_exception_fp_denorm_src 0
		.amdhsa_exception_fp_ieee_div_zero 0
		.amdhsa_exception_fp_ieee_overflow 0
		.amdhsa_exception_fp_ieee_underflow 0
		.amdhsa_exception_fp_ieee_inexact 0
		.amdhsa_exception_int_div_zero 0
	.end_amdhsa_kernel
	.section	.text._ZL33flash_attn_stream_k_fixup_uniformILi96ELi4ELi8EEvPfPK15HIP_vector_typeIfLj2EEiiiiiiS1_IjLj3EES5_S5_,"axG",@progbits,_ZL33flash_attn_stream_k_fixup_uniformILi96ELi4ELi8EEvPfPK15HIP_vector_typeIfLj2EEiiiiiiS1_IjLj3EES5_S5_,comdat
.Lfunc_end7:
	.size	_ZL33flash_attn_stream_k_fixup_uniformILi96ELi4ELi8EEvPfPK15HIP_vector_typeIfLj2EEiiiiiiS1_IjLj3EES5_S5_, .Lfunc_end7-_ZL33flash_attn_stream_k_fixup_uniformILi96ELi4ELi8EEvPfPK15HIP_vector_typeIfLj2EEiiiiiiS1_IjLj3EES5_S5_
                                        ; -- End function
	.set _ZL33flash_attn_stream_k_fixup_uniformILi96ELi4ELi8EEvPfPK15HIP_vector_typeIfLj2EEiiiiiiS1_IjLj3EES5_S5_.num_vgpr, 11
	.set _ZL33flash_attn_stream_k_fixup_uniformILi96ELi4ELi8EEvPfPK15HIP_vector_typeIfLj2EEiiiiiiS1_IjLj3EES5_S5_.num_agpr, 0
	.set _ZL33flash_attn_stream_k_fixup_uniformILi96ELi4ELi8EEvPfPK15HIP_vector_typeIfLj2EEiiiiiiS1_IjLj3EES5_S5_.numbered_sgpr, 16
	.set _ZL33flash_attn_stream_k_fixup_uniformILi96ELi4ELi8EEvPfPK15HIP_vector_typeIfLj2EEiiiiiiS1_IjLj3EES5_S5_.num_named_barrier, 0
	.set _ZL33flash_attn_stream_k_fixup_uniformILi96ELi4ELi8EEvPfPK15HIP_vector_typeIfLj2EEiiiiiiS1_IjLj3EES5_S5_.private_seg_size, 0
	.set _ZL33flash_attn_stream_k_fixup_uniformILi96ELi4ELi8EEvPfPK15HIP_vector_typeIfLj2EEiiiiiiS1_IjLj3EES5_S5_.uses_vcc, 1
	.set _ZL33flash_attn_stream_k_fixup_uniformILi96ELi4ELi8EEvPfPK15HIP_vector_typeIfLj2EEiiiiiiS1_IjLj3EES5_S5_.uses_flat_scratch, 0
	.set _ZL33flash_attn_stream_k_fixup_uniformILi96ELi4ELi8EEvPfPK15HIP_vector_typeIfLj2EEiiiiiiS1_IjLj3EES5_S5_.has_dyn_sized_stack, 0
	.set _ZL33flash_attn_stream_k_fixup_uniformILi96ELi4ELi8EEvPfPK15HIP_vector_typeIfLj2EEiiiiiiS1_IjLj3EES5_S5_.has_recursion, 0
	.set _ZL33flash_attn_stream_k_fixup_uniformILi96ELi4ELi8EEvPfPK15HIP_vector_typeIfLj2EEiiiiiiS1_IjLj3EES5_S5_.has_indirect_call, 0
	.section	.AMDGPU.csdata,"",@progbits
; Kernel info:
; codeLenInByte = 1148
; TotalNumSgprs: 18
; NumVgprs: 11
; ScratchSize: 0
; MemoryBound: 0
; FloatMode: 240
; IeeeMode: 1
; LDSByteSize: 0 bytes/workgroup (compile time only)
; SGPRBlocks: 0
; VGPRBlocks: 1
; NumSGPRsForWavesPerEU: 18
; NumVGPRsForWavesPerEU: 11
; Occupancy: 16
; WaveLimiterHint : 0
; COMPUTE_PGM_RSRC2:SCRATCH_EN: 0
; COMPUTE_PGM_RSRC2:USER_SGPR: 2
; COMPUTE_PGM_RSRC2:TRAP_HANDLER: 0
; COMPUTE_PGM_RSRC2:TGID_X_EN: 1
; COMPUTE_PGM_RSRC2:TGID_Y_EN: 1
; COMPUTE_PGM_RSRC2:TGID_Z_EN: 1
; COMPUTE_PGM_RSRC2:TIDIG_COMP_CNT: 0
	.section	.text._ZL33flash_attn_stream_k_fixup_generalILi96ELi4ELi8EEvPfPK15HIP_vector_typeIfLj2EEiiiiS1_IjLj3EES5_S5_S5_,"axG",@progbits,_ZL33flash_attn_stream_k_fixup_generalILi96ELi4ELi8EEvPfPK15HIP_vector_typeIfLj2EEiiiiS1_IjLj3EES5_S5_S5_,comdat
	.globl	_ZL33flash_attn_stream_k_fixup_generalILi96ELi4ELi8EEvPfPK15HIP_vector_typeIfLj2EEiiiiS1_IjLj3EES5_S5_S5_ ; -- Begin function _ZL33flash_attn_stream_k_fixup_generalILi96ELi4ELi8EEvPfPK15HIP_vector_typeIfLj2EEiiiiS1_IjLj3EES5_S5_S5_
	.p2align	8
	.type	_ZL33flash_attn_stream_k_fixup_generalILi96ELi4ELi8EEvPfPK15HIP_vector_typeIfLj2EEiiiiS1_IjLj3EES5_S5_S5_,@function
_ZL33flash_attn_stream_k_fixup_generalILi96ELi4ELi8EEvPfPK15HIP_vector_typeIfLj2EEiiiiS1_IjLj3EES5_S5_S5_: ; @_ZL33flash_attn_stream_k_fixup_generalILi96ELi4ELi8EEvPfPK15HIP_vector_typeIfLj2EEiiiiS1_IjLj3EES5_S5_S5_
; %bb.0:
	s_clause 0x1
	s_load_b128 s[4:7], s[0:1], 0x10
	s_load_b32 s16, s[0:1], 0x50
	s_mov_b32 s2, ttmp9
	s_ashr_i32 s3, ttmp9, 31
	s_mov_b32 s17, 0
	s_delay_alu instid0(SALU_CYCLE_1) | instskip(SKIP_3) | instid1(SALU_CYCLE_1)
	s_mov_b32 s8, s17
	s_wait_kmcnt 0x0
	s_ashr_i32 s19, s7, 31
	s_mov_b32 s18, s7
	s_mul_u64 s[2:3], s[18:19], s[2:3]
	s_delay_alu instid0(SALU_CYCLE_1) | instskip(NEXT) | instid1(SALU_CYCLE_1)
	s_mov_b32 s9, s3
	s_cmp_lg_u64 s[8:9], 0
	s_cbranch_scc0 .LBB8_21
; %bb.1:
	s_add_nc_u64 s[8:9], s[16:17], 0
	s_mov_b32 s15, s17
	s_xor_b64 s[8:9], s[8:9], 0
	s_mov_b32 s23, s17
	s_cvt_f32_u32 s7, s8
	s_cvt_f32_u32 s10, s9
	s_sub_nc_u64 s[12:13], 0, s[8:9]
	s_delay_alu instid0(SALU_CYCLE_2) | instskip(NEXT) | instid1(SALU_CYCLE_3)
	s_fmamk_f32 s7, s10, 0x4f800000, s7
	v_s_rcp_f32 s7, s7
	s_delay_alu instid0(TRANS32_DEP_1) | instskip(SKIP_1) | instid1(SALU_CYCLE_2)
	s_mul_f32 s7, s7, 0x5f7ffffc
	s_wait_alu 0xfffe
	s_mul_f32 s10, s7, 0x2f800000
	s_delay_alu instid0(SALU_CYCLE_3) | instskip(NEXT) | instid1(SALU_CYCLE_3)
	s_trunc_f32 s10, s10
	s_fmamk_f32 s7, s10, 0xcf800000, s7
	s_cvt_u32_f32 s11, s10
	s_wait_alu 0xfffe
	s_delay_alu instid0(SALU_CYCLE_1) | instskip(NEXT) | instid1(SALU_CYCLE_3)
	s_cvt_u32_f32 s10, s7
	s_mul_u64 s[20:21], s[12:13], s[10:11]
	s_delay_alu instid0(SALU_CYCLE_1)
	s_mul_hi_u32 s25, s10, s21
	s_mul_i32 s24, s10, s21
	s_mul_hi_u32 s14, s10, s20
	s_mul_i32 s22, s11, s20
	s_add_nc_u64 s[14:15], s[14:15], s[24:25]
	s_mul_hi_u32 s7, s11, s20
	s_mul_hi_u32 s26, s11, s21
	s_add_co_u32 s14, s14, s22
	s_wait_alu 0xfffe
	s_add_co_ci_u32 s22, s15, s7
	s_mul_i32 s20, s11, s21
	s_add_co_ci_u32 s21, s26, 0
	s_delay_alu instid0(SALU_CYCLE_1)
	s_add_nc_u64 s[14:15], s[22:23], s[20:21]
	s_mov_b32 s21, s17
	s_add_co_u32 s10, s10, s14
	s_cselect_b32 s7, -1, 0
	s_wait_alu 0xfffe
	s_cmp_lg_u32 s7, 0
	s_add_co_ci_u32 s11, s11, s15
	s_mov_b32 s15, s17
	s_mul_u64 s[12:13], s[12:13], s[10:11]
	s_delay_alu instid0(SALU_CYCLE_1)
	s_mul_hi_u32 s23, s10, s13
	s_mul_i32 s22, s10, s13
	s_mul_hi_u32 s14, s10, s12
	s_mul_i32 s20, s11, s12
	s_add_nc_u64 s[14:15], s[14:15], s[22:23]
	s_mul_hi_u32 s7, s11, s12
	s_mul_hi_u32 s24, s11, s13
	s_mul_i32 s12, s11, s13
	s_add_co_u32 s13, s14, s20
	s_wait_alu 0xfffe
	s_add_co_ci_u32 s20, s15, s7
	s_add_co_ci_u32 s13, s24, 0
	s_mov_b32 s15, s17
	s_add_nc_u64 s[12:13], s[20:21], s[12:13]
	s_delay_alu instid0(SALU_CYCLE_1) | instskip(SKIP_1) | instid1(SALU_CYCLE_1)
	s_add_co_u32 s7, s10, s12
	s_cselect_b32 s10, -1, 0
	s_cmp_lg_u32 s10, 0
	s_add_co_ci_u32 s20, s11, s13
	s_ashr_i32 s10, s3, 31
	s_delay_alu instid0(SALU_CYCLE_1) | instskip(NEXT) | instid1(SALU_CYCLE_1)
	s_mov_b32 s11, s10
	s_add_nc_u64 s[12:13], s[2:3], s[10:11]
	s_delay_alu instid0(SALU_CYCLE_1) | instskip(NEXT) | instid1(SALU_CYCLE_1)
	s_xor_b64 s[12:13], s[12:13], s[10:11]
	s_mul_hi_u32 s23, s12, s20
	s_mul_i32 s22, s12, s20
	s_wait_alu 0xfffe
	s_mul_hi_u32 s14, s12, s7
	s_mul_hi_u32 s24, s13, s7
	s_mul_i32 s7, s13, s7
	s_add_nc_u64 s[14:15], s[14:15], s[22:23]
	s_mul_hi_u32 s3, s13, s20
	s_wait_alu 0xfffe
	s_add_co_u32 s7, s14, s7
	s_mul_i32 s22, s13, s20
	s_add_co_ci_u32 s20, s15, s24
	s_add_co_ci_u32 s23, s3, 0
	s_delay_alu instid0(SALU_CYCLE_1) | instskip(NEXT) | instid1(SALU_CYCLE_1)
	s_add_nc_u64 s[14:15], s[20:21], s[22:23]
	s_mul_u64 s[20:21], s[8:9], s[14:15]
	s_delay_alu instid0(SALU_CYCLE_1)
	s_sub_co_u32 s3, s12, s20
	s_cselect_b32 s7, -1, 0
	s_sub_co_i32 s12, s13, s21
	s_wait_alu 0xfffe
	s_cmp_lg_u32 s7, 0
	s_sub_co_ci_u32 s12, s12, s9
	s_sub_co_u32 s20, s3, s8
	s_cselect_b32 s22, -1, 0
	s_delay_alu instid0(SALU_CYCLE_1) | instskip(SKIP_2) | instid1(SALU_CYCLE_1)
	s_cmp_lg_u32 s22, 0
	s_add_nc_u64 s[22:23], s[14:15], 1
	s_sub_co_ci_u32 s12, s12, 0
	s_cmp_ge_u32 s12, s9
	s_cselect_b32 s24, -1, 0
	s_cmp_ge_u32 s20, s8
	s_cselect_b32 s20, -1, 0
	s_cmp_eq_u32 s12, s9
	s_cselect_b32 s12, s20, s24
	s_add_nc_u64 s[24:25], s[14:15], 2
	s_cmp_lg_u32 s12, 0
	s_cselect_b32 s12, s24, s22
	s_cselect_b32 s20, s25, s23
	s_cmp_lg_u32 s7, 0
	s_sub_co_ci_u32 s7, s13, s21
	s_wait_alu 0xfffe
	s_cmp_ge_u32 s7, s9
	s_cselect_b32 s13, -1, 0
	s_cmp_ge_u32 s3, s8
	s_cselect_b32 s3, -1, 0
	s_cmp_eq_u32 s7, s9
	s_cselect_b32 s3, s3, s13
	s_delay_alu instid0(SALU_CYCLE_1) | instskip(SKIP_4) | instid1(SALU_CYCLE_1)
	s_cmp_lg_u32 s3, 0
	s_mov_b32 s3, s17
	s_cselect_b32 s9, s20, s15
	s_cselect_b32 s8, s12, s14
	s_xor_b64 s[10:11], s[10:11], 0
	s_xor_b64 s[8:9], s[8:9], s[10:11]
	s_delay_alu instid0(SALU_CYCLE_1)
	s_sub_nc_u64 s[20:21], s[8:9], s[10:11]
	s_and_not1_b32 vcc_lo, exec_lo, s3
	s_cbranch_vccnz .LBB8_3
.LBB8_2:
	v_cvt_f32_u32_e32 v1, s16
	s_sub_co_i32 s7, 0, s16
	s_delay_alu instid0(VALU_DEP_1) | instskip(NEXT) | instid1(TRANS32_DEP_1)
	v_rcp_iflag_f32_e32 v1, v1
	v_mul_f32_e32 v1, 0x4f7ffffe, v1
	s_delay_alu instid0(VALU_DEP_1) | instskip(NEXT) | instid1(VALU_DEP_1)
	v_cvt_u32_f32_e32 v1, v1
	v_readfirstlane_b32 s3, v1
	s_wait_alu 0xfffe
	s_mul_i32 s7, s7, s3
	s_wait_alu 0xfffe
	s_mul_hi_u32 s7, s3, s7
	s_wait_alu 0xfffe
	s_add_co_i32 s3, s3, s7
	s_delay_alu instid0(SALU_CYCLE_1) | instskip(NEXT) | instid1(SALU_CYCLE_1)
	s_mul_hi_u32 s3, s2, s3
	s_mul_i32 s7, s3, s16
	s_wait_alu 0xfffe
	s_sub_co_i32 s2, s2, s7
	s_add_co_i32 s7, s3, 1
	s_sub_co_i32 s8, s2, s16
	s_cmp_ge_u32 s2, s16
	s_wait_alu 0xfffe
	s_cselect_b32 s3, s7, s3
	s_cselect_b32 s2, s8, s2
	s_add_co_i32 s7, s3, 1
	s_cmp_ge_u32 s2, s16
	s_wait_alu 0xfffe
	s_cselect_b32 s20, s7, s3
.LBB8_3:
	s_add_co_i32 s2, ttmp9, 1
	s_mov_b32 s8, 0
	s_ashr_i32 s3, s2, 31
	s_delay_alu instid0(SALU_CYCLE_1) | instskip(NEXT) | instid1(SALU_CYCLE_1)
	s_mul_u64 s[2:3], s[18:19], s[2:3]
	s_mov_b32 s9, s3
	s_delay_alu instid0(SALU_CYCLE_1)
	s_cmp_lg_u64 s[8:9], 0
	s_cbranch_scc0 .LBB8_22
; %bb.4:
	s_add_nc_u64 s[10:11], s[16:17], 0
	s_mov_b32 s23, s8
	s_xor_b64 s[10:11], s[10:11], 0
	s_mov_b32 s27, s8
	s_cvt_f32_u32 s7, s10
	s_cvt_f32_u32 s9, s11
	s_sub_nc_u64 s[14:15], 0, s[10:11]
	s_wait_alu 0xfffe
	s_delay_alu instid0(SALU_CYCLE_1) | instskip(SKIP_1) | instid1(SALU_CYCLE_2)
	s_fmamk_f32 s7, s9, 0x4f800000, s7
	s_wait_alu 0xfffe
	v_s_rcp_f32 s7, s7
	s_delay_alu instid0(TRANS32_DEP_1) | instskip(SKIP_1) | instid1(SALU_CYCLE_2)
	s_mul_f32 s7, s7, 0x5f7ffffc
	s_wait_alu 0xfffe
	s_mul_f32 s9, s7, 0x2f800000
	s_delay_alu instid0(SALU_CYCLE_3) | instskip(NEXT) | instid1(SALU_CYCLE_3)
	s_trunc_f32 s9, s9
	s_fmamk_f32 s7, s9, 0xcf800000, s7
	s_cvt_u32_f32 s13, s9
	s_wait_alu 0xfffe
	s_delay_alu instid0(SALU_CYCLE_1) | instskip(NEXT) | instid1(SALU_CYCLE_3)
	s_cvt_u32_f32 s12, s7
	s_mul_u64 s[24:25], s[14:15], s[12:13]
	s_delay_alu instid0(SALU_CYCLE_1)
	s_mul_hi_u32 s29, s12, s25
	s_mul_i32 s28, s12, s25
	s_mul_hi_u32 s22, s12, s24
	s_mul_i32 s9, s13, s24
	s_add_nc_u64 s[22:23], s[22:23], s[28:29]
	s_mul_hi_u32 s7, s13, s24
	s_mul_hi_u32 s21, s13, s25
	s_add_co_u32 s9, s22, s9
	s_wait_alu 0xfffe
	s_add_co_ci_u32 s26, s23, s7
	s_mul_i32 s24, s13, s25
	s_add_co_ci_u32 s25, s21, 0
	s_delay_alu instid0(SALU_CYCLE_1)
	s_add_nc_u64 s[22:23], s[26:27], s[24:25]
	s_mov_b32 s25, s8
	s_add_co_u32 s12, s12, s22
	s_cselect_b32 s7, -1, 0
	s_wait_alu 0xfffe
	s_cmp_lg_u32 s7, 0
	s_add_co_ci_u32 s13, s13, s23
	s_mov_b32 s23, s8
	s_mul_u64 s[14:15], s[14:15], s[12:13]
	s_delay_alu instid0(SALU_CYCLE_1)
	s_mul_hi_u32 s27, s12, s15
	s_mul_i32 s26, s12, s15
	s_mul_hi_u32 s22, s12, s14
	s_mul_i32 s9, s13, s14
	s_add_nc_u64 s[22:23], s[22:23], s[26:27]
	s_mul_hi_u32 s7, s13, s14
	s_mul_hi_u32 s21, s13, s15
	s_add_co_u32 s9, s22, s9
	s_wait_alu 0xfffe
	s_add_co_ci_u32 s24, s23, s7
	s_mul_i32 s14, s13, s15
	s_add_co_ci_u32 s15, s21, 0
	s_mov_b32 s23, s8
	s_add_nc_u64 s[14:15], s[24:25], s[14:15]
	s_delay_alu instid0(SALU_CYCLE_1) | instskip(SKIP_1) | instid1(SALU_CYCLE_1)
	s_add_co_u32 s7, s12, s14
	s_cselect_b32 s9, -1, 0
	s_cmp_lg_u32 s9, 0
	s_add_co_ci_u32 s9, s13, s15
	s_ashr_i32 s12, s3, 31
	s_delay_alu instid0(SALU_CYCLE_1) | instskip(NEXT) | instid1(SALU_CYCLE_1)
	s_mov_b32 s13, s12
	s_add_nc_u64 s[14:15], s[2:3], s[12:13]
	s_delay_alu instid0(SALU_CYCLE_1) | instskip(NEXT) | instid1(SALU_CYCLE_1)
	s_xor_b64 s[14:15], s[14:15], s[12:13]
	s_mul_hi_u32 s27, s14, s9
	s_mul_i32 s26, s14, s9
	s_wait_alu 0xfffe
	s_mul_hi_u32 s22, s14, s7
	s_mul_hi_u32 s21, s15, s7
	s_mul_i32 s7, s15, s7
	s_add_nc_u64 s[22:23], s[22:23], s[26:27]
	s_mul_hi_u32 s3, s15, s9
	s_wait_alu 0xfffe
	s_add_co_u32 s7, s22, s7
	s_add_co_ci_u32 s24, s23, s21
	s_mul_i32 s26, s15, s9
	s_add_co_ci_u32 s27, s3, 0
	s_delay_alu instid0(SALU_CYCLE_1) | instskip(NEXT) | instid1(SALU_CYCLE_1)
	s_add_nc_u64 s[22:23], s[24:25], s[26:27]
	s_mul_u64 s[24:25], s[10:11], s[22:23]
	s_add_nc_u64 s[26:27], s[22:23], 1
	s_sub_co_u32 s3, s14, s24
	s_cselect_b32 s7, -1, 0
	s_sub_co_i32 s9, s15, s25
	s_wait_alu 0xfffe
	s_cmp_lg_u32 s7, 0
	s_add_nc_u64 s[28:29], s[22:23], 2
	s_sub_co_ci_u32 s9, s9, s11
	s_sub_co_u32 s14, s3, s10
	s_cselect_b32 s21, -1, 0
	s_delay_alu instid0(SALU_CYCLE_1) | instskip(SKIP_1) | instid1(SALU_CYCLE_1)
	s_cmp_lg_u32 s21, 0
	s_sub_co_ci_u32 s9, s9, 0
	s_cmp_ge_u32 s9, s11
	s_cselect_b32 s21, -1, 0
	s_cmp_ge_u32 s14, s10
	s_cselect_b32 s14, -1, 0
	s_cmp_eq_u32 s9, s11
	s_cselect_b32 s9, s14, s21
	s_delay_alu instid0(SALU_CYCLE_1)
	s_cmp_lg_u32 s9, 0
	s_cselect_b32 s9, s28, s26
	s_cselect_b32 s14, s29, s27
	s_cmp_lg_u32 s7, 0
	s_sub_co_ci_u32 s7, s15, s25
	s_wait_alu 0xfffe
	s_cmp_ge_u32 s7, s11
	s_cselect_b32 s15, -1, 0
	s_cmp_ge_u32 s3, s10
	s_cselect_b32 s3, -1, 0
	s_cmp_eq_u32 s7, s11
	s_cselect_b32 s3, s3, s15
	s_delay_alu instid0(SALU_CYCLE_1) | instskip(SKIP_3) | instid1(SALU_CYCLE_1)
	s_cmp_lg_u32 s3, 0
	s_cselect_b32 s11, s14, s23
	s_cselect_b32 s10, s9, s22
	s_xor_b64 s[12:13], s[12:13], 0
	s_xor_b64 s[10:11], s[10:11], s[12:13]
	s_delay_alu instid0(SALU_CYCLE_1)
	s_sub_nc_u64 s[10:11], s[10:11], s[12:13]
	s_load_b96 s[12:14], s[0:1], 0x44
	s_and_not1_b32 vcc_lo, exec_lo, s8
	s_cbranch_vccnz .LBB8_6
.LBB8_5:
	v_cvt_f32_u32_e32 v1, s16
	s_sub_co_i32 s7, 0, s16
	s_delay_alu instid0(VALU_DEP_1) | instskip(NEXT) | instid1(TRANS32_DEP_1)
	v_rcp_iflag_f32_e32 v1, v1
	v_mul_f32_e32 v1, 0x4f7ffffe, v1
	s_delay_alu instid0(VALU_DEP_1) | instskip(NEXT) | instid1(VALU_DEP_1)
	v_cvt_u32_f32_e32 v1, v1
	v_readfirstlane_b32 s3, v1
	s_wait_alu 0xfffe
	s_mul_i32 s7, s7, s3
	s_wait_alu 0xfffe
	s_mul_hi_u32 s7, s3, s7
	s_wait_alu 0xfffe
	s_add_co_i32 s3, s3, s7
	s_delay_alu instid0(SALU_CYCLE_1) | instskip(NEXT) | instid1(SALU_CYCLE_1)
	s_mul_hi_u32 s3, s2, s3
	s_mul_i32 s7, s3, s16
	s_wait_alu 0xfffe
	s_sub_co_i32 s2, s2, s7
	s_add_co_i32 s7, s3, 1
	s_sub_co_i32 s8, s2, s16
	s_cmp_ge_u32 s2, s16
	s_wait_alu 0xfffe
	s_cselect_b32 s3, s7, s3
	s_cselect_b32 s2, s8, s2
	s_add_co_i32 s7, s3, 1
	s_cmp_ge_u32 s2, s16
	s_wait_alu 0xfffe
	s_cselect_b32 s10, s7, s3
.LBB8_6:
	s_mov_b32 s21, 0
	s_wait_kmcnt 0x0
	s_mov_b32 s22, s12
	s_mov_b32 s23, s21
	s_cmp_eq_u32 s20, s10
	s_mul_u64 s[2:3], s[20:21], s[22:23]
	s_cselect_b32 s7, -1, 0
	s_add_co_i32 s2, s3, s20
	s_mov_b32 s11, s21
	s_lshr_b32 s12, s2, s13
	s_mul_u64 s[2:3], s[10:11], s[22:23]
	s_mul_i32 s2, s12, s14
	s_delay_alu instid0(SALU_CYCLE_1) | instskip(SKIP_2) | instid1(SALU_CYCLE_1)
	s_cmp_eq_u32 s2, s20
	s_cselect_b32 s2, -1, 0
	s_add_co_i32 s3, s3, s10
	s_lshr_b32 s3, s3, s13
	s_delay_alu instid0(SALU_CYCLE_1)
	s_cmp_eq_u32 s12, s3
	s_mul_i32 s3, s3, s14
	s_cselect_b32 s8, -1, 0
	s_cmp_lg_u32 s3, s10
	s_cselect_b32 s3, -1, 0
	s_wait_alu 0xfffe
	s_or_b32 s2, s7, s2
	s_and_b32 s3, s8, s3
	s_delay_alu instid0(SALU_CYCLE_1) | instskip(NEXT) | instid1(SALU_CYCLE_1)
	s_or_b32 s2, s2, s3
	s_and_b32 vcc_lo, exec_lo, s2
	s_cbranch_vccnz .LBB8_24
; %bb.7:
	s_load_b256 s[24:31], s[0:1], 0x20
	s_mov_b32 s3, s21
	s_wait_kmcnt 0x0
	s_mov_b32 s2, s24
	s_delay_alu instid0(SALU_CYCLE_1) | instskip(NEXT) | instid1(SALU_CYCLE_1)
	s_mul_u64 s[2:3], s[20:21], s[2:3]
	s_add_co_i32 s2, s3, s20
	s_delay_alu instid0(SALU_CYCLE_1) | instskip(SKIP_2) | instid1(SALU_CYCLE_1)
	s_lshr_b32 s7, s2, s25
	s_load_b32 s2, s[0:1], 0x40
	s_mul_i32 s3, s7, s26
	s_sub_co_i32 s3, s20, s3
	s_delay_alu instid0(SALU_CYCLE_1) | instskip(NEXT) | instid1(SALU_CYCLE_1)
	s_mul_hi_u32 s8, s3, s27
	s_add_co_i32 s8, s3, s8
	s_delay_alu instid0(SALU_CYCLE_1) | instskip(NEXT) | instid1(SALU_CYCLE_1)
	s_lshr_b32 s15, s8, s28
	s_mul_i32 s8, s15, s29
	s_delay_alu instid0(SALU_CYCLE_1) | instskip(NEXT) | instid1(SALU_CYCLE_1)
	s_sub_co_i32 s8, s3, s8
	s_mul_hi_u32 s3, s8, s30
	s_delay_alu instid0(SALU_CYCLE_1) | instskip(NEXT) | instid1(SALU_CYCLE_1)
	s_add_co_i32 s3, s8, s3
	s_lshr_b32 s10, s3, s31
	s_mov_b32 s3, s21
	s_wait_kmcnt 0x0
	s_mul_i32 s2, s10, s2
	s_lshl_b32 s24, s10, 3
	s_sub_co_i32 s2, s8, s2
	s_delay_alu instid0(SALU_CYCLE_1) | instskip(SKIP_2) | instid1(SALU_CYCLE_1)
	s_mul_u64 s[8:9], s[2:3], s[22:23]
	s_lshr_b32 s3, ttmp7, 16
	s_add_co_i32 s2, s2, s9
	s_lshr_b32 s21, s2, s13
	s_and_b32 s2, ttmp7, 0xffff
	s_lshl_b32 s8, s21, 2
	s_delay_alu instid0(SALU_CYCLE_1) | instskip(NEXT) | instid1(SALU_CYCLE_1)
	s_add_co_i32 s8, s8, s2
	s_cmp_lt_i32 s8, s4
	s_cselect_b32 s8, -1, 0
	s_add_co_i32 s24, s24, s3
	s_delay_alu instid0(SALU_CYCLE_1) | instskip(SKIP_1) | instid1(SALU_CYCLE_1)
	s_cmp_lt_i32 s24, s6
	s_cselect_b32 s9, -1, 0
	s_and_b32 s8, s8, s9
	s_delay_alu instid0(SALU_CYCLE_1)
	s_and_not1_b32 vcc_lo, exec_lo, s8
	s_cbranch_vccnz .LBB8_24
; %bb.8:
	s_mul_i32 s4, s7, s4
	s_load_b128 s[8:11], s[0:1], 0x0
	s_add_co_i32 s0, s4, s2
	s_mul_i32 s15, s15, s6
	s_mul_i32 s0, s0, s5
	s_add_co_i32 s1, s24, s15
	s_mul_i32 s4, s5, s21
	s_add_co_i32 s0, s1, s0
	s_mulk_i32 s4, 0x180
	s_mulk_i32 s0, 0x60
	s_lshl_b32 s15, s2, 3
	v_add3_u32 v1, s4, s0, v0
	s_add_nc_u64 s[0:1], s[16:17], 0
	s_add_co_i32 s15, s15, s3
	s_wait_alu 0xfffe
	s_xor_b64 s[6:7], s[0:1], 0
	s_lshl_b32 s0, ttmp9, 5
	v_ashrrev_i32_e32 v2, 31, v1
	s_wait_alu 0xfffe
	s_cvt_f32_u32 s1, s6
	s_cvt_f32_u32 s2, s7
	s_add_co_i32 s0, s15, s0
	v_cvt_f32_u32_e32 v3, s16
	v_lshlrev_b64_e32 v[1:2], 2, v[1:2]
	s_wait_alu 0xfffe
	s_fmamk_f32 s2, s2, 0x4f800000, s1
	s_ashr_i32 s1, s0, 31
	s_add_co_i32 s34, ttmp9, -1
	s_wait_alu 0xfffe
	s_lshl_b64 s[0:1], s[0:1], 3
	v_s_rcp_f32 s2, s2
	s_wait_kmcnt 0x0
	v_add_co_u32 v1, vcc_lo, s8, v1
	s_delay_alu instid0(VALU_DEP_1)
	v_add_co_ci_u32_e64 v2, null, s9, v2, vcc_lo
	s_wait_alu 0xfffe
	s_add_nc_u64 s[0:1], s[10:11], s[0:1]
	v_rcp_iflag_f32_e32 v3, v3
	s_load_b64 s[26:27], s[0:1], 0x0
	global_load_b32 v5, v[1:2], off
	s_mul_f32 s2, s2, 0x5f7ffffc
	s_mov_b32 s8, 0
	s_lshl_b32 s0, s16, 7
	s_wait_alu 0xfffe
	s_mov_b32 s1, s8
	s_mul_f32 s3, s2, 0x2f800000
	s_wait_alu 0xfffe
	s_lshl_b64 s[0:1], s[0:1], 2
	s_sub_nc_u64 s[30:31], 0, s[6:7]
	v_mul_f32_e32 v6, 0x4f7ffffe, v3
	s_trunc_f32 s3, s3
	s_wait_alu 0xfffe
	s_add_nc_u64 s[24:25], s[10:11], s[0:1]
	v_mad_co_u64_u32 v[3:4], null, 0x60, s15, v[0:1]
	s_fmamk_f32 s0, s3, 0xcf800000, s2
	v_cvt_u32_f32_e32 v0, v6
	s_cvt_u32_f32 s29, s3
	s_wait_alu 0xfffe
	s_cvt_u32_f32 s28, s0
	s_wait_kmcnt 0x0
	v_mov_b32_e32 v4, s27
.LBB8_9:                                ; =>This Inner Loop Header: Depth=1
	s_wait_alu 0xfffe
	s_ashr_i32 s35, s34, 31
	s_mov_b32 s2, -1
	s_wait_alu 0xfffe
	s_mul_u64 s[0:1], s[34:35], s[18:19]
                                        ; implicit-def: $sgpr38_sgpr39
	s_wait_alu 0xfffe
	s_mov_b32 s9, s1
	s_wait_alu 0xfffe
	s_cmp_lg_u64 s[8:9], 0
	s_cbranch_scc0 .LBB8_11
; %bb.10:                               ;   in Loop: Header=BB8_9 Depth=1
	s_mul_u64 s[2:3], s[30:31], s[28:29]
	s_mov_b32 s37, s8
	s_wait_alu 0xfffe
	s_mul_hi_u32 s5, s28, s3
	s_mul_i32 s4, s28, s3
	s_mul_hi_u32 s36, s28, s2
	s_mul_hi_u32 s9, s29, s2
	s_wait_alu 0xfffe
	s_add_nc_u64 s[4:5], s[36:37], s[4:5]
	s_mul_i32 s2, s29, s2
	s_mul_hi_u32 s17, s29, s3
	s_wait_alu 0xfffe
	s_add_co_u32 s2, s4, s2
	s_add_co_ci_u32 s2, s5, s9
	s_add_co_ci_u32 s5, s17, 0
	s_mul_i32 s4, s29, s3
	s_mov_b32 s3, s8
	s_mov_b32 s39, s8
	s_wait_alu 0xfffe
	s_add_nc_u64 s[2:3], s[2:3], s[4:5]
	s_wait_alu 0xfffe
	s_add_co_u32 s2, s28, s2
	s_cselect_b32 s4, -1, 0
	s_wait_alu 0xfffe
	s_cmp_lg_u32 s4, 0
	s_add_co_ci_u32 s3, s29, s3
	s_wait_alu 0xfffe
	s_mul_u64 s[4:5], s[30:31], s[2:3]
	s_wait_alu 0xfffe
	s_mul_hi_u32 s37, s2, s5
	s_mul_i32 s36, s2, s5
	s_mul_hi_u32 s38, s2, s4
	s_mul_hi_u32 s9, s3, s4
	s_mul_i32 s4, s3, s4
	s_wait_alu 0xfffe
	s_add_nc_u64 s[36:37], s[38:39], s[36:37]
	s_mul_hi_u32 s17, s3, s5
	s_wait_alu 0xfffe
	s_add_co_u32 s4, s36, s4
	s_add_co_ci_u32 s4, s37, s9
	s_add_co_ci_u32 s37, s17, 0
	s_mul_i32 s36, s3, s5
	s_mov_b32 s5, s8
	s_wait_alu 0xfffe
	s_add_nc_u64 s[4:5], s[4:5], s[36:37]
	s_mov_b32 s37, s8
	s_wait_alu 0xfffe
	s_add_co_u32 s9, s2, s4
	s_cselect_b32 s2, -1, 0
	s_wait_alu 0xfffe
	s_cmp_lg_u32 s2, 0
	s_add_co_ci_u32 s17, s3, s5
	s_ashr_i32 s2, s1, 31
	s_wait_alu 0xfffe
	s_mov_b32 s3, s2
	s_wait_alu 0xfffe
	s_add_nc_u64 s[4:5], s[0:1], s[2:3]
	s_wait_alu 0xfffe
	s_xor_b64 s[4:5], s[4:5], s[2:3]
	s_wait_alu 0xfffe
	s_mul_hi_u32 s39, s4, s17
	s_mul_i32 s38, s4, s17
	s_mul_hi_u32 s36, s4, s9
	s_mul_i32 s21, s5, s9
	s_wait_alu 0xfffe
	s_add_nc_u64 s[36:37], s[36:37], s[38:39]
	s_mul_hi_u32 s9, s5, s9
	s_mul_hi_u32 s1, s5, s17
	s_wait_alu 0xfffe
	s_add_co_u32 s21, s36, s21
	s_add_co_ci_u32 s36, s37, s9
	s_add_co_ci_u32 s39, s1, 0
	s_mul_i32 s38, s5, s17
	s_mov_b32 s37, s8
	s_wait_alu 0xfffe
	s_add_nc_u64 s[36:37], s[36:37], s[38:39]
	s_wait_alu 0xfffe
	s_mul_u64 s[38:39], s[6:7], s[36:37]
	s_add_nc_u64 s[40:41], s[36:37], 1
	s_sub_co_u32 s1, s4, s38
	s_cselect_b32 s4, -1, 0
	s_sub_co_i32 s9, s5, s39
	s_wait_alu 0xfffe
	s_cmp_lg_u32 s4, 0
	s_add_nc_u64 s[42:43], s[36:37], 2
	s_sub_co_ci_u32 s9, s9, s7
	s_sub_co_u32 s17, s1, s6
	s_cselect_b32 s21, -1, 0
	s_delay_alu instid0(SALU_CYCLE_1)
	s_cmp_lg_u32 s21, 0
	s_wait_alu 0xfffe
	s_sub_co_ci_u32 s9, s9, 0
	s_wait_alu 0xfffe
	s_cmp_ge_u32 s9, s7
	s_cselect_b32 s21, -1, 0
	s_cmp_ge_u32 s17, s6
	s_cselect_b32 s17, -1, 0
	s_cmp_eq_u32 s9, s7
	s_wait_alu 0xfffe
	s_cselect_b32 s9, s17, s21
	s_wait_alu 0xfffe
	s_cmp_lg_u32 s9, 0
	s_cselect_b32 s9, s42, s40
	s_cselect_b32 s17, s43, s41
	s_cmp_lg_u32 s4, 0
	s_sub_co_ci_u32 s4, s5, s39
	s_wait_alu 0xfffe
	s_cmp_ge_u32 s4, s7
	s_cselect_b32 s5, -1, 0
	s_cmp_ge_u32 s1, s6
	s_cselect_b32 s1, -1, 0
	s_cmp_eq_u32 s4, s7
	s_wait_alu 0xfffe
	s_cselect_b32 s1, s1, s5
	s_wait_alu 0xfffe
	s_cmp_lg_u32 s1, 0
	s_cselect_b32 s5, s17, s37
	s_cselect_b32 s4, s9, s36
	s_xor_b64 s[2:3], s[2:3], 0
	s_wait_alu 0xfffe
	s_xor_b64 s[4:5], s[4:5], s[2:3]
	s_wait_alu 0xfffe
	s_sub_nc_u64 s[38:39], s[4:5], s[2:3]
	s_mov_b32 s2, 0
.LBB8_11:                               ;   in Loop: Header=BB8_9 Depth=1
	s_wait_alu 0xfffe
	s_and_not1_b32 vcc_lo, exec_lo, s2
	s_wait_alu 0xfffe
	s_cbranch_vccnz .LBB8_13
; %bb.12:                               ;   in Loop: Header=BB8_9 Depth=1
	v_readfirstlane_b32 s1, v0
	s_sub_co_i32 s2, 0, s16
	s_wait_alu 0xfffe
	s_mul_i32 s2, s2, s1
	s_wait_alu 0xfffe
	s_mul_hi_u32 s2, s1, s2
	s_wait_alu 0xfffe
	s_add_co_i32 s1, s1, s2
	s_wait_alu 0xfffe
	s_mul_hi_u32 s1, s0, s1
	s_wait_alu 0xfffe
	s_mul_i32 s2, s1, s16
	s_wait_alu 0xfffe
	s_sub_co_i32 s0, s0, s2
	s_add_co_i32 s2, s1, 1
	s_wait_alu 0xfffe
	s_sub_co_i32 s3, s0, s16
	s_cmp_ge_u32 s0, s16
	s_cselect_b32 s1, s2, s1
	s_wait_alu 0xfffe
	s_cselect_b32 s0, s3, s0
	s_add_co_i32 s2, s1, 1
	s_wait_alu 0xfffe
	s_cmp_ge_u32 s0, s16
	s_cselect_b32 s38, s2, s1
.LBB8_13:                               ;   in Loop: Header=BB8_9 Depth=1
	v_readfirstlane_b32 s9, v0
	s_cmp_lg_u32 s20, s38
	s_mov_b32 s0, -1
                                        ; implicit-def: $sgpr21
                                        ; implicit-def: $vgpr6
                                        ; implicit-def: $vgpr7
                                        ; implicit-def: $sgpr17
                                        ; implicit-def: $sgpr27
	s_cbranch_scc1 .LBB8_16
; %bb.14:                               ;   in Loop: Header=BB8_9 Depth=1
	s_wait_alu 0xfffe
	s_and_not1_b32 vcc_lo, exec_lo, s0
	s_wait_alu 0xfffe
	s_cbranch_vccz .LBB8_19
.LBB8_15:                               ;   in Loop: Header=BB8_9 Depth=1
	s_and_not1_b32 vcc_lo, exec_lo, s21
	s_wait_alu 0xfffe
	s_cbranch_vccnz .LBB8_20
	s_branch .LBB8_23
.LBB8_16:                               ;   in Loop: Header=BB8_9 Depth=1
	s_add_co_i32 s0, s34, s16
	s_mov_b32 s1, s8
	s_wait_alu 0xfffe
	s_lshl_b32 s0, s0, 5
	v_max_num_f32_e64 v6, s26, s26
	s_wait_alu 0xfffe
	s_add_co_i32 s0, s0, s15
	s_mov_b32 s39, s8
	s_wait_alu 0xfffe
	s_lshl_b64 s[0:1], s[0:1], 3
	s_mul_u64 s[40:41], s[38:39], s[22:23]
	s_wait_alu 0xfffe
	s_add_nc_u64 s[0:1], s[10:11], s[0:1]
	s_mov_b32 s27, s20
	s_load_b64 s[36:37], s[0:1], 0x0
	v_readfirstlane_b32 s0, v6
	s_wait_kmcnt 0x0
	v_max_num_f32_e64 v7, s36, s36
	s_delay_alu instid0(VALU_DEP_1) | instskip(SKIP_2) | instid1(SALU_CYCLE_2)
	v_readfirstlane_b32 s1, v7
	s_max_num_f32 s9, s0, s1
	s_wait_alu 0xfffe
	s_sub_f32 s33, s26, s9
	s_sub_f32 s35, s36, s9
	s_wait_alu 0xfffe
	s_delay_alu instid0(SALU_CYCLE_1)
	s_cmp_nlt_f32 s33, 0xc2ce8ed0
	s_cselect_b32 s0, -1, 0
	s_cmp_ngt_f32 s33, 0x42b17218
	s_cselect_b32 s1, -1, 0
	s_cmp_ge_f32 s33, 0xc1a00000
	s_cselect_b32 s2, -1, 0
	s_cmp_nlt_f32 s35, 0xc2ce8ed0
	s_cselect_b32 s3, -1, 0
	s_cmp_ngt_f32 s35, 0x42b17218
	s_cselect_b32 s4, -1, 0
	s_cmp_ge_f32 s35, 0xc1a00000
	s_cselect_b32 s5, -1, 0
	s_add_co_i32 s17, s41, s38
	s_wait_alu 0xfffe
	s_lshr_b32 s17, s17, s13
	s_wait_alu 0xfffe
	s_mul_i32 s21, s17, s14
	s_delay_alu instid0(SALU_CYCLE_1)
	s_cmp_eq_u32 s21, s38
	s_cselect_b32 s21, -1, 0
	s_cmp_lt_u32 s17, s12
	s_cselect_b32 s17, -1, 0
	s_wait_alu 0xfffe
	s_or_b32 s17, s17, s21
	s_mov_b32 s21, -1
	s_wait_alu 0xfffe
	s_and_b32 vcc_lo, exec_lo, s17
	s_mov_b32 s17, s34
	s_wait_alu 0xfffe
	s_cbranch_vccnz .LBB8_18
; %bb.17:                               ;   in Loop: Header=BB8_9 Depth=1
	s_add_co_i32 s17, s34, -1
	s_mov_b32 s21, 0
	s_mov_b32 s27, s38
.LBB8_18:                               ;   in Loop: Header=BB8_9 Depth=1
	v_mad_co_u64_u32 v[6:7], null, 0xc00, s34, v[3:4]
	s_mul_f32 s36, s35, 0x3fb8aa3b
	s_mul_f32 s38, s33, 0x3fb8aa3b
	s_wait_alu 0xfffe
	s_delay_alu instid0(SALU_CYCLE_1)
	s_xor_b32 s39, s36, 0x80000000
	s_rndne_f32 s40, s36
	v_ashrrev_i32_e32 v7, 31, v6
	s_fmamk_f32 s39, s35, 0x3fb8aa3b, s39
	s_xor_b32 s41, s38, 0x80000000
	s_sub_f32 s36, s36, s40
	s_rndne_f32 s42, s38
	v_lshlrev_b64_e32 v[6:7], 2, v[6:7]
	s_fmamk_f32 s35, s35, 0x32a5705f, s39
	s_fmamk_f32 s39, s33, 0x3fb8aa3b, s41
	s_sub_f32 s38, s38, s42
	s_wait_alu 0xfffe
	s_add_f32 s35, s36, s35
	v_add_co_u32 v6, vcc_lo, s24, v6
	s_wait_alu 0xfffd
	v_add_co_ci_u32_e64 v7, null, s25, v7, vcc_lo
	s_fmamk_f32 s33, s33, 0x32a5705f, s39
	s_wait_alu 0xfffe
	v_s_exp_f32 s35, s35
	s_cvt_i32_f32 s36, s40
	global_load_b32 v6, v[6:7], off
	s_add_f32 s33, s38, s33
	s_wait_alu 0xfffe
	s_delay_alu instid0(SALU_CYCLE_2) | instskip(SKIP_2) | instid1(VALU_DEP_1)
	v_s_exp_f32 s33, s33
	v_ldexp_f32 v7, s35, s36
	s_cvt_i32_f32 s35, s42
	v_cndmask_b32_e64 v7, 0, v7, s3
	s_wait_alu 0xf1fe
	s_delay_alu instid0(TRANS32_DEP_1) | instid1(SALU_CYCLE_1)
	v_ldexp_f32 v8, s33, s35
	s_delay_alu instid0(VALU_DEP_2) | instskip(NEXT) | instid1(VALU_DEP_2)
	v_cndmask_b32_e64 v7, 0x7f800000, v7, s4
	v_cndmask_b32_e64 v8, 0, v8, s0
	s_delay_alu instid0(VALU_DEP_2) | instskip(NEXT) | instid1(VALU_DEP_2)
	v_cndmask_b32_e64 v7, 0, v7, s5
	v_cndmask_b32_e64 v8, 0x7f800000, v8, s1
	s_delay_alu instid0(VALU_DEP_1) | instskip(SKIP_1) | instid1(VALU_DEP_3)
	v_cndmask_b32_e64 v8, 0, v8, s2
	s_wait_loadcnt 0x0
	v_mul_f32_e32 v6, v6, v7
	v_mul_f32_e32 v7, s37, v7
	s_delay_alu instid0(VALU_DEP_1) | instskip(NEXT) | instid1(VALU_DEP_3)
	v_fmac_f32_e32 v7, v4, v8
	v_fmac_f32_e32 v6, v5, v8
	s_cbranch_execnz .LBB8_15
.LBB8_19:                               ;   in Loop: Header=BB8_9 Depth=1
	s_wait_loadcnt 0x0
	v_dual_mov_b32 v7, v4 :: v_dual_mov_b32 v6, v5
	s_add_co_i32 s17, s34, -1
	s_mov_b32 s27, s20
	s_mov_b32 s9, s26
	s_cbranch_execz .LBB8_23
.LBB8_20:                               ;   in Loop: Header=BB8_9 Depth=1
	s_wait_loadcnt 0x0
	v_dual_mov_b32 v4, v7 :: v_dual_mov_b32 v5, v6
	s_wait_alu 0xfffe
	s_mov_b32 s20, s27
	s_mov_b32 s34, s17
	s_mov_b32 s26, s9
	s_branch .LBB8_9
.LBB8_21:
                                        ; implicit-def: $sgpr20_sgpr21
	s_branch .LBB8_2
.LBB8_22:
                                        ; implicit-def: $sgpr10_sgpr11
	s_load_b96 s[12:14], s[0:1], 0x44
	s_branch .LBB8_5
.LBB8_23:
	v_div_scale_f32 v0, null, v7, v7, v6
	s_delay_alu instid0(VALU_DEP_1) | instskip(NEXT) | instid1(TRANS32_DEP_1)
	v_rcp_f32_e32 v3, v0
	v_fma_f32 v4, -v0, v3, 1.0
	s_delay_alu instid0(VALU_DEP_1) | instskip(SKIP_2) | instid1(VALU_DEP_1)
	v_fmac_f32_e32 v3, v4, v3
	v_div_scale_f32 v4, vcc_lo, v6, v7, v6
	s_wait_loadcnt 0x0
	v_mul_f32_e32 v5, v4, v3
	s_delay_alu instid0(VALU_DEP_1) | instskip(NEXT) | instid1(VALU_DEP_1)
	v_fma_f32 v8, -v0, v5, v4
	v_fmac_f32_e32 v5, v8, v3
	s_delay_alu instid0(VALU_DEP_1) | instskip(SKIP_1) | instid1(VALU_DEP_1)
	v_fma_f32 v0, -v0, v5, v4
	s_wait_alu 0xfffd
	v_div_fmas_f32 v0, v0, v3, v5
	s_delay_alu instid0(VALU_DEP_1)
	v_div_fixup_f32 v0, v0, v7, v6
	global_store_b32 v[1:2], v0, off
.LBB8_24:
	s_endpgm
	.section	.rodata,"a",@progbits
	.p2align	6, 0x0
	.amdhsa_kernel _ZL33flash_attn_stream_k_fixup_generalILi96ELi4ELi8EEvPfPK15HIP_vector_typeIfLj2EEiiiiS1_IjLj3EES5_S5_S5_
		.amdhsa_group_segment_fixed_size 0
		.amdhsa_private_segment_fixed_size 0
		.amdhsa_kernarg_size 336
		.amdhsa_user_sgpr_count 2
		.amdhsa_user_sgpr_dispatch_ptr 0
		.amdhsa_user_sgpr_queue_ptr 0
		.amdhsa_user_sgpr_kernarg_segment_ptr 1
		.amdhsa_user_sgpr_dispatch_id 0
		.amdhsa_user_sgpr_private_segment_size 0
		.amdhsa_wavefront_size32 1
		.amdhsa_uses_dynamic_stack 0
		.amdhsa_enable_private_segment 0
		.amdhsa_system_sgpr_workgroup_id_x 1
		.amdhsa_system_sgpr_workgroup_id_y 1
		.amdhsa_system_sgpr_workgroup_id_z 1
		.amdhsa_system_sgpr_workgroup_info 0
		.amdhsa_system_vgpr_workitem_id 0
		.amdhsa_next_free_vgpr 9
		.amdhsa_next_free_sgpr 44
		.amdhsa_reserve_vcc 1
		.amdhsa_float_round_mode_32 0
		.amdhsa_float_round_mode_16_64 0
		.amdhsa_float_denorm_mode_32 3
		.amdhsa_float_denorm_mode_16_64 3
		.amdhsa_fp16_overflow 0
		.amdhsa_workgroup_processor_mode 1
		.amdhsa_memory_ordered 1
		.amdhsa_forward_progress 1
		.amdhsa_inst_pref_size 28
		.amdhsa_round_robin_scheduling 0
		.amdhsa_exception_fp_ieee_invalid_op 0
		.amdhsa_exception_fp_denorm_src 0
		.amdhsa_exception_fp_ieee_div_zero 0
		.amdhsa_exception_fp_ieee_overflow 0
		.amdhsa_exception_fp_ieee_underflow 0
		.amdhsa_exception_fp_ieee_inexact 0
		.amdhsa_exception_int_div_zero 0
	.end_amdhsa_kernel
	.section	.text._ZL33flash_attn_stream_k_fixup_generalILi96ELi4ELi8EEvPfPK15HIP_vector_typeIfLj2EEiiiiS1_IjLj3EES5_S5_S5_,"axG",@progbits,_ZL33flash_attn_stream_k_fixup_generalILi96ELi4ELi8EEvPfPK15HIP_vector_typeIfLj2EEiiiiS1_IjLj3EES5_S5_S5_,comdat
.Lfunc_end8:
	.size	_ZL33flash_attn_stream_k_fixup_generalILi96ELi4ELi8EEvPfPK15HIP_vector_typeIfLj2EEiiiiS1_IjLj3EES5_S5_S5_, .Lfunc_end8-_ZL33flash_attn_stream_k_fixup_generalILi96ELi4ELi8EEvPfPK15HIP_vector_typeIfLj2EEiiiiS1_IjLj3EES5_S5_S5_
                                        ; -- End function
	.set _ZL33flash_attn_stream_k_fixup_generalILi96ELi4ELi8EEvPfPK15HIP_vector_typeIfLj2EEiiiiS1_IjLj3EES5_S5_S5_.num_vgpr, 9
	.set _ZL33flash_attn_stream_k_fixup_generalILi96ELi4ELi8EEvPfPK15HIP_vector_typeIfLj2EEiiiiS1_IjLj3EES5_S5_S5_.num_agpr, 0
	.set _ZL33flash_attn_stream_k_fixup_generalILi96ELi4ELi8EEvPfPK15HIP_vector_typeIfLj2EEiiiiS1_IjLj3EES5_S5_S5_.numbered_sgpr, 44
	.set _ZL33flash_attn_stream_k_fixup_generalILi96ELi4ELi8EEvPfPK15HIP_vector_typeIfLj2EEiiiiS1_IjLj3EES5_S5_S5_.num_named_barrier, 0
	.set _ZL33flash_attn_stream_k_fixup_generalILi96ELi4ELi8EEvPfPK15HIP_vector_typeIfLj2EEiiiiS1_IjLj3EES5_S5_S5_.private_seg_size, 0
	.set _ZL33flash_attn_stream_k_fixup_generalILi96ELi4ELi8EEvPfPK15HIP_vector_typeIfLj2EEiiiiS1_IjLj3EES5_S5_S5_.uses_vcc, 1
	.set _ZL33flash_attn_stream_k_fixup_generalILi96ELi4ELi8EEvPfPK15HIP_vector_typeIfLj2EEiiiiS1_IjLj3EES5_S5_S5_.uses_flat_scratch, 0
	.set _ZL33flash_attn_stream_k_fixup_generalILi96ELi4ELi8EEvPfPK15HIP_vector_typeIfLj2EEiiiiS1_IjLj3EES5_S5_S5_.has_dyn_sized_stack, 0
	.set _ZL33flash_attn_stream_k_fixup_generalILi96ELi4ELi8EEvPfPK15HIP_vector_typeIfLj2EEiiiiS1_IjLj3EES5_S5_S5_.has_recursion, 0
	.set _ZL33flash_attn_stream_k_fixup_generalILi96ELi4ELi8EEvPfPK15HIP_vector_typeIfLj2EEiiiiS1_IjLj3EES5_S5_S5_.has_indirect_call, 0
	.section	.AMDGPU.csdata,"",@progbits
; Kernel info:
; codeLenInByte = 3540
; TotalNumSgprs: 46
; NumVgprs: 9
; ScratchSize: 0
; MemoryBound: 0
; FloatMode: 240
; IeeeMode: 1
; LDSByteSize: 0 bytes/workgroup (compile time only)
; SGPRBlocks: 0
; VGPRBlocks: 1
; NumSGPRsForWavesPerEU: 46
; NumVGPRsForWavesPerEU: 9
; Occupancy: 16
; WaveLimiterHint : 0
; COMPUTE_PGM_RSRC2:SCRATCH_EN: 0
; COMPUTE_PGM_RSRC2:USER_SGPR: 2
; COMPUTE_PGM_RSRC2:TRAP_HANDLER: 0
; COMPUTE_PGM_RSRC2:TGID_X_EN: 1
; COMPUTE_PGM_RSRC2:TGID_Y_EN: 1
; COMPUTE_PGM_RSRC2:TGID_Z_EN: 1
; COMPUTE_PGM_RSRC2:TIDIG_COMP_CNT: 0
	.section	.text._ZL15flash_attn_tileILi96ELi96ELi2ELi8ELb0EEvPKcS1_S1_S1_S1_PKiPfP15HIP_vector_typeIfLj2EEffffjfiS5_IjLj3EEiiiiiiiiiiiliiliiiiil,"axG",@progbits,_ZL15flash_attn_tileILi96ELi96ELi2ELi8ELb0EEvPKcS1_S1_S1_S1_PKiPfP15HIP_vector_typeIfLj2EEffffjfiS5_IjLj3EEiiiiiiiiiiiliiliiiiil,comdat
	.globl	_ZL15flash_attn_tileILi96ELi96ELi2ELi8ELb0EEvPKcS1_S1_S1_S1_PKiPfP15HIP_vector_typeIfLj2EEffffjfiS5_IjLj3EEiiiiiiiiiiiliiliiiiil ; -- Begin function _ZL15flash_attn_tileILi96ELi96ELi2ELi8ELb0EEvPKcS1_S1_S1_S1_PKiPfP15HIP_vector_typeIfLj2EEffffjfiS5_IjLj3EEiiiiiiiiiiiliiliiiiil
	.p2align	8
	.type	_ZL15flash_attn_tileILi96ELi96ELi2ELi8ELb0EEvPKcS1_S1_S1_S1_PKiPfP15HIP_vector_typeIfLj2EEffffjfiS5_IjLj3EEiiiiiiiiiiiliiliiiiil,@function
_ZL15flash_attn_tileILi96ELi96ELi2ELi8ELb0EEvPKcS1_S1_S1_S1_PKiPfP15HIP_vector_typeIfLj2EEffffjfiS5_IjLj3EEiiiiiiiiiiiliiliiiiil: ; @_ZL15flash_attn_tileILi96ELi96ELi2ELi8ELb0EEvPKcS1_S1_S1_S1_PKiPfP15HIP_vector_typeIfLj2EEffffjfiS5_IjLj3EEiiiiiiiiiiiliiliiiiil
; %bb.0:
	s_clause 0x1
	s_load_b128 s[20:23], s[0:1], 0x5c
	s_load_b64 s[30:31], s[0:1], 0x80
	s_lshr_b32 s5, ttmp7, 16
	s_mov_b32 s37, 0
	s_mov_b64 s[34:35], 0
	s_wait_kmcnt 0x0
	s_ashr_i32 s2, s23, 31
	s_delay_alu instid0(SALU_CYCLE_1) | instskip(NEXT) | instid1(SALU_CYCLE_1)
	s_lshr_b32 s2, s2, 29
	s_add_co_i32 s2, s23, s2
	s_delay_alu instid0(SALU_CYCLE_1) | instskip(NEXT) | instid1(SALU_CYCLE_1)
	s_ashr_i32 s2, s2, 3
	s_cvt_f32_u32 s3, s2
	s_sub_co_i32 s4, 0, s2
	s_delay_alu instid0(SALU_CYCLE_2) | instskip(NEXT) | instid1(TRANS32_DEP_1)
	v_rcp_iflag_f32_e32 v1, s3
	v_readfirstlane_b32 s3, v1
	s_mul_f32 s3, s3, 0x4f7ffffe
	s_wait_alu 0xfffe
	s_delay_alu instid0(SALU_CYCLE_2) | instskip(SKIP_1) | instid1(SALU_CYCLE_2)
	s_cvt_u32_f32 s3, s3
	s_wait_alu 0xfffe
	s_mul_i32 s4, s4, s3
	s_delay_alu instid0(SALU_CYCLE_1) | instskip(NEXT) | instid1(SALU_CYCLE_1)
	s_mul_hi_u32 s4, s3, s4
	s_add_co_i32 s3, s3, s4
	s_wait_alu 0xfffe
	s_mul_hi_u32 s3, s5, s3
	s_wait_alu 0xfffe
	s_mul_i32 s4, s3, s2
	s_add_co_i32 s6, s3, 1
	s_sub_co_i32 s4, s5, s4
	s_delay_alu instid0(SALU_CYCLE_1)
	s_sub_co_i32 s7, s4, s2
	s_cmp_ge_u32 s4, s2
	s_cselect_b32 s3, s6, s3
	s_cselect_b32 s4, s7, s4
	s_wait_alu 0xfffe
	s_add_co_i32 s6, s3, 1
	s_cmp_ge_u32 s4, s2
	s_cselect_b32 s28, s6, s3
	s_abs_i32 s2, s31
	s_abs_i32 s6, s23
	s_wait_alu 0xfffe
	s_cvt_f32_u32 s3, s2
	s_sub_co_i32 s4, 0, s2
	s_lshl_b32 s24, s5, 3
	s_wait_alu 0xfffe
	v_rcp_iflag_f32_e32 v1, s3
	s_delay_alu instid0(TRANS32_DEP_1) | instskip(SKIP_2) | instid1(SALU_CYCLE_2)
	v_readfirstlane_b32 s3, v1
	s_mul_f32 s3, s3, 0x4f7ffffe
	s_wait_alu 0xfffe
	s_cvt_u32_f32 s3, s3
	s_wait_alu 0xfffe
	s_delay_alu instid0(SALU_CYCLE_2) | instskip(NEXT) | instid1(SALU_CYCLE_1)
	s_mul_i32 s4, s4, s3
	s_mul_hi_u32 s4, s3, s4
	s_delay_alu instid0(SALU_CYCLE_1)
	s_add_co_i32 s3, s3, s4
	s_xor_b32 s4, s23, s31
	s_wait_alu 0xfffe
	s_mul_hi_u32 s3, s6, s3
	s_ashr_i32 s25, s4, 31
	s_wait_alu 0xfffe
	s_mul_i32 s5, s3, s2
	s_delay_alu instid0(SALU_CYCLE_1)
	s_sub_co_i32 s4, s6, s5
	s_add_co_i32 s5, s3, 1
	s_sub_co_i32 s6, s4, s2
	s_cmp_ge_u32 s4, s2
	s_cselect_b32 s3, s5, s3
	s_cselect_b32 s4, s6, s4
	s_wait_alu 0xfffe
	s_add_co_i32 s5, s3, 1
	s_cmp_ge_u32 s4, s2
	s_cselect_b32 s2, s5, s3
	s_load_b512 s[4:19], s[0:1], 0x0
	s_xor_b32 s2, s2, s25
	s_wait_alu 0xfffe
	s_sub_co_i32 s38, s2, s25
	s_load_b64 s[2:3], s[0:1], 0xb8
	s_abs_i32 s33, s38
	s_delay_alu instid0(SALU_CYCLE_1) | instskip(NEXT) | instid1(SALU_CYCLE_3)
	s_cvt_f32_u32 s25, s33
	v_rcp_iflag_f32_e32 v1, s25
	s_mul_i32 s25, s28, s23
	s_wait_kmcnt 0x0
	s_cmp_eq_u64 s[10:11], 0
	s_delay_alu instid0(TRANS32_DEP_1)
	v_readfirstlane_b32 s27, v1
	s_cbranch_scc1 .LBB9_2
; %bb.1:
	s_abs_i32 s2, s2
	s_load_b64 s[34:35], s[0:1], 0xc8
	s_cvt_f32_u32 s26, s2
	s_sub_co_i32 s29, 0, s2
	s_delay_alu instid0(SALU_CYCLE_2) | instskip(NEXT) | instid1(TRANS32_DEP_1)
	v_rcp_iflag_f32_e32 v1, s26
	v_readfirstlane_b32 s26, v1
	s_mul_f32 s26, s26, 0x4f7ffffe
	s_wait_alu 0xfffe
	s_delay_alu instid0(SALU_CYCLE_2) | instskip(SKIP_1) | instid1(SALU_CYCLE_2)
	s_cvt_u32_f32 s26, s26
	s_wait_alu 0xfffe
	s_mul_i32 s29, s29, s26
	s_delay_alu instid0(SALU_CYCLE_1) | instskip(NEXT) | instid1(SALU_CYCLE_1)
	s_mul_hi_u32 s29, s26, s29
	s_add_co_i32 s26, s26, s29
	s_wait_alu 0xfffe
	s_mul_hi_u32 s26, s28, s26
	s_wait_alu 0xfffe
	s_mul_i32 s26, s26, s2
	s_wait_alu 0xfffe
	s_sub_co_i32 s26, s28, s26
	s_wait_alu 0xfffe
	s_sub_co_i32 s29, s26, s2
	s_cmp_ge_u32 s26, s2
	s_cselect_b32 s26, s29, s26
	s_wait_alu 0xfffe
	s_sub_co_i32 s29, s26, s2
	s_cmp_ge_u32 s26, s2
	s_cselect_b32 s40, s29, s26
	s_delay_alu instid0(SALU_CYCLE_1) | instskip(SKIP_2) | instid1(SALU_CYCLE_1)
	s_ashr_i32 s41, s40, 31
	s_wait_kmcnt 0x0
	s_mul_u64 s[34:35], s[34:35], s[40:41]
	s_add_nc_u64 s[34:35], s[10:11], s[34:35]
.LBB9_2:
	v_lshrrev_b32_e32 v1, 10, v0
	v_and_b32_e32 v49, 0x3ff, v0
	s_wait_alu 0xfffe
	s_sub_co_i32 s11, s24, s25
	s_delay_alu instid0(VALU_DEP_2) | instskip(NEXT) | instid1(VALU_DEP_2)
	v_bfe_u32 v1, v1, 2, 8
	v_cmp_gt_u32_e64 s2, 24, v49
	v_lshlrev_b32_e32 v48, 2, v49
	v_lshlrev_b32_e32 v63, 3, v49
	s_delay_alu instid0(VALU_DEP_4) | instskip(NEXT) | instid1(VALU_DEP_1)
	v_lshl_add_u32 v50, ttmp9, 1, v1
	v_mul_hi_u32 v1, s20, v50
	s_delay_alu instid0(VALU_DEP_1) | instskip(NEXT) | instid1(VALU_DEP_1)
	v_add_nc_u32_e32 v1, v50, v1
	v_lshrrev_b32_e32 v2, s21, v1
	v_bfe_u32 v1, v0, 10, 10
	s_delay_alu instid0(VALU_DEP_2) | instskip(NEXT) | instid1(VALU_DEP_2)
	v_mul_lo_u32 v3, v2, s22
	v_lshlrev_b32_e32 v2, 1, v1
	s_delay_alu instid0(VALU_DEP_1) | instskip(NEXT) | instid1(VALU_DEP_3)
	v_and_b32_e32 v62, 6, v2
	v_sub_nc_u32_e32 v0, v50, v3
	s_and_saveexec_b32 s10, s2
	s_cbranch_execz .LBB9_4
; %bb.3:
	s_load_b96 s[24:26], s[0:1], 0x70
	v_or_b32_e32 v11, 1, v2
	s_wait_kmcnt 0x0
	s_ashr_i32 s21, s24, 31
	s_mov_b32 s20, s24
	s_mul_i32 s24, s11, s25
	s_wait_alu 0xfffe
	s_lshr_b64 s[40:41], s[20:21], 2
	s_ashr_i32 s41, s25, 31
	v_mad_co_u64_u32 v[2:3], null, s40, v0, 0
	s_mov_b32 s40, s25
	s_lshr_b32 s20, s21, 2
	s_wait_alu 0xfffe
	s_lshr_b64 s[42:43], s[40:41], 2
	s_lshr_b32 s21, s41, 2
	v_mad_co_u64_u32 v[4:5], null, s42, v62, 0
	v_and_b32_e32 v12, 7, v11
	s_ashr_i32 s25, s24, 31
	s_delay_alu instid0(VALU_DEP_2) | instskip(NEXT) | instid1(VALU_DEP_3)
	v_mad_co_u64_u32 v[8:9], null, s20, v0, v[3:4]
	v_mov_b32_e32 v3, v5
	s_delay_alu instid0(VALU_DEP_3)
	v_mad_co_u64_u32 v[6:7], null, s42, v12, 0
	s_mul_i32 s20, s28, s26
	s_wait_alu 0xfffe
	v_mad_co_u64_u32 v[9:10], null, s21, v62, v[3:4]
	v_mov_b32_e32 v3, v8
	v_mov_b32_e32 v5, v7
	s_delay_alu instid0(VALU_DEP_2) | instskip(NEXT) | instid1(VALU_DEP_2)
	v_lshlrev_b64_e32 v[2:3], 2, v[2:3]
	v_mad_co_u64_u32 v[7:8], null, s21, v12, v[5:6]
	s_ashr_i32 s21, s20, 31
	v_mov_b32_e32 v5, v9
	s_wait_alu 0xfffe
	s_add_nc_u64 s[4:5], s[4:5], s[20:21]
	v_lshlrev_b32_e32 v8, 2, v48
	s_add_nc_u64 s[4:5], s[4:5], s[24:25]
	s_delay_alu instid0(SALU_CYCLE_1) | instskip(NEXT) | instid1(VALU_DEP_1)
	v_add_co_u32 v9, vcc_lo, s4, v2
	v_add_co_ci_u32_e64 v10, null, s5, v3, vcc_lo
	v_lshlrev_b64_e32 v[2:3], 2, v[4:5]
	s_delay_alu instid0(VALU_DEP_3) | instskip(SKIP_3) | instid1(VALU_DEP_3)
	v_add_co_u32 v8, vcc_lo, v9, v8
	v_lshlrev_b64_e32 v[4:5], 2, v[6:7]
	s_wait_alu 0xfffd
	v_add_co_ci_u32_e64 v9, null, 0, v10, vcc_lo
	v_add_co_u32 v2, vcc_lo, v8, v2
	s_load_b32 s4, s[0:1], 0x40
	v_add_co_ci_u32_e64 v3, null, v9, v3, vcc_lo
	v_add_co_u32 v6, vcc_lo, v8, v4
	s_wait_alu 0xfffd
	v_add_co_ci_u32_e64 v7, null, v9, v5, vcc_lo
	s_clause 0x1
	global_load_b128 v[2:5], v[2:3], off
	global_load_b128 v[6:9], v[6:7], off
	v_add_nc_u32_e32 v10, 0xe80, v63
	s_delay_alu instid0(VALU_DEP_1)
	v_mad_u32_u24 v12, 0x180, v1, v10
	s_wait_loadcnt 0x1
	s_wait_kmcnt 0x0
	v_fma_mixlo_f16 v2, s4, v2, 0
	v_fma_mixlo_f16 v3, s4, v3, 0
	s_wait_loadcnt 0x0
	v_fma_mixlo_f16 v6, s4, v6, 0
	v_fma_mixlo_f16 v7, s4, v7, 0
	;; [unrolled: 1-line block ×4, first 2 shown]
	v_lshlrev_b32_e32 v3, 16, v3
	v_and_b32_e32 v2, 0xffff, v2
	v_fma_mixlo_f16 v8, s4, v8, 0
	v_fma_mixlo_f16 v9, s4, v9, 0
	v_lshlrev_b32_e32 v7, 16, v7
	v_and_b32_e32 v6, 0xffff, v6
	v_lshlrev_b32_e32 v5, 16, v5
	v_and_b32_e32 v4, 0xffff, v4
	v_or_b32_e32 v2, v3, v2
	v_lshlrev_b32_e32 v9, 16, v9
	v_and_b32_e32 v8, 0xffff, v8
	v_or_b32_e32 v6, v7, v6
	v_or3_b32 v3, v5, v4, 0
	v_or3_b32 v2, 0, 0, v2
	v_mad_u32_u24 v7, 0xc0, v11, v10
	v_or3_b32 v5, v9, v8, 0
	v_or3_b32 v4, 0, 0, v6
	ds_store_b64 v12, v[2:3]
	ds_store_b64 v7, v[4:5]
.LBB9_4:
	s_or_b32 exec_lo, exec_lo, s10
	s_cmp_eq_u64 s[14:15], 0
	s_wait_dscnt 0x0
	s_barrier_signal -1
	s_barrier_wait -1
	global_inv scope:SCOPE_SE
	s_cbranch_scc1 .LBB9_6
; %bb.5:
	s_load_b32 s4, s[0:1], 0xd0
	s_mov_b32 s5, 0
	s_wait_kmcnt 0x0
	s_mul_i32 s4, s4, s28
	s_wait_alu 0xfffe
	s_add_co_i32 s4, s4, ttmp9
	s_wait_alu 0xfffe
	s_lshl_b64 s[4:5], s[4:5], 2
	s_wait_alu 0xfffe
	s_add_nc_u64 s[4:5], s[14:15], s[4:5]
	s_load_b32 s30, s[4:5], 0x0
.LBB9_6:
	s_and_b32 s31, ttmp7, 0xffff
	v_mbcnt_lo_u32_b32 v64, -1, 0
	s_lshl_b32 s14, s31, 5
	s_wait_kmcnt 0x0
	s_cmp_lt_i32 s14, s30
	s_cbranch_scc1 .LBB9_9
; %bb.7:
	v_mbcnt_lo_u32_b32 v2, -1, 0
	v_mov_b32_e32 v66, 32
	s_delay_alu instid0(VALU_DEP_2)
	v_xor_b32_e32 v72, 16, v2
	v_xor_b32_e32 v70, 8, v2
	;; [unrolled: 1-line block ×5, first 2 shown]
	s_mov_b32 s29, 0
	s_cbranch_execz .LBB9_10
; %bb.8:
	v_dual_mov_b32 v81, 0 :: v_dual_mov_b32 v88, 0
	v_dual_mov_b32 v61, 0xfeffffff :: v_dual_mov_b32 v60, 0xfeffffff
	v_mov_b32_e32 v89, 0
	v_mov_b32_e32 v85, 0
	;; [unrolled: 1-line block ×4, first 2 shown]
	s_branch .LBB9_30
.LBB9_9:
                                        ; implicit-def: $vgpr2
                                        ; implicit-def: $vgpr66
                                        ; implicit-def: $vgpr72
                                        ; implicit-def: $vgpr70
                                        ; implicit-def: $vgpr69
                                        ; implicit-def: $vgpr68
                                        ; implicit-def: $vgpr67
	s_mov_b32 s29, 0
.LBB9_10:
	s_mul_f32 s10, s27, 0x4f7ffffe
	s_clause 0x1
	s_load_b128 s[24:27], s[0:1], 0x98
	s_load_b64 s[4:5], s[0:1], 0x8c
	s_sub_co_i32 s15, 0, s33
	s_abs_i32 s36, s11
	s_cvt_u32_f32 s10, s10
	s_mov_b32 s21, s37
	s_ashr_i32 s40, s11, 31
	s_ashr_i32 s41, s38, 31
	s_mul_i32 s15, s15, s10
	v_lshrrev_b32_e32 v3, 2, v49
	s_mul_hi_u32 s15, s10, s15
	s_load_b64 s[38:39], s[0:1], 0xa8
	s_add_co_i32 s20, s10, s15
	s_ashr_i32 s10, s3, 1
	s_wait_alu 0xfffe
	s_mul_u64 s[20:21], s[36:37], s[20:21]
	s_xor_b32 s3, s40, s41
	s_wait_alu 0xfffe
	s_mul_i32 s15, s21, s33
	s_add_co_i32 s37, s21, 1
	s_sub_co_i32 s15, s36, s15
	v_lshrrev_b32_e32 v2, 1, v49
	s_wait_kmcnt 0x0
	s_ashr_i32 s20, s26, 2
	s_ashr_i32 s26, s4, 2
	s_sub_co_i32 s4, s15, s33
	s_cmp_ge_u32 s15, s33
	v_lshl_add_u32 v7, v1, 3, v3
	s_cselect_b32 s21, s37, s21
	s_wait_alu 0xfffe
	s_cselect_b32 s4, s4, s15
	s_add_co_i32 s15, s21, 1
	s_wait_alu 0xfffe
	s_cmp_ge_u32 s4, s33
	v_and_b32_e32 v11, 12, v48
	v_lshrrev_b32_e32 v6, 3, v49
	s_cselect_b32 s4, s15, s21
	v_lshl_add_u32 v2, v1, 4, v2
	s_wait_alu 0xfffe
	s_xor_b32 s4, s4, s3
	v_dual_mov_b32 v71, 0 :: v_dual_lshlrev_b32 v8, 2, v11
	s_wait_alu 0xfffe
	s_sub_co_i32 s3, s4, s3
	v_lshl_add_u32 v9, v1, 2, v6
	v_mul_u32_u24_e32 v12, 0xc0, v7
	s_mul_u64 s[24:25], s[24:25], s[28:29]
	s_wait_alu 0xfffe
	s_mul_i32 s4, s3, s5
	v_dual_mov_b32 v65, 0 :: v_dual_and_b32 v10, 4, v48
	v_dual_mov_b32 v86, 0 :: v_dual_and_b32 v77, 28, v48
	s_add_nc_u64 s[6:7], s[6:7], s[24:25]
	s_wait_alu 0xfffe
	s_ashr_i32 s5, s4, 31
	v_cmp_gt_u32_e32 vcc_lo, 32, v2
	v_mul_u32_u24_e32 v3, 0x70, v2
	v_mul_lo_u32 v2, s26, v2
	v_mul_lo_u32 v4, s26, v7
	v_mad_u32_u24 v75, 0x70, v7, v8
	v_mad_co_u64_u32 v[51:52], null, v0, s10, v[49:50]
	v_mul_lo_u32 v6, s20, v7
	v_or_b32_e32 v0, v12, v8
	v_mul_lo_u32 v8, s20, v9
	s_wait_alu 0xfffe
	s_add_nc_u64 s[24:25], s[6:7], s[4:5]
	s_movk_i32 s4, 0x180
	v_dual_mov_b32 v66, 32 :: v_dual_lshlrev_b32 v5, 2, v10
	s_wait_alu 0xfffe
	v_mad_u32_u24 v76, v1, s4, 0xe80
	v_lshl_add_u32 v78, v1, 7, 0x1a80
	v_lshlrev_b32_e32 v1, 2, v77
	s_mul_u64 s[36:37], s[38:39], s[28:29]
	v_add3_u32 v74, v3, v5, 64
	s_add_nc_u64 s[8:9], s[8:9], s[36:37]
	s_mul_i32 s36, s3, s27
	v_cmp_gt_u32_e64 s3, 32, v7
	v_ashrrev_i32_e32 v3, 31, v2
	v_ashrrev_i32_e32 v5, 31, v4
	v_cmp_gt_u32_e64 s4, 16, v7
	v_cmp_gt_u32_e64 s5, 16, v9
	v_ashrrev_i32_e32 v7, 31, v6
	v_mad_u32_u24 v80, 0xc0, v9, v1
	v_ashrrev_i32_e32 v9, 31, v8
	v_lshlrev_b64_e32 v[52:53], 2, v[2:3]
	v_lshlrev_b64_e32 v[54:55], 2, v[4:5]
	;; [unrolled: 1-line block ×3, first 2 shown]
	v_mul_u32_u24_e32 v73, 0x70, v49
	v_lshlrev_b64_e32 v[58:59], 2, v[8:9]
	v_add_nc_u32_e32 v79, 0x80, v0
	v_mov_b32_e32 v0, 0xfeffffff
	v_dual_mov_b32 v85, 0 :: v_dual_lshlrev_b32 v82, 2, v10
	v_lshlrev_b32_e32 v83, 2, v11
	v_xor_b32_e32 v72, 16, v64
	v_xor_b32_e32 v70, 8, v64
	;; [unrolled: 1-line block ×5, first 2 shown]
	v_dual_mov_b32 v81, 0 :: v_dual_add_nc_u32 v84, v78, v48
	v_mov_b32_e32 v1, 0xfeffffff
	v_mov_b32_e32 v87, 0
	s_ashr_i32 s37, s36, 31
	s_ashr_i32 s27, s26, 31
	s_add_nc_u64 s[36:37], s[8:9], s[36:37]
	s_ashr_i32 s21, s20, 31
	s_add_nc_u64 s[38:39], s[0:1], 0xd0
.LBB9_11:                               ; =>This Inner Loop Header: Depth=1
	s_ashr_i32 s15, s14, 31
	s_wait_alu 0xfffe
	s_mul_u64 s[6:7], s[14:15], s[26:27]
	s_wait_alu 0xfffe
	s_lshl_b64 s[6:7], s[6:7], 2
	s_wait_alu 0xfffe
	s_add_nc_u64 s[8:9], s[24:25], s[6:7]
	s_and_saveexec_b32 s7, vcc_lo
	s_cbranch_execz .LBB9_13
; %bb.12:                               ;   in Loop: Header=BB9_11 Depth=1
	s_wait_alu 0xfffe
	v_add_co_u32 v2, s6, s8, v52
	s_wait_alu 0xf1ff
	v_add_co_ci_u32_e64 v3, null, s9, v53, s6
	s_delay_alu instid0(VALU_DEP_2) | instskip(SKIP_1) | instid1(VALU_DEP_2)
	v_add_co_u32 v2, s6, v2, v82
	s_wait_alu 0xf1ff
	v_add_co_ci_u32_e64 v3, null, 0, v3, s6
	global_load_b128 v[2:5], v[2:3], off offset:64
	s_wait_loadcnt 0x0
	ds_store_b128 v74, v[2:5]
.LBB9_13:                               ;   in Loop: Header=BB9_11 Depth=1
	s_wait_alu 0xfffe
	s_or_b32 exec_lo, exec_lo, s7
	s_and_saveexec_b32 s7, s3
	s_cbranch_execz .LBB9_15
; %bb.14:                               ;   in Loop: Header=BB9_11 Depth=1
	v_add_co_u32 v2, s6, s8, v54
	s_wait_alu 0xf1ff
	v_add_co_ci_u32_e64 v3, null, s9, v55, s6
	s_delay_alu instid0(VALU_DEP_2) | instskip(SKIP_1) | instid1(VALU_DEP_2)
	v_add_co_u32 v2, s6, v2, v83
	s_wait_alu 0xf1ff
	v_add_co_ci_u32_e64 v3, null, 0, v3, s6
	global_load_b128 v[2:5], v[2:3], off
	s_wait_loadcnt 0x0
	ds_store_b128 v75, v[2:5]
.LBB9_15:                               ;   in Loop: Header=BB9_11 Depth=1
	s_wait_alu 0xfffe
	s_or_b32 exec_lo, exec_lo, s7
	s_wait_loadcnt_dscnt 0x0
	s_barrier_signal -1
	s_barrier_wait -1
	global_inv scope:SCOPE_SE
	ds_load_b128 v[4:7], v73
	ds_load_b128 v[8:11], v76
	ds_load_b128 v[12:15], v76 offset:192
	v_dual_mov_b32 v3, 0 :: v_dual_mov_b32 v2, 0
	s_wait_dscnt 0x1
	;;#ASMSTART
	v_dot2_f32_f16 v3, v4, v8, v3
	;;#ASMEND
	;;#ASMSTART
	v_dot2_f32_f16 v3, v5, v9, v3
	;;#ASMEND
	;;#ASMSTART
	v_dot2_f32_f16 v3, v6, v10, v3
	;;#ASMEND
	;;#ASMSTART
	v_dot2_f32_f16 v3, v7, v11, v3
	;;#ASMEND
	s_wait_dscnt 0x0
	;;#ASMSTART
	v_dot2_f32_f16 v2, v4, v12, v2
	;;#ASMEND
	;;#ASMSTART
	v_dot2_f32_f16 v2, v5, v13, v2
	;;#ASMEND
	;;#ASMSTART
	v_dot2_f32_f16 v2, v6, v14, v2
	;;#ASMEND
	;;#ASMSTART
	v_dot2_f32_f16 v2, v7, v15, v2
	;;#ASMEND
	ds_load_b128 v[4:7], v73 offset:16
	ds_load_b128 v[8:11], v76 offset:16
	ds_load_b128 v[12:15], v76 offset:208
	s_wait_dscnt 0x1
	;;#ASMSTART
	v_dot2_f32_f16 v3, v4, v8, v3
	;;#ASMEND
	;;#ASMSTART
	v_dot2_f32_f16 v3, v5, v9, v3
	;;#ASMEND
	;;#ASMSTART
	v_dot2_f32_f16 v3, v6, v10, v3
	;;#ASMEND
	;;#ASMSTART
	v_dot2_f32_f16 v3, v7, v11, v3
	;;#ASMEND
	s_wait_dscnt 0x0
	;;#ASMSTART
	v_dot2_f32_f16 v2, v4, v12, v2
	;;#ASMEND
	;;#ASMSTART
	v_dot2_f32_f16 v2, v5, v13, v2
	;;#ASMEND
	;;#ASMSTART
	v_dot2_f32_f16 v2, v6, v14, v2
	;;#ASMEND
	;;#ASMSTART
	v_dot2_f32_f16 v2, v7, v15, v2
	;;#ASMEND
	ds_load_b128 v[4:7], v73 offset:32
	ds_load_b128 v[8:11], v76 offset:32
	ds_load_b128 v[12:15], v76 offset:224
	;; [unrolled: 29-line block ×5, first 2 shown]
	s_wait_dscnt 0x1
	;;#ASMSTART
	v_dot2_f32_f16 v3, v4, v8, v3
	;;#ASMEND
	;;#ASMSTART
	v_dot2_f32_f16 v3, v5, v9, v3
	;;#ASMEND
	;; [unrolled: 3-line block ×4, first 2 shown]
	s_wait_dscnt 0x0
	;;#ASMSTART
	v_dot2_f32_f16 v2, v4, v12, v2
	;;#ASMEND
	;;#ASMSTART
	v_dot2_f32_f16 v2, v5, v13, v2
	;;#ASMEND
	;; [unrolled: 3-line block ×4, first 2 shown]
	s_wait_loadcnt 0x0
	s_barrier_signal -1
	s_barrier_wait -1
	global_inv scope:SCOPE_SE
	s_and_saveexec_b32 s7, vcc_lo
	s_cbranch_execz .LBB9_17
; %bb.16:                               ;   in Loop: Header=BB9_11 Depth=1
	v_add_co_u32 v4, s6, s8, v52
	s_wait_alu 0xf1ff
	v_add_co_ci_u32_e64 v5, null, s9, v53, s6
	s_delay_alu instid0(VALU_DEP_2) | instskip(SKIP_1) | instid1(VALU_DEP_2)
	v_add_co_u32 v4, s6, v4, v82
	s_wait_alu 0xf1ff
	v_add_co_ci_u32_e64 v5, null, 0, v5, s6
	global_load_b128 v[4:7], v[4:5], off offset:160
	s_wait_loadcnt 0x0
	ds_store_b128 v74, v[4:7]
.LBB9_17:                               ;   in Loop: Header=BB9_11 Depth=1
	s_wait_alu 0xfffe
	s_or_b32 exec_lo, exec_lo, s7
	s_and_saveexec_b32 s7, s3
	s_cbranch_execz .LBB9_19
; %bb.18:                               ;   in Loop: Header=BB9_11 Depth=1
	v_add_co_u32 v4, s6, s8, v54
	s_wait_alu 0xf1ff
	v_add_co_ci_u32_e64 v5, null, s9, v55, s6
	s_delay_alu instid0(VALU_DEP_2) | instskip(SKIP_1) | instid1(VALU_DEP_2)
	v_add_co_u32 v4, s6, v4, v83
	s_wait_alu 0xf1ff
	v_add_co_ci_u32_e64 v5, null, 0, v5, s6
	global_load_b128 v[4:7], v[4:5], off offset:96
	s_wait_loadcnt 0x0
	ds_store_b128 v75, v[4:7]
.LBB9_19:                               ;   in Loop: Header=BB9_11 Depth=1
	s_wait_alu 0xfffe
	s_or_b32 exec_lo, exec_lo, s7
	s_wait_loadcnt_dscnt 0x0
	s_barrier_signal -1
	s_barrier_wait -1
	global_inv scope:SCOPE_SE
	ds_load_b128 v[4:7], v73
	ds_load_b128 v[8:11], v76 offset:96
	ds_load_b128 v[12:15], v76 offset:288
	s_mul_u64 s[40:41], s[14:15], s[20:21]
	s_wait_dscnt 0x1
	;;#ASMSTART
	v_dot2_f32_f16 v3, v4, v8, v3
	;;#ASMEND
	;;#ASMSTART
	v_dot2_f32_f16 v3, v5, v9, v3
	;;#ASMEND
	;; [unrolled: 3-line block ×4, first 2 shown]
	s_wait_dscnt 0x0
	;;#ASMSTART
	v_dot2_f32_f16 v2, v4, v12, v2
	;;#ASMEND
	;;#ASMSTART
	v_dot2_f32_f16 v2, v5, v13, v2
	;;#ASMEND
	;; [unrolled: 3-line block ×4, first 2 shown]
	ds_load_b128 v[4:7], v73 offset:16
	ds_load_b128 v[8:11], v76 offset:112
	;; [unrolled: 1-line block ×3, first 2 shown]
	s_wait_alu 0xfffe
	s_lshl_b64 s[40:41], s[40:41], 2
	s_wait_dscnt 0x1
	;;#ASMSTART
	v_dot2_f32_f16 v3, v4, v8, v3
	;;#ASMEND
	;;#ASMSTART
	v_dot2_f32_f16 v3, v5, v9, v3
	;;#ASMEND
	;; [unrolled: 3-line block ×4, first 2 shown]
	s_wait_dscnt 0x0
	;;#ASMSTART
	v_dot2_f32_f16 v2, v4, v12, v2
	;;#ASMEND
	;;#ASMSTART
	v_dot2_f32_f16 v2, v5, v13, v2
	;;#ASMEND
	;; [unrolled: 3-line block ×4, first 2 shown]
	ds_load_b128 v[4:7], v73 offset:32
	ds_load_b128 v[8:11], v76 offset:128
	;; [unrolled: 1-line block ×3, first 2 shown]
	s_wait_alu 0xfffe
	s_add_nc_u64 s[40:41], s[36:37], s[40:41]
	s_wait_dscnt 0x1
	;;#ASMSTART
	v_dot2_f32_f16 v3, v4, v8, v3
	;;#ASMEND
	;;#ASMSTART
	v_dot2_f32_f16 v3, v5, v9, v3
	;;#ASMEND
	;;#ASMSTART
	v_dot2_f32_f16 v3, v6, v10, v3
	;;#ASMEND
	;;#ASMSTART
	v_dot2_f32_f16 v3, v7, v11, v3
	;;#ASMEND
	s_wait_dscnt 0x0
	;;#ASMSTART
	v_dot2_f32_f16 v2, v4, v12, v2
	;;#ASMEND
	;;#ASMSTART
	v_dot2_f32_f16 v2, v5, v13, v2
	;;#ASMEND
	;;#ASMSTART
	v_dot2_f32_f16 v2, v6, v14, v2
	;;#ASMEND
	;;#ASMSTART
	v_dot2_f32_f16 v2, v7, v15, v2
	;;#ASMEND
	ds_load_b128 v[4:7], v73 offset:48
	ds_load_b128 v[8:11], v76 offset:144
	ds_load_b128 v[12:15], v76 offset:336
	s_wait_dscnt 0x1
	;;#ASMSTART
	v_dot2_f32_f16 v3, v4, v8, v3
	;;#ASMEND
	;;#ASMSTART
	v_dot2_f32_f16 v3, v5, v9, v3
	;;#ASMEND
	;;#ASMSTART
	v_dot2_f32_f16 v3, v6, v10, v3
	;;#ASMEND
	;;#ASMSTART
	v_dot2_f32_f16 v3, v7, v11, v3
	;;#ASMEND
	s_wait_dscnt 0x0
	;;#ASMSTART
	v_dot2_f32_f16 v2, v4, v12, v2
	;;#ASMEND
	;;#ASMSTART
	v_dot2_f32_f16 v2, v5, v13, v2
	;;#ASMEND
	;;#ASMSTART
	v_dot2_f32_f16 v2, v6, v14, v2
	;;#ASMEND
	;;#ASMSTART
	v_dot2_f32_f16 v2, v7, v15, v2
	;;#ASMEND
	ds_load_b128 v[4:7], v73 offset:64
	ds_load_b128 v[8:11], v76 offset:160
	ds_load_b128 v[12:15], v76 offset:352
	;; [unrolled: 29-line block ×3, first 2 shown]
	s_wait_dscnt 0x1
	;;#ASMSTART
	v_dot2_f32_f16 v3, v4, v8, v3
	;;#ASMEND
	;;#ASMSTART
	v_dot2_f32_f16 v3, v5, v9, v3
	;;#ASMEND
	;; [unrolled: 3-line block ×4, first 2 shown]
	v_add_nc_u32_e32 v16, s14, v51
	s_wait_dscnt 0x0
	;;#ASMSTART
	v_dot2_f32_f16 v2, v4, v12, v2
	;;#ASMEND
	;;#ASMSTART
	v_dot2_f32_f16 v2, v5, v13, v2
	;;#ASMEND
	;; [unrolled: 3-line block ×4, first 2 shown]
	v_ashrrev_i32_e32 v17, 31, v16
	v_max_num_f32_e32 v7, v1, v1
	s_delay_alu instid0(VALU_DEP_2) | instskip(NEXT) | instid1(VALU_DEP_1)
	v_lshlrev_b64_e32 v[16:17], 1, v[16:17]
	v_add_co_u32 v16, s6, s34, v16
	s_wait_alu 0xf1ff
	s_delay_alu instid0(VALU_DEP_2)
	v_add_co_ci_u32_e64 v17, null, s35, v17, s6
	v_cmp_gt_i32_e64 s6, 32, v72
	global_load_u16 v4, v[16:17], off
	s_wait_loadcnt 0x0
	s_barrier_signal -1
	s_barrier_wait -1
	global_inv scope:SCOPE_SE
	v_cvt_f32_f16_e32 v4, v4
	s_delay_alu instid0(VALU_DEP_1)
	v_add_f32_e32 v3, v3, v4
	v_add_f32_e32 v2, v2, v4
	s_wait_alu 0xf1ff
	v_cndmask_b32_e64 v4, v64, v72, s6
	v_max_num_f32_e32 v5, v0, v0
	v_cmp_gt_i32_e64 s6, 32, v70
	v_add_f32_e32 v6, 0x40051340, v3
	v_add_f32_e32 v8, 0x40051340, v2
	s_delay_alu instid0(VALU_DEP_2) | instskip(NEXT) | instid1(VALU_DEP_2)
	v_dual_max_num_f32 v5, v5, v6 :: v_dual_lshlrev_b32 v4, 2, v4
	v_max_num_f32_e32 v6, v7, v8
	s_wait_alu 0xf1ff
	v_cndmask_b32_e64 v8, v64, v70, s6
	v_cmp_gt_i32_e64 s6, 32, v69
	ds_bpermute_b32 v7, v4, v5
	s_wait_dscnt 0x0
	v_max_num_f32_e32 v7, v7, v7
	s_delay_alu instid0(VALU_DEP_1) | instskip(SKIP_4) | instid1(VALU_DEP_1)
	v_max_num_f32_e32 v5, v5, v7
	ds_bpermute_b32 v4, v4, v6
	v_lshlrev_b32_e32 v8, 2, v8
	s_wait_dscnt 0x0
	v_max_num_f32_e32 v4, v4, v4
	v_max_num_f32_e32 v4, v6, v4
	ds_bpermute_b32 v6, v8, v5
	s_wait_dscnt 0x0
	v_max_num_f32_e32 v6, v6, v6
	s_delay_alu instid0(VALU_DEP_1) | instskip(SKIP_4) | instid1(VALU_DEP_2)
	v_max_num_f32_e32 v5, v5, v6
	ds_bpermute_b32 v7, v8, v4
	s_wait_alu 0xf1ff
	v_cndmask_b32_e64 v8, v64, v69, s6
	v_cmp_gt_i32_e64 s6, 32, v68
	v_lshlrev_b32_e32 v8, 2, v8
	ds_bpermute_b32 v6, v8, v5
	s_wait_dscnt 0x0
	v_dual_max_num_f32 v7, v7, v7 :: v_dual_max_num_f32 v6, v6, v6
	s_delay_alu instid0(VALU_DEP_1) | instskip(SKIP_4) | instid1(VALU_DEP_2)
	v_dual_max_num_f32 v5, v5, v6 :: v_dual_max_num_f32 v4, v4, v7
	ds_bpermute_b32 v7, v8, v4
	s_wait_alu 0xf1ff
	v_cndmask_b32_e64 v8, v64, v68, s6
	v_cmp_gt_i32_e64 s6, 32, v67
	v_lshlrev_b32_e32 v8, 2, v8
	ds_bpermute_b32 v6, v8, v5
	s_wait_dscnt 0x0
	v_dual_max_num_f32 v7, v7, v7 :: v_dual_max_num_f32 v6, v6, v6
	s_delay_alu instid0(VALU_DEP_1) | instskip(SKIP_3) | instid1(VALU_DEP_1)
	v_dual_max_num_f32 v5, v5, v6 :: v_dual_max_num_f32 v4, v4, v7
	ds_bpermute_b32 v7, v8, v4
	s_wait_alu 0xf1ff
	v_cndmask_b32_e64 v8, v64, v67, s6
	v_lshlrev_b32_e32 v8, 2, v8
	ds_bpermute_b32 v6, v8, v5
	s_wait_dscnt 0x0
	v_dual_max_num_f32 v7, v7, v7 :: v_dual_max_num_f32 v6, v6, v6
	s_delay_alu instid0(VALU_DEP_1) | instskip(NEXT) | instid1(VALU_DEP_1)
	v_max_num_f32_e32 v60, v5, v6
	v_dual_sub_f32 v3, v3, v60 :: v_dual_max_num_f32 v4, v4, v7
	v_sub_f32_e32 v92, v0, v60
	s_delay_alu instid0(VALU_DEP_2) | instskip(SKIP_4) | instid1(VALU_DEP_1)
	v_cmp_ngt_f32_e64 s6, 0xc2ce8ed0, v3
	ds_bpermute_b32 v7, v8, v4
	v_cmp_ngt_f32_e64 s7, 0xc2ce8ed0, v92
	s_wait_dscnt 0x0
	v_max_num_f32_e32 v7, v7, v7
	v_max_num_f32_e32 v61, v4, v7
	v_mul_f32_e32 v4, 0x3fb8aa3b, v3
	s_delay_alu instid0(VALU_DEP_2) | instskip(NEXT) | instid1(VALU_DEP_2)
	v_sub_f32_e32 v2, v2, v61
	v_fma_f32 v6, 0x3fb8aa3b, v3, -v4
	v_rndne_f32_e32 v7, v4
	v_sub_f32_e32 v93, v1, v61
	s_delay_alu instid0(VALU_DEP_4) | instskip(NEXT) | instid1(VALU_DEP_4)
	v_mul_f32_e32 v5, 0x3fb8aa3b, v2
	v_fmac_f32_e32 v6, 0x32a5705f, v3
	s_delay_alu instid0(VALU_DEP_4) | instskip(NEXT) | instid1(VALU_DEP_4)
	v_sub_f32_e32 v4, v4, v7
	v_cmp_ngt_f32_e64 s9, 0xc2ce8ed0, v93
	v_cmp_nlt_f32_e64 s8, 0x42b17218, v93
	v_fma_f32 v8, 0x3fb8aa3b, v2, -v5
	v_rndne_f32_e32 v9, v5
	v_add_f32_e32 v4, v4, v6
	v_cvt_i32_f32_e32 v6, v7
	s_delay_alu instid0(VALU_DEP_3) | instskip(NEXT) | instid1(VALU_DEP_3)
	v_dual_fmac_f32 v8, 0x32a5705f, v2 :: v_dual_sub_f32 v5, v5, v9
	v_exp_f32_e32 v4, v4
	v_cvt_i32_f32_e32 v7, v9
	s_delay_alu instid0(VALU_DEP_2) | instskip(NEXT) | instid1(VALU_DEP_1)
	v_add_f32_e32 v5, v5, v8
	v_exp_f32_e32 v5, v5
	s_delay_alu instid0(TRANS32_DEP_2) | instskip(SKIP_1) | instid1(VALU_DEP_1)
	v_ldexp_f32 v4, v4, v6
	s_wait_alu 0xf1ff
	v_cndmask_b32_e64 v4, 0, v4, s6
	v_cmp_ngt_f32_e64 s6, 0xc2ce8ed0, v2
	s_delay_alu instid0(TRANS32_DEP_1) | instskip(SKIP_1) | instid1(VALU_DEP_1)
	v_ldexp_f32 v5, v5, v7
	s_wait_alu 0xf1ff
	v_cndmask_b32_e64 v5, 0, v5, s6
	v_cmp_nlt_f32_e64 s6, 0x42b17218, v3
	s_wait_alu 0xf1ff
	s_delay_alu instid0(VALU_DEP_1) | instskip(SKIP_1) | instid1(VALU_DEP_2)
	v_cndmask_b32_e64 v89, 0x7f800000, v4, s6
	v_cmp_nlt_f32_e64 s6, 0x42b17218, v2
	v_cvt_f16_f32_e32 v0, v89
	s_wait_alu 0xf1ff
	s_delay_alu instid0(VALU_DEP_2) | instskip(SKIP_1) | instid1(VALU_DEP_2)
	v_cndmask_b32_e64 v88, 0x7f800000, v5, s6
	v_cmp_nlt_f32_e64 s6, 0x42b17218, v92
	v_cvt_f16_f32_e32 v1, v88
	s_delay_alu instid0(VALU_DEP_1)
	v_pack_b32_f16 v0, v0, v1
	ds_store_b32 v84, v0
	s_and_saveexec_b32 s15, s4
	s_cbranch_execz .LBB9_21
; %bb.20:                               ;   in Loop: Header=BB9_11 Depth=1
	s_wait_alu 0xfffe
	v_add_co_u32 v0, s10, s40, v56
	s_wait_alu 0xf1ff
	v_add_co_ci_u32_e64 v1, null, s41, v57, s10
	s_delay_alu instid0(VALU_DEP_2) | instskip(SKIP_1) | instid1(VALU_DEP_2)
	v_add_co_u32 v0, s10, v0, v83
	s_wait_alu 0xf1ff
	v_add_co_ci_u32_e64 v1, null, 0, v1, s10
	global_load_b128 v[0:3], v[0:1], off offset:128
	s_wait_loadcnt 0x0
	ds_store_b128 v79, v[0:3]
.LBB9_21:                               ;   in Loop: Header=BB9_11 Depth=1
	s_wait_alu 0xfffe
	s_or_b32 exec_lo, exec_lo, s15
	v_lshlrev_b32_e32 v94, 2, v77
	s_and_saveexec_b32 s15, s5
	s_cbranch_execz .LBB9_23
; %bb.22:                               ;   in Loop: Header=BB9_11 Depth=1
	v_add_co_u32 v0, s10, s40, v58
	s_wait_alu 0xf1ff
	v_add_co_ci_u32_e64 v1, null, s41, v59, s10
	s_delay_alu instid0(VALU_DEP_2) | instskip(SKIP_1) | instid1(VALU_DEP_2)
	v_add_co_u32 v0, s10, v0, v94
	s_wait_alu 0xf1ff
	v_add_co_ci_u32_e64 v1, null, 0, v1, s10
	global_load_b128 v[0:3], v[0:1], off
	s_wait_loadcnt 0x0
	ds_store_b128 v80, v[0:3]
.LBB9_23:                               ;   in Loop: Header=BB9_11 Depth=1
	s_wait_alu 0xfffe
	s_or_b32 exec_lo, exec_lo, s15
	v_add_nc_u32_e32 v91, 0x400, v63
	v_add_nc_u32_e32 v90, 0x800, v63
	s_wait_loadcnt_dscnt 0x0
	s_barrier_signal -1
	s_barrier_wait -1
	global_inv scope:SCOPE_SE
	ds_load_2addr_b64 v[28:31], v63 offset1:24
	ds_load_b128 v[44:47], v78
	ds_load_b128 v[40:43], v78 offset:16
	ds_load_b128 v[36:39], v78 offset:32
	;; [unrolled: 1-line block ×3, first 2 shown]
	ds_load_2addr_b64 v[24:27], v63 offset0:48 offset1:72
	ds_load_2addr_b64 v[32:35], v63 offset0:96 offset1:120
	;; [unrolled: 1-line block ×7, first 2 shown]
	s_or_b32 s40, s14, 16
	s_wait_loadcnt_dscnt 0x0
	s_wait_alu 0xfffe
	s_ashr_i32 s41, s40, 31
	s_barrier_signal -1
	s_wait_alu 0xfffe
	s_mul_u64 s[40:41], s[40:41], s[20:21]
	s_barrier_wait -1
	s_wait_alu 0xfffe
	s_lshl_b64 s[40:41], s[40:41], 2
	global_inv scope:SCOPE_SE
	s_wait_alu 0xfffe
	s_add_nc_u64 s[40:41], s[36:37], s[40:41]
	s_and_saveexec_b32 s15, s4
	s_cbranch_execz .LBB9_25
; %bb.24:                               ;   in Loop: Header=BB9_11 Depth=1
	s_wait_alu 0xfffe
	v_add_co_u32 v95, s10, s40, v56
	s_wait_alu 0xf1ff
	v_add_co_ci_u32_e64 v96, null, s41, v57, s10
	s_delay_alu instid0(VALU_DEP_2) | instskip(SKIP_1) | instid1(VALU_DEP_2)
	v_add_co_u32 v95, s10, v95, v83
	s_wait_alu 0xf1ff
	v_add_co_ci_u32_e64 v96, null, 0, v96, s10
	global_load_b128 v[95:98], v[95:96], off offset:128
	s_wait_loadcnt 0x0
	ds_store_b128 v79, v[95:98]
.LBB9_25:                               ;   in Loop: Header=BB9_11 Depth=1
	s_wait_alu 0xfffe
	s_or_b32 exec_lo, exec_lo, s15
	s_and_saveexec_b32 s15, s5
	s_cbranch_execz .LBB9_27
; %bb.26:                               ;   in Loop: Header=BB9_11 Depth=1
	v_add_co_u32 v95, s10, s40, v58
	s_wait_alu 0xf1ff
	v_add_co_ci_u32_e64 v96, null, s41, v59, s10
	s_delay_alu instid0(VALU_DEP_2) | instskip(SKIP_1) | instid1(VALU_DEP_2)
	v_add_co_u32 v94, s10, v95, v94
	s_wait_alu 0xf1ff
	v_add_co_ci_u32_e64 v95, null, 0, v96, s10
	global_load_b128 v[94:97], v[94:95], off
	s_wait_loadcnt 0x0
	ds_store_b128 v80, v[94:97]
.LBB9_27:                               ;   in Loop: Header=BB9_11 Depth=1
	s_wait_alu 0xfffe
	s_or_b32 exec_lo, exec_lo, s15
	v_dual_mul_f32 v94, 0x3fb8aa3b, v92 :: v_dual_mul_f32 v95, 0x3fb8aa3b, v93
	v_lshrrev_b32_e32 v100, 16, v44
	v_and_b32_e32 v44, 0xffff, v44
	v_lshrrev_b32_e32 v101, 16, v41
	s_delay_alu instid0(VALU_DEP_4)
	v_fma_f32 v96, 0x3fb8aa3b, v92, -v94
	v_rndne_f32_e32 v97, v94
	v_fma_f32 v98, 0x3fb8aa3b, v93, -v95
	v_rndne_f32_e32 v99, v95
	v_mul_u32_u24_e32 v44, 0x10001, v44
	v_fmac_f32_e32 v96, 0x32a5705f, v92
	v_and_b32_e32 v41, 0xffff, v41
	s_delay_alu instid0(VALU_DEP_4)
	v_dual_fmac_f32 v98, 0x32a5705f, v93 :: v_dual_sub_f32 v93, v95, v99
	v_sub_f32_e32 v92, v94, v97
	v_lshrrev_b32_e32 v94, 16, v45
	v_cvt_i32_f32_e32 v97, v97
	v_cvt_i32_f32_e32 v99, v99
	v_add_f32_e32 v93, v93, v98
	v_dual_add_f32 v92, v92, v96 :: v_dual_and_b32 v45, 0xffff, v45
	v_pk_mul_f16 v109, v28, v44
	v_lshrrev_b32_e32 v95, 16, v46
	s_delay_alu instid0(VALU_DEP_4)
	v_exp_f32_e32 v93, v93
	v_and_b32_e32 v46, 0xffff, v46
	v_exp_f32_e32 v92, v92
	v_mul_u32_u24_e32 v45, 0x10001, v45
	v_mul_u32_u24_e32 v94, 0x10001, v94
	v_lshrrev_b32_e32 v96, 16, v47
	v_mul_u32_u24_e32 v46, 0x10001, v46
	v_mul_u32_u24_e32 v95, 0x10001, v95
	v_lshrrev_b32_e32 v98, 16, v40
	v_and_b32_e32 v40, 0xffff, v40
	v_ldexp_f32 v93, v93, v99
	v_mul_u32_u24_e32 v99, 0x10001, v100
	v_ldexp_f32 v92, v92, v97
	v_mul_u32_u24_e32 v96, 0x10001, v96
	v_mul_u32_u24_e32 v40, 0x10001, v40
	v_cndmask_b32_e64 v93, 0, v93, s9
	v_pk_mul_f16 v28, v28, v99
	v_cndmask_b32_e64 v92, 0, v92, s7
	v_mul_u32_u24_e32 v98, 0x10001, v98
	v_lshrrev_b32_e32 v102, 16, v42
	v_cndmask_b32_e64 v93, 0x7f800000, v93, s8
	v_and_b32_e32 v47, 0xffff, v47
	v_cndmask_b32_e64 v92, 0x7f800000, v92, s6
	v_and_b32_e32 v42, 0xffff, v42
	v_mul_u32_u24_e32 v41, 0x10001, v41
	v_cvt_f16_f32_e32 v103, v93
	v_fmac_f32_e32 v88, v86, v93
	v_cvt_f16_f32_e32 v100, v92
	v_mul_u32_u24_e32 v47, 0x10001, v47
	v_mul_u32_u24_e32 v101, 0x10001, v101
	v_and_b32_e32 v103, 0xffff, v103
	v_and_b32_e32 v97, 0xffff, v43
	;; [unrolled: 1-line block ×3, first 2 shown]
	v_mul_u32_u24_e32 v42, 0x10001, v42
	v_mul_u32_u24_e32 v102, 0x10001, v102
	;; [unrolled: 1-line block ×3, first 2 shown]
	v_lshrrev_b32_e32 v43, 16, v43
	v_mul_u32_u24_e32 v100, 0x10001, v100
	v_and_b32_e32 v104, 0xffff, v36
	v_lshrrev_b32_e32 v36, 16, v36
	v_pk_mul_f16 v65, v65, v103
	v_pk_fma_f16 v28, v71, v103, v28
	v_pk_mul_f16 v85, v85, v100
	v_pk_fma_f16 v81, v81, v100, v109
	v_mul_u32_u24_e32 v97, 0x10001, v97
	v_mul_u32_u24_e32 v43, 0x10001, v43
	v_pk_fma_f16 v28, v30, v94, v28
	v_pk_fma_f16 v44, v29, v44, v85
	;; [unrolled: 1-line block ×4, first 2 shown]
	v_and_b32_e32 v105, 0xffff, v37
	v_mul_u32_u24_e32 v104, 0x10001, v104
	v_pk_fma_f16 v30, v31, v45, v44
	v_pk_fma_f16 v29, v31, v94, v29
	;; [unrolled: 1-line block ×4, first 2 shown]
	v_mul_u32_u24_e32 v36, 0x10001, v36
	v_pk_fma_f16 v28, v25, v46, v30
	v_pk_fma_f16 v25, v25, v95, v29
	;; [unrolled: 1-line block ×4, first 2 shown]
	v_lshrrev_b32_e32 v37, 16, v37
	v_pk_fma_f16 v26, v27, v47, v28
	v_pk_fma_f16 v25, v27, v96, v25
	v_pk_fma_f16 v27, v32, v40, v29
	v_pk_fma_f16 v24, v32, v98, v24
	v_mul_u32_u24_e32 v105, 0x10001, v105
	v_pk_fma_f16 v26, v33, v40, v26
	v_pk_fma_f16 v25, v33, v98, v25
	v_pk_fma_f16 v27, v34, v41, v27
	v_pk_fma_f16 v24, v34, v101, v24
	v_and_b32_e32 v106, 0xffff, v38
	v_pk_fma_f16 v26, v35, v41, v26
	v_pk_fma_f16 v25, v35, v101, v25
	;; [unrolled: 1-line block ×4, first 2 shown]
	v_lshrrev_b32_e32 v38, 16, v38
	v_pk_fma_f16 v24, v21, v42, v26
	v_pk_fma_f16 v21, v21, v102, v25
	v_lshrrev_b32_e32 v26, 16, v2
	v_pk_fma_f16 v25, v22, v97, v27
	v_pk_fma_f16 v20, v22, v43, v20
	;; [unrolled: 1-line block ×3, first 2 shown]
	v_and_b32_e32 v2, 0xffff, v2
	v_pk_fma_f16 v21, v23, v43, v21
	v_mul_u32_u24_e32 v37, 0x10001, v37
	v_pk_fma_f16 v23, v16, v104, v25
	v_pk_fma_f16 v16, v16, v36, v20
	;; [unrolled: 1-line block ×3, first 2 shown]
	v_mul_u32_u24_e32 v22, 0x10001, v2
	v_pk_fma_f16 v2, v17, v36, v21
	v_and_b32_e32 v107, 0xffff, v39
	v_lshrrev_b32_e32 v39, 16, v39
	v_mul_u32_u24_e32 v106, 0x10001, v106
	v_mul_u32_u24_e32 v38, 0x10001, v38
	v_pk_fma_f16 v17, v18, v105, v23
	v_pk_fma_f16 v16, v18, v37, v16
	;; [unrolled: 1-line block ×4, first 2 shown]
	v_mul_u32_u24_e32 v107, 0x10001, v107
	v_mul_u32_u24_e32 v39, 0x10001, v39
	v_lshrrev_b32_e32 v108, 16, v0
	v_and_b32_e32 v0, 0xffff, v0
	v_pk_fma_f16 v17, v12, v106, v17
	v_pk_fma_f16 v12, v12, v38, v16
	;; [unrolled: 1-line block ×4, first 2 shown]
	v_mul_u32_u24_e32 v0, 0x10001, v0
	v_mul_u32_u24_e32 v44, 0x10001, v108
	v_lshrrev_b32_e32 v30, 16, v1
	v_and_b32_e32 v1, 0xffff, v1
	v_pk_fma_f16 v13, v14, v107, v17
	v_pk_fma_f16 v12, v14, v39, v12
	;; [unrolled: 1-line block ×3, first 2 shown]
	s_wait_loadcnt_dscnt 0x0
	s_barrier_signal -1
	s_barrier_wait -1
	global_inv scope:SCOPE_SE
	ds_load_b128 v[16:19], v78 offset:64
	v_pk_fma_f16 v2, v15, v39, v2
	v_mul_u32_u24_e32 v1, 0x10001, v1
	v_mul_u32_u24_e32 v28, 0x10001, v30
	v_lshrrev_b32_e32 v21, 16, v3
	v_and_b32_e32 v3, 0xffff, v3
	v_pk_fma_f16 v13, v8, v0, v13
	v_pk_fma_f16 v8, v8, v44, v12
	;; [unrolled: 1-line block ×4, first 2 shown]
	v_mul_u32_u24_e32 v12, 0x10001, v3
	v_pk_fma_f16 v9, v10, v1, v13
	v_pk_fma_f16 v8, v10, v28, v8
	;; [unrolled: 1-line block ×4, first 2 shown]
	ds_load_2addr_b64 v[0:3], v63 offset1:24
	v_mul_u32_u24_e32 v20, 0x10001, v26
	v_pk_fma_f16 v9, v4, v22, v9
	v_mul_u32_u24_e32 v13, 0x10001, v21
	v_pk_fma_f16 v14, v5, v22, v10
	v_fmac_f32_e32 v89, v87, v92
	v_pk_fma_f16 v4, v4, v20, v8
	v_pk_fma_f16 v5, v5, v20, v11
	;; [unrolled: 1-line block ×3, first 2 shown]
	ds_load_b128 v[8:11], v78 offset:80
	s_wait_dscnt 0x2
	v_and_b32_e32 v15, 0xffff, v16
	v_lshrrev_b32_e32 v16, 16, v16
	v_pk_fma_f16 v25, v6, v13, v4
	v_pk_fma_f16 v26, v7, v12, v14
	;; [unrolled: 1-line block ×3, first 2 shown]
	v_mul_u32_u24_e32 v28, 0x10001, v15
	v_mul_u32_u24_e32 v16, 0x10001, v16
	v_and_b32_e32 v29, 0xffff, v17
	v_lshrrev_b32_e32 v17, 16, v17
	ds_load_2addr_b64 v[4:7], v63 offset0:48 offset1:72
	ds_load_b128 v[12:15], v78 offset:96
	ds_load_b128 v[20:23], v78 offset:112
	s_wait_dscnt 0x4
	v_pk_fma_f16 v24, v0, v28, v24
	v_pk_fma_f16 v0, v0, v16, v25
	v_mul_u32_u24_e32 v29, 0x10001, v29
	v_pk_fma_f16 v25, v1, v28, v26
	v_mul_u32_u24_e32 v17, 0x10001, v17
	v_pk_fma_f16 v1, v1, v16, v27
	v_and_b32_e32 v27, 0xffff, v19
	v_pk_fma_f16 v16, v2, v29, v24
	v_and_b32_e32 v24, 0xffff, v18
	v_lshrrev_b32_e32 v18, 16, v18
	v_pk_fma_f16 v26, v2, v17, v0
	v_pk_fma_f16 v25, v3, v29, v25
	;; [unrolled: 1-line block ×3, first 2 shown]
	ds_load_2addr_b64 v[0:3], v63 offset0:96 offset1:120
	v_mul_u32_u24_e32 v24, 0x10001, v24
	v_mul_u32_u24_e32 v18, 0x10001, v18
	v_lshrrev_b32_e32 v19, 16, v19
	s_wait_dscnt 0x3
	s_delay_alu instid0(VALU_DEP_3) | instskip(NEXT) | instid1(VALU_DEP_3)
	v_pk_fma_f16 v16, v4, v24, v16
	v_pk_fma_f16 v4, v4, v18, v26
	;; [unrolled: 1-line block ×3, first 2 shown]
	v_mul_u32_u24_e32 v25, 0x10001, v27
	v_mul_u32_u24_e32 v26, 0x10001, v19
	v_pk_fma_f16 v5, v5, v18, v17
	v_and_b32_e32 v17, 0xffff, v8
	v_lshrrev_b32_e32 v8, 16, v8
	v_pk_fma_f16 v27, v6, v25, v16
	v_pk_fma_f16 v4, v6, v26, v4
	;; [unrolled: 1-line block ×3, first 2 shown]
	v_mul_u32_u24_e32 v24, 0x10001, v17
	v_mul_u32_u24_e32 v8, 0x10001, v8
	v_and_b32_e32 v25, 0xffff, v9
	ds_load_2addr_b64 v[16:19], v63 offset0:144 offset1:168
	v_pk_fma_f16 v5, v7, v26, v5
	v_lshrrev_b32_e32 v7, 16, v9
	s_wait_dscnt 0x1
	v_pk_fma_f16 v9, v0, v24, v27
	v_mul_u32_u24_e32 v25, 0x10001, v25
	v_pk_fma_f16 v0, v0, v8, v4
	v_pk_fma_f16 v4, v1, v24, v6
	v_mul_u32_u24_e32 v6, 0x10001, v7
	v_pk_fma_f16 v1, v1, v8, v5
	v_pk_fma_f16 v5, v2, v25, v9
	v_and_b32_e32 v7, 0xffff, v10
	v_lshrrev_b32_e32 v8, 16, v10
	v_pk_fma_f16 v9, v2, v6, v0
	v_pk_fma_f16 v4, v3, v25, v4
	;; [unrolled: 1-line block ×3, first 2 shown]
	ds_load_2addr_b64 v[0:3], v63 offset0:192 offset1:216
	v_mul_u32_u24_e32 v7, 0x10001, v7
	v_mul_u32_u24_e32 v8, 0x10001, v8
	v_and_b32_e32 v10, 0xffff, v11
	v_lshrrev_b32_e32 v11, 16, v11
	s_wait_dscnt 0x1
	v_pk_fma_f16 v5, v16, v7, v5
	v_pk_fma_f16 v9, v16, v8, v9
	v_pk_fma_f16 v4, v17, v7, v4
	v_mul_u32_u24_e32 v7, 0x10001, v10
	v_mul_u32_u24_e32 v10, 0x10001, v11
	v_pk_fma_f16 v8, v17, v8, v6
	v_and_b32_e32 v6, 0xffff, v12
	v_lshrrev_b32_e32 v11, 16, v12
	v_pk_fma_f16 v12, v18, v7, v5
	v_pk_fma_f16 v9, v18, v10, v9
	;; [unrolled: 1-line block ×3, first 2 shown]
	v_mul_u32_u24_e32 v17, 0x10001, v6
	v_mul_u32_u24_e32 v11, 0x10001, v11
	v_and_b32_e32 v18, 0xffff, v13
	ds_load_2addr_b64 v[4:7], v91 offset0:112 offset1:136
	v_pk_fma_f16 v8, v19, v10, v8
	v_lshrrev_b32_e32 v10, 16, v13
	s_wait_dscnt 0x1
	v_pk_fma_f16 v12, v0, v17, v12
	v_pk_fma_f16 v0, v0, v11, v9
	v_mul_u32_u24_e32 v9, 0x10001, v18
	v_pk_fma_f16 v13, v1, v17, v16
	v_mul_u32_u24_e32 v16, 0x10001, v10
	v_pk_fma_f16 v1, v1, v11, v8
	v_and_b32_e32 v8, 0xffff, v14
	v_pk_fma_f16 v12, v2, v9, v12
	v_lshrrev_b32_e32 v14, 16, v14
	v_pk_fma_f16 v0, v2, v16, v0
	v_pk_fma_f16 v2, v3, v9, v13
	v_mul_u32_u24_e32 v13, 0x10001, v8
	ds_load_2addr_b64 v[8:11], v90 offset0:32 offset1:56
	v_mul_u32_u24_e32 v14, 0x10001, v14
	v_pk_fma_f16 v1, v3, v16, v1
	v_and_b32_e32 v3, 0xffff, v15
	v_lshrrev_b32_e32 v15, 16, v15
	s_wait_dscnt 0x1
	v_pk_fma_f16 v12, v4, v13, v12
	v_pk_fma_f16 v0, v4, v14, v0
	;; [unrolled: 1-line block ×3, first 2 shown]
	v_mul_u32_u24_e32 v3, 0x10001, v3
	v_mul_u32_u24_e32 v4, 0x10001, v15
	v_lshrrev_b32_e32 v15, 16, v20
	v_and_b32_e32 v13, 0xffff, v20
	v_pk_fma_f16 v1, v5, v14, v1
	v_pk_fma_f16 v5, v6, v3, v12
	;; [unrolled: 1-line block ×3, first 2 shown]
	v_mul_u32_u24_e32 v12, 0x10001, v15
	v_mul_u32_u24_e32 v6, 0x10001, v13
	v_pk_fma_f16 v13, v7, v3, v2
	v_pk_fma_f16 v4, v7, v4, v1
	v_lshrrev_b32_e32 v14, 16, v21
	s_wait_dscnt 0x0
	v_pk_fma_f16 v7, v8, v12, v0
	ds_load_2addr_b64 v[0:3], v90 offset0:80 offset1:104
	s_wait_loadcnt_dscnt 0x0
	s_barrier_signal -1
	s_barrier_wait -1
	global_inv scope:SCOPE_SE
	s_load_b32 s6, s[38:39], 0x4
	v_pk_fma_f16 v5, v8, v6, v5
	v_and_b32_e32 v8, 0xffff, v21
	v_pk_fma_f16 v6, v9, v6, v13
	v_pk_fma_f16 v4, v9, v12, v4
	v_mul_u32_u24_e32 v9, 0x10001, v14
	v_and_b32_e32 v12, 0xffff, v22
	v_mul_u32_u24_e32 v8, 0x10001, v8
	v_lshrrev_b32_e32 v13, 16, v22
	s_delay_alu instid0(VALU_DEP_4) | instskip(SKIP_1) | instid1(VALU_DEP_4)
	v_pk_fma_f16 v7, v10, v9, v7
	v_pk_fma_f16 v4, v11, v9, v4
	;; [unrolled: 1-line block ×4, first 2 shown]
	v_mul_u32_u24_e32 v8, 0x10001, v12
	v_mul_u32_u24_e32 v10, 0x10001, v13
	v_and_b32_e32 v12, 0xffff, v23
	v_lshrrev_b32_e32 v13, 16, v23
	s_delay_alu instid0(VALU_DEP_4) | instskip(NEXT) | instid1(VALU_DEP_4)
	v_pk_fma_f16 v5, v0, v8, v5
	v_pk_fma_f16 v0, v0, v10, v7
	s_delay_alu instid0(VALU_DEP_4) | instskip(NEXT) | instid1(VALU_DEP_4)
	v_mul_u32_u24_e32 v7, 0x10001, v12
	v_mul_u32_u24_e32 v9, 0x10001, v13
	v_pk_fma_f16 v6, v1, v8, v6
	v_pk_fma_f16 v1, v1, v10, v4
	s_wait_kmcnt 0x0
	s_lshl_b32 s6, s6, 5
	v_pk_fma_f16 v81, v2, v7, v5
	v_pk_fma_f16 v71, v2, v9, v0
	;; [unrolled: 1-line block ×4, first 2 shown]
	s_wait_alu 0xfffe
	s_add_co_i32 s14, s6, s14
	s_wait_alu 0xfffe
	s_cmp_ge_i32 s14, s30
	s_cbranch_scc1 .LBB9_29
; %bb.28:                               ;   in Loop: Header=BB9_11 Depth=1
	v_dual_mov_b32 v0, v60 :: v_dual_mov_b32 v1, v61
	v_dual_mov_b32 v87, v89 :: v_dual_mov_b32 v86, v88
	s_branch .LBB9_11
.LBB9_29:
	v_mov_b32_e32 v2, v64
.LBB9_30:
	v_cmp_lt_i32_e32 vcc_lo, v72, v66
	s_cmp_lg_u64 s[12:13], 0
	s_cselect_b32 s3, -1, 0
	s_cmp_eq_u32 s31, 0
	s_wait_alu 0xfffd
	v_cndmask_b32_e32 v0, v2, v72, vcc_lo
	v_cmp_lt_i32_e32 vcc_lo, v70, v66
	s_cselect_b32 s4, -1, 0
	s_wait_alu 0xfffe
	s_and_b32 s3, s4, s3
	s_wait_alu 0xfffd
	v_cndmask_b32_e32 v3, v2, v70, vcc_lo
	v_cmp_lt_i32_e32 vcc_lo, v69, v66
	s_delay_alu instid0(VALU_DEP_2)
	v_lshlrev_b32_e32 v3, 2, v3
	v_lshlrev_b32_e32 v0, 2, v0
	ds_bpermute_b32 v1, v0, v89
	s_wait_dscnt 0x0
	v_add_f32_e32 v1, v89, v1
	ds_bpermute_b32 v0, v0, v88
	ds_bpermute_b32 v4, v3, v1
	s_wait_dscnt 0x1
	v_add_f32_e32 v0, v88, v0
	s_wait_dscnt 0x0
	v_add_f32_e32 v1, v1, v4
	ds_bpermute_b32 v3, v3, v0
	s_wait_alu 0xfffd
	v_cndmask_b32_e32 v5, v2, v69, vcc_lo
	v_cmp_lt_i32_e32 vcc_lo, v68, v66
	s_wait_dscnt 0x0
	s_delay_alu instid0(VALU_DEP_2)
	v_dual_add_f32 v0, v0, v3 :: v_dual_lshlrev_b32 v5, 2, v5
	ds_bpermute_b32 v4, v5, v0
	s_wait_dscnt 0x0
	v_add_f32_e32 v0, v0, v4
	ds_bpermute_b32 v3, v5, v1
	s_wait_alu 0xfffd
	v_cndmask_b32_e32 v5, v2, v68, vcc_lo
	v_cmp_lt_i32_e32 vcc_lo, v67, v66
	s_wait_alu 0xfffd
	v_cndmask_b32_e32 v2, v2, v67, vcc_lo
	s_wait_alu 0xfffe
	s_and_b32 vcc_lo, exec_lo, s3
	s_delay_alu instid0(VALU_DEP_1)
	v_lshlrev_b32_e32 v2, 2, v2
	v_lshlrev_b32_e32 v5, 2, v5
	ds_bpermute_b32 v4, v5, v0
	s_wait_dscnt 0x1
	v_add_f32_e32 v1, v1, v3
	ds_bpermute_b32 v3, v5, v1
	s_wait_dscnt 0x0
	v_add_f32_e32 v1, v1, v3
	v_add_f32_e32 v3, v0, v4
	ds_bpermute_b32 v0, v2, v1
	ds_bpermute_b32 v2, v2, v3
	s_wait_dscnt 0x0
	v_dual_add_f32 v0, v1, v0 :: v_dual_add_f32 v1, v3, v2
	s_wait_alu 0xfffe
	s_cbranch_vccz .LBB9_33
; %bb.31:
	v_add_nc_u32_e32 v2, s11, v62
	s_delay_alu instid0(VALU_DEP_1) | instskip(NEXT) | instid1(VALU_DEP_1)
	v_ashrrev_i32_e32 v3, 31, v2
	v_lshlrev_b64_e32 v[2:3], 2, v[2:3]
	s_delay_alu instid0(VALU_DEP_1) | instskip(SKIP_1) | instid1(VALU_DEP_2)
	v_add_co_u32 v2, vcc_lo, s12, v2
	s_wait_alu 0xfffd
	v_add_co_ci_u32_e64 v3, null, s13, v3, vcc_lo
	global_load_b64 v[2:3], v[2:3], off
	s_wait_loadcnt 0x0
	v_dual_max_num_f32 v4, v60, v60 :: v_dual_max_num_f32 v5, v2, v2
	s_delay_alu instid0(VALU_DEP_1) | instskip(NEXT) | instid1(VALU_DEP_1)
	v_dual_max_num_f32 v7, v3, v3 :: v_dual_max_num_f32 v4, v4, v5
	v_sub_f32_e32 v2, v2, v4
	s_delay_alu instid0(VALU_DEP_1) | instskip(NEXT) | instid1(VALU_DEP_1)
	v_dual_max_num_f32 v6, v61, v61 :: v_dual_mul_f32 v9, 0x3fb8aa3b, v2
	v_dual_max_num_f32 v5, v6, v7 :: v_dual_sub_f32 v6, v60, v4
	s_delay_alu instid0(VALU_DEP_2) | instskip(NEXT) | instid1(VALU_DEP_2)
	v_rndne_f32_e32 v17, v9
	v_sub_f32_e32 v7, v61, v5
	s_delay_alu instid0(VALU_DEP_3) | instskip(SKIP_1) | instid1(VALU_DEP_3)
	v_dual_sub_f32 v3, v3, v5 :: v_dual_mul_f32 v8, 0x3fb8aa3b, v6
	v_fma_f32 v14, 0x3fb8aa3b, v2, -v9
	v_dual_sub_f32 v9, v9, v17 :: v_dual_mul_f32 v10, 0x3fb8aa3b, v7
	s_delay_alu instid0(VALU_DEP_3) | instskip(NEXT) | instid1(VALU_DEP_4)
	v_mul_f32_e32 v11, 0x3fb8aa3b, v3
	v_fma_f32 v12, 0x3fb8aa3b, v6, -v8
	v_rndne_f32_e32 v13, v8
	v_fmac_f32_e32 v14, 0x32a5705f, v2
	v_fma_f32 v15, 0x3fb8aa3b, v7, -v10
	v_rndne_f32_e32 v16, v10
	v_fmac_f32_e32 v12, 0x32a5705f, v6
	v_fma_f32 v18, 0x3fb8aa3b, v3, -v11
	v_rndne_f32_e32 v19, v11
	v_dual_sub_f32 v8, v8, v13 :: v_dual_fmac_f32 v15, 0x32a5705f, v7
	v_dual_sub_f32 v10, v10, v16 :: v_dual_add_f32 v9, v9, v14
	s_delay_alu instid0(VALU_DEP_4) | instskip(NEXT) | instid1(VALU_DEP_3)
	v_dual_fmac_f32 v18, 0x32a5705f, v3 :: v_dual_mov_b32 v61, v5
	v_dual_sub_f32 v11, v11, v19 :: v_dual_add_f32 v8, v8, v12
	s_delay_alu instid0(VALU_DEP_3) | instskip(SKIP_2) | instid1(VALU_DEP_4)
	v_add_f32_e32 v10, v10, v15
	v_cvt_i32_f32_e32 v12, v13
	v_cvt_i32_f32_e32 v13, v16
	v_add_f32_e32 v11, v11, v18
	v_exp_f32_e32 v8, v8
	v_exp_f32_e32 v10, v10
	v_cmp_ngt_f32_e32 vcc_lo, 0xc2ce8ed0, v6
	v_exp_f32_e32 v9, v9
	v_cvt_i32_f32_e32 v14, v17
	v_exp_f32_e32 v11, v11
	v_mov_b32_e32 v60, v4
	v_ldexp_f32 v8, v8, v12
	s_delay_alu instid0(TRANS32_DEP_3) | instskip(SKIP_1) | instid1(TRANS32_DEP_2)
	v_ldexp_f32 v10, v10, v13
	v_cvt_i32_f32_e32 v12, v19
	v_ldexp_f32 v9, v9, v14
	s_wait_alu 0xfffd
	v_cndmask_b32_e32 v8, 0, v8, vcc_lo
	v_cmp_ngt_f32_e32 vcc_lo, 0xc2ce8ed0, v7
	s_wait_alu 0xfffd
	v_cndmask_b32_e32 v10, 0, v10, vcc_lo
	v_cmp_nlt_f32_e32 vcc_lo, 0x42b17218, v6
	s_wait_alu 0xfffd
	v_cndmask_b32_e32 v6, 0x7f800000, v8, vcc_lo
	v_cmp_nlt_f32_e32 vcc_lo, 0x42b17218, v7
	v_ldexp_f32 v8, v11, v12
	s_wait_alu 0xfffd
	v_cndmask_b32_e32 v7, 0x7f800000, v10, vcc_lo
	v_cmp_ngt_f32_e32 vcc_lo, 0xc2ce8ed0, v2
	s_delay_alu instid0(VALU_DEP_2)
	v_cvt_f16_f32_e32 v11, v7
	s_wait_alu 0xfffd
	v_cndmask_b32_e32 v9, 0, v9, vcc_lo
	v_cmp_ngt_f32_e32 vcc_lo, 0xc2ce8ed0, v3
	s_wait_alu 0xfffd
	v_cndmask_b32_e32 v8, 0, v8, vcc_lo
	v_cmp_nlt_f32_e32 vcc_lo, 0x42b17218, v2
	s_wait_alu 0xfffd
	v_cndmask_b32_e32 v2, 0x7f800000, v9, vcc_lo
	v_cmp_nlt_f32_e32 vcc_lo, 0x42b17218, v3
	s_wait_alu 0xfffd
	v_cndmask_b32_e32 v3, 0x7f800000, v8, vcc_lo
	s_delay_alu instid0(VALU_DEP_1) | instskip(NEXT) | instid1(VALU_DEP_1)
	v_fmac_f32_e32 v3, v1, v7
	v_mov_b32_e32 v1, v3
	v_cvt_f16_f32_e32 v10, v6
	v_fmac_f32_e32 v2, v0, v6
	s_delay_alu instid0(VALU_DEP_2) | instskip(SKIP_1) | instid1(VALU_DEP_3)
	v_and_b32_e32 v9, 0xffff, v10
	v_and_b32_e32 v10, 0xffff, v11
	v_mov_b32_e32 v0, v2
	s_delay_alu instid0(VALU_DEP_3) | instskip(NEXT) | instid1(VALU_DEP_3)
	v_mul_u32_u24_e32 v6, 0x10001, v9
	v_mul_u32_u24_e32 v4, 0x10001, v10
	s_delay_alu instid0(VALU_DEP_2) | instskip(SKIP_1) | instid1(VALU_DEP_3)
	v_pk_mul_f16 v81, v81, v6
	v_pk_mul_f16 v85, v85, v6
	v_pk_mul_f16 v71, v71, v4
	v_pk_mul_f16 v65, v65, v4
	s_mov_b32 s3, exec_lo
	v_cmpx_gt_i32_e64 s22, v50
	s_cbranch_execnz .LBB9_34
.LBB9_32:
	s_nop 0
	s_sendmsg sendmsg(MSG_DEALLOC_VGPRS)
	s_endpgm
.LBB9_33:
	s_delay_alu instid0(VALU_DEP_1)
	v_dual_mov_b32 v3, v1 :: v_dual_mov_b32 v2, v0
	s_mov_b32 s3, exec_lo
	v_cmpx_gt_i32_e64 s22, v50
	s_cbranch_execz .LBB9_32
.LBB9_34:
	s_load_b32 s0, s[0:1], 0xd4
	v_mov_b32_e32 v5, 1.0
	s_wait_kmcnt 0x0
	s_cmp_lg_u32 s0, 1
	s_cselect_b32 s3, -1, 0
	s_cmp_eq_u32 s0, 1
	s_cselect_b32 s1, -1, 0
	s_wait_alu 0xfffe
	s_and_b32 vcc_lo, exec_lo, s3
	s_wait_alu 0xfffe
	s_cbranch_vccnz .LBB9_36
; %bb.35:
	v_div_scale_f32 v4, null, v0, v0, 1.0
	s_delay_alu instid0(VALU_DEP_1) | instskip(NEXT) | instid1(TRANS32_DEP_1)
	v_rcp_f32_e32 v5, v4
	v_fma_f32 v6, -v4, v5, 1.0
	s_delay_alu instid0(VALU_DEP_1) | instskip(SKIP_1) | instid1(VALU_DEP_1)
	v_fmac_f32_e32 v5, v6, v5
	v_div_scale_f32 v6, vcc_lo, 1.0, v0, 1.0
	v_mul_f32_e32 v7, v6, v5
	s_delay_alu instid0(VALU_DEP_1) | instskip(NEXT) | instid1(VALU_DEP_1)
	v_fma_f32 v8, -v4, v7, v6
	v_fmac_f32_e32 v7, v8, v5
	s_delay_alu instid0(VALU_DEP_1) | instskip(SKIP_1) | instid1(VALU_DEP_1)
	v_fma_f32 v4, -v4, v7, v6
	s_wait_alu 0xfffd
	v_div_fmas_f32 v4, v4, v5, v7
	s_delay_alu instid0(VALU_DEP_1)
	v_div_fixup_f32 v5, v4, v0, 1.0
.LBB9_36:
	v_mad_co_u64_u32 v[6:7], null, s28, s22, v[50:51]
	s_delay_alu instid0(VALU_DEP_1) | instskip(NEXT) | instid1(VALU_DEP_1)
	v_mul_lo_u32 v0, v6, s23
	v_add3_u32 v0, s11, v62, v0
	s_delay_alu instid0(VALU_DEP_1) | instskip(NEXT) | instid1(VALU_DEP_1)
	v_mul_lo_u32 v0, s0, v0
	v_add_nc_u32_e32 v4, s31, v0
	s_and_saveexec_b32 s4, s2
	s_cbranch_execz .LBB9_38
; %bb.37:
	v_lshrrev_b32_e32 v8, 16, v85
	s_delay_alu instid0(VALU_DEP_2) | instskip(SKIP_2) | instid1(VALU_DEP_4)
	v_mad_co_u64_u32 v[6:7], null, 0x60, v4, v[48:49]
	v_lshrrev_b32_e32 v9, 16, v81
	v_cvt_f32_f16_e32 v11, v85
	v_cvt_f32_f16_e32 v8, v8
	v_mov_b32_e32 v7, 0
	v_cvt_f32_f16_e32 v12, v81
	v_cvt_f32_f16_e32 v13, v9
	s_delay_alu instid0(VALU_DEP_4) | instskip(NEXT) | instid1(VALU_DEP_4)
	v_mul_f32_e32 v8, v5, v8
	v_lshlrev_b64_e32 v[6:7], 2, v[6:7]
	s_delay_alu instid0(VALU_DEP_1) | instskip(SKIP_1) | instid1(VALU_DEP_2)
	v_add_co_u32 v9, vcc_lo, s16, v6
	s_wait_alu 0xfffd
	v_add_co_ci_u32_e64 v10, null, s17, v7, vcc_lo
	v_mul_f32_e32 v7, v5, v11
	v_mul_f32_e32 v6, v5, v13
	;; [unrolled: 1-line block ×3, first 2 shown]
	global_store_b128 v[9:10], v[5:8], off
.LBB9_38:
	s_wait_alu 0xfffe
	s_or_b32 exec_lo, exec_lo, s4
	v_cmp_eq_u32_e32 vcc_lo, 0, v49
	s_and_b32 s3, vcc_lo, s3
	s_wait_alu 0xfffe
	s_and_saveexec_b32 s4, s3
	s_cbranch_execnz .LBB9_42
; %bb.39:
	s_wait_alu 0xfffe
	s_or_b32 exec_lo, exec_lo, s4
	v_mov_b32_e32 v2, 1.0
	s_and_not1_b32 vcc_lo, exec_lo, s1
	s_wait_alu 0xfffe
	s_cbranch_vccz .LBB9_43
.LBB9_40:
	v_add3_u32 v0, s31, s0, v0
	s_and_saveexec_b32 s0, s2
	s_cbranch_execnz .LBB9_44
.LBB9_41:
	s_wait_alu 0xfffe
	s_or_b32 exec_lo, exec_lo, s0
	s_delay_alu instid0(SALU_CYCLE_1)
	s_and_b32 exec_lo, exec_lo, s3
	s_cbranch_execz .LBB9_32
	s_branch .LBB9_45
.LBB9_42:
	v_ashrrev_i32_e32 v5, 31, v4
	v_dual_mov_b32 v6, v60 :: v_dual_mov_b32 v7, v2
	s_delay_alu instid0(VALU_DEP_2) | instskip(NEXT) | instid1(VALU_DEP_1)
	v_lshlrev_b64_e32 v[4:5], 3, v[4:5]
	v_add_co_u32 v4, vcc_lo, s18, v4
	s_wait_alu 0xfffd
	s_delay_alu instid0(VALU_DEP_2)
	v_add_co_ci_u32_e64 v5, null, s19, v5, vcc_lo
	global_store_b64 v[4:5], v[6:7], off
	s_wait_alu 0xfffe
	s_or_b32 exec_lo, exec_lo, s4
	v_mov_b32_e32 v2, 1.0
	s_and_not1_b32 vcc_lo, exec_lo, s1
	s_wait_alu 0xfffe
	s_cbranch_vccnz .LBB9_40
.LBB9_43:
	v_div_scale_f32 v2, null, v1, v1, 1.0
	s_delay_alu instid0(VALU_DEP_1) | instskip(NEXT) | instid1(TRANS32_DEP_1)
	v_rcp_f32_e32 v4, v2
	v_fma_f32 v5, -v2, v4, 1.0
	s_delay_alu instid0(VALU_DEP_1) | instskip(SKIP_1) | instid1(VALU_DEP_1)
	v_fmac_f32_e32 v4, v5, v4
	v_div_scale_f32 v5, vcc_lo, 1.0, v1, 1.0
	v_mul_f32_e32 v6, v5, v4
	s_delay_alu instid0(VALU_DEP_1) | instskip(NEXT) | instid1(VALU_DEP_1)
	v_fma_f32 v7, -v2, v6, v5
	v_fmac_f32_e32 v6, v7, v4
	s_delay_alu instid0(VALU_DEP_1) | instskip(SKIP_1) | instid1(VALU_DEP_1)
	v_fma_f32 v2, -v2, v6, v5
	s_wait_alu 0xfffd
	v_div_fmas_f32 v2, v2, v4, v6
	s_delay_alu instid0(VALU_DEP_1)
	v_div_fixup_f32 v2, v2, v1, 1.0
	v_add3_u32 v0, s31, s0, v0
	s_and_saveexec_b32 s0, s2
	s_cbranch_execz .LBB9_41
.LBB9_44:
	s_delay_alu instid0(VALU_DEP_1)
	v_mad_co_u64_u32 v[4:5], null, 0x60, v0, v[48:49]
	v_lshrrev_b32_e32 v6, 16, v71
	v_cvt_f32_f16_e32 v10, v65
	v_mov_b32_e32 v5, 0
	v_lshrrev_b32_e32 v1, 16, v65
	v_cvt_f32_f16_e32 v11, v71
	v_cvt_f32_f16_e32 v12, v6
	v_mul_f32_e32 v6, v2, v10
	v_lshlrev_b64_e32 v[4:5], 2, v[4:5]
	v_cvt_f32_f16_e32 v1, v1
	s_delay_alu instid0(VALU_DEP_1) | instskip(NEXT) | instid1(VALU_DEP_3)
	v_mul_f32_e32 v7, v2, v1
	v_add_co_u32 v8, vcc_lo, s16, v4
	s_wait_alu 0xfffd
	s_delay_alu instid0(VALU_DEP_4)
	v_add_co_ci_u32_e64 v9, null, s17, v5, vcc_lo
	v_mul_f32_e32 v5, v2, v12
	v_mul_f32_e32 v4, v2, v11
	global_store_b128 v[8:9], v[4:7], off
	s_wait_alu 0xfffe
	s_or_b32 exec_lo, exec_lo, s0
	s_delay_alu instid0(SALU_CYCLE_1)
	s_and_b32 exec_lo, exec_lo, s3
	s_cbranch_execz .LBB9_32
.LBB9_45:
	v_ashrrev_i32_e32 v1, 31, v0
	v_mov_b32_e32 v2, v61
	s_delay_alu instid0(VALU_DEP_2) | instskip(NEXT) | instid1(VALU_DEP_1)
	v_lshlrev_b64_e32 v[0:1], 3, v[0:1]
	v_add_co_u32 v0, vcc_lo, s18, v0
	s_wait_alu 0xfffd
	s_delay_alu instid0(VALU_DEP_2)
	v_add_co_ci_u32_e64 v1, null, s19, v1, vcc_lo
	global_store_b64 v[0:1], v[2:3], off
	s_nop 0
	s_sendmsg sendmsg(MSG_DEALLOC_VGPRS)
	s_endpgm
	.section	.rodata,"a",@progbits
	.p2align	6, 0x0
	.amdhsa_kernel _ZL15flash_attn_tileILi96ELi96ELi2ELi8ELb0EEvPKcS1_S1_S1_S1_PKiPfP15HIP_vector_typeIfLj2EEffffjfiS5_IjLj3EEiiiiiiiiiiiliiliiiiil
		.amdhsa_group_segment_fixed_size 7808
		.amdhsa_private_segment_fixed_size 0
		.amdhsa_kernarg_size 464
		.amdhsa_user_sgpr_count 2
		.amdhsa_user_sgpr_dispatch_ptr 0
		.amdhsa_user_sgpr_queue_ptr 0
		.amdhsa_user_sgpr_kernarg_segment_ptr 1
		.amdhsa_user_sgpr_dispatch_id 0
		.amdhsa_user_sgpr_private_segment_size 0
		.amdhsa_wavefront_size32 1
		.amdhsa_uses_dynamic_stack 0
		.amdhsa_enable_private_segment 0
		.amdhsa_system_sgpr_workgroup_id_x 1
		.amdhsa_system_sgpr_workgroup_id_y 1
		.amdhsa_system_sgpr_workgroup_id_z 1
		.amdhsa_system_sgpr_workgroup_info 0
		.amdhsa_system_vgpr_workitem_id 1
		.amdhsa_next_free_vgpr 110
		.amdhsa_next_free_sgpr 44
		.amdhsa_reserve_vcc 1
		.amdhsa_float_round_mode_32 0
		.amdhsa_float_round_mode_16_64 0
		.amdhsa_float_denorm_mode_32 3
		.amdhsa_float_denorm_mode_16_64 3
		.amdhsa_fp16_overflow 0
		.amdhsa_workgroup_processor_mode 1
		.amdhsa_memory_ordered 1
		.amdhsa_forward_progress 1
		.amdhsa_inst_pref_size 65
		.amdhsa_round_robin_scheduling 0
		.amdhsa_exception_fp_ieee_invalid_op 0
		.amdhsa_exception_fp_denorm_src 0
		.amdhsa_exception_fp_ieee_div_zero 0
		.amdhsa_exception_fp_ieee_overflow 0
		.amdhsa_exception_fp_ieee_underflow 0
		.amdhsa_exception_fp_ieee_inexact 0
		.amdhsa_exception_int_div_zero 0
	.end_amdhsa_kernel
	.section	.text._ZL15flash_attn_tileILi96ELi96ELi2ELi8ELb0EEvPKcS1_S1_S1_S1_PKiPfP15HIP_vector_typeIfLj2EEffffjfiS5_IjLj3EEiiiiiiiiiiiliiliiiiil,"axG",@progbits,_ZL15flash_attn_tileILi96ELi96ELi2ELi8ELb0EEvPKcS1_S1_S1_S1_PKiPfP15HIP_vector_typeIfLj2EEffffjfiS5_IjLj3EEiiiiiiiiiiiliiliiiiil,comdat
.Lfunc_end9:
	.size	_ZL15flash_attn_tileILi96ELi96ELi2ELi8ELb0EEvPKcS1_S1_S1_S1_PKiPfP15HIP_vector_typeIfLj2EEffffjfiS5_IjLj3EEiiiiiiiiiiiliiliiiiil, .Lfunc_end9-_ZL15flash_attn_tileILi96ELi96ELi2ELi8ELb0EEvPKcS1_S1_S1_S1_PKiPfP15HIP_vector_typeIfLj2EEffffjfiS5_IjLj3EEiiiiiiiiiiiliiliiiiil
                                        ; -- End function
	.set _ZL15flash_attn_tileILi96ELi96ELi2ELi8ELb0EEvPKcS1_S1_S1_S1_PKiPfP15HIP_vector_typeIfLj2EEffffjfiS5_IjLj3EEiiiiiiiiiiiliiliiiiil.num_vgpr, 110
	.set _ZL15flash_attn_tileILi96ELi96ELi2ELi8ELb0EEvPKcS1_S1_S1_S1_PKiPfP15HIP_vector_typeIfLj2EEffffjfiS5_IjLj3EEiiiiiiiiiiiliiliiiiil.num_agpr, 0
	.set _ZL15flash_attn_tileILi96ELi96ELi2ELi8ELb0EEvPKcS1_S1_S1_S1_PKiPfP15HIP_vector_typeIfLj2EEffffjfiS5_IjLj3EEiiiiiiiiiiiliiliiiiil.numbered_sgpr, 44
	.set _ZL15flash_attn_tileILi96ELi96ELi2ELi8ELb0EEvPKcS1_S1_S1_S1_PKiPfP15HIP_vector_typeIfLj2EEffffjfiS5_IjLj3EEiiiiiiiiiiiliiliiiiil.num_named_barrier, 0
	.set _ZL15flash_attn_tileILi96ELi96ELi2ELi8ELb0EEvPKcS1_S1_S1_S1_PKiPfP15HIP_vector_typeIfLj2EEffffjfiS5_IjLj3EEiiiiiiiiiiiliiliiiiil.private_seg_size, 0
	.set _ZL15flash_attn_tileILi96ELi96ELi2ELi8ELb0EEvPKcS1_S1_S1_S1_PKiPfP15HIP_vector_typeIfLj2EEffffjfiS5_IjLj3EEiiiiiiiiiiiliiliiiiil.uses_vcc, 1
	.set _ZL15flash_attn_tileILi96ELi96ELi2ELi8ELb0EEvPKcS1_S1_S1_S1_PKiPfP15HIP_vector_typeIfLj2EEffffjfiS5_IjLj3EEiiiiiiiiiiiliiliiiiil.uses_flat_scratch, 0
	.set _ZL15flash_attn_tileILi96ELi96ELi2ELi8ELb0EEvPKcS1_S1_S1_S1_PKiPfP15HIP_vector_typeIfLj2EEffffjfiS5_IjLj3EEiiiiiiiiiiiliiliiiiil.has_dyn_sized_stack, 0
	.set _ZL15flash_attn_tileILi96ELi96ELi2ELi8ELb0EEvPKcS1_S1_S1_S1_PKiPfP15HIP_vector_typeIfLj2EEffffjfiS5_IjLj3EEiiiiiiiiiiiliiliiiiil.has_recursion, 0
	.set _ZL15flash_attn_tileILi96ELi96ELi2ELi8ELb0EEvPKcS1_S1_S1_S1_PKiPfP15HIP_vector_typeIfLj2EEffffjfiS5_IjLj3EEiiiiiiiiiiiliiliiiiil.has_indirect_call, 0
	.section	.AMDGPU.csdata,"",@progbits
; Kernel info:
; codeLenInByte = 8300
; TotalNumSgprs: 46
; NumVgprs: 110
; ScratchSize: 0
; MemoryBound: 0
; FloatMode: 240
; IeeeMode: 1
; LDSByteSize: 7808 bytes/workgroup (compile time only)
; SGPRBlocks: 0
; VGPRBlocks: 13
; NumSGPRsForWavesPerEU: 46
; NumVGPRsForWavesPerEU: 110
; Occupancy: 12
; WaveLimiterHint : 1
; COMPUTE_PGM_RSRC2:SCRATCH_EN: 0
; COMPUTE_PGM_RSRC2:USER_SGPR: 2
; COMPUTE_PGM_RSRC2:TRAP_HANDLER: 0
; COMPUTE_PGM_RSRC2:TGID_X_EN: 1
; COMPUTE_PGM_RSRC2:TGID_Y_EN: 1
; COMPUTE_PGM_RSRC2:TGID_Z_EN: 1
; COMPUTE_PGM_RSRC2:TIDIG_COMP_CNT: 1
	.section	.text._ZL25flash_attn_mask_to_KV_maxILi2EEvPK7__half2Piiii,"axG",@progbits,_ZL25flash_attn_mask_to_KV_maxILi2EEvPK7__half2Piiii,comdat
	.globl	_ZL25flash_attn_mask_to_KV_maxILi2EEvPK7__half2Piiii ; -- Begin function _ZL25flash_attn_mask_to_KV_maxILi2EEvPK7__half2Piiii
	.p2align	8
	.type	_ZL25flash_attn_mask_to_KV_maxILi2EEvPK7__half2Piiii,@function
_ZL25flash_attn_mask_to_KV_maxILi2EEvPK7__half2Piiii: ; @_ZL25flash_attn_mask_to_KV_maxILi2EEvPK7__half2Piiii
; %bb.0:
	s_load_b64 s[8:9], s[0:1], 0x0
	s_mov_b32 s2, exec_lo
	v_cmpx_gt_u32_e32 32, v0
; %bb.1:
	v_dual_mov_b32 v2, 1 :: v_dual_lshlrev_b32 v1, 2, v0
	ds_store_b32 v1, v2
; %bb.2:
	s_or_b32 exec_lo, exec_lo, s2
	s_clause 0x2
	s_load_b96 s[4:6], s[0:1], 0x10
	s_load_b64 s[2:3], s[0:1], 0x8
	s_load_b32 s1, s[0:1], 0x20
	v_dual_mov_b32 v2, 0 :: v_dual_and_b32 v1, 31, v0
	v_lshrrev_b32_e32 v3, 3, v0
	s_wait_dscnt 0x0
	s_barrier_signal -1
	s_delay_alu instid0(VALU_DEP_2)
	v_lshlrev_b32_e32 v4, 2, v1
	s_barrier_wait -1
	global_inv scope:SCOPE_SE
	s_wait_kmcnt 0x0
	s_mul_i32 s0, ttmp9, s5
	s_mul_i32 s6, s6, ttmp7
	s_lshl_b32 s0, s0, 1
	s_delay_alu instid0(SALU_CYCLE_1) | instskip(SKIP_2) | instid1(SALU_CYCLE_1)
	s_add_co_i32 s6, s6, s0
	v_cmp_eq_u32_e64 s0, 0, v1
	s_ashr_i32 s7, s6, 31
	s_lshl_b64 s[6:7], s[6:7], 2
	s_delay_alu instid0(SALU_CYCLE_1)
	s_add_nc_u64 s[6:7], s[8:9], s[6:7]
	s_lshl_b32 s8, s4, 8
	s_branch .LBB10_4
.LBB10_3:                               ;   in Loop: Header=BB10_4 Depth=1
	s_wait_alu 0xfffe
	s_or_b32 exec_lo, exec_lo, s9
	s_wait_dscnt 0x0
	s_barrier_signal -1
	s_barrier_wait -1
	global_inv scope:SCOPE_SE
	ds_load_b32 v1, v4
	s_wait_loadcnt_dscnt 0x0
	s_barrier_signal -1
	s_barrier_wait -1
	global_inv scope:SCOPE_SE
	v_cmp_ne_u32_e32 vcc_lo, 0, v1
	s_cmp_lg_u32 vcc_lo, exec_lo
	s_cselect_b32 s9, -1, 0
	s_wait_alu 0xfffe
	s_and_b32 vcc_lo, exec_lo, s9
	s_wait_alu 0xfffe
	s_cbranch_vccnz .LBB10_12
.LBB10_4:                               ; =>This Inner Loop Header: Depth=1
	s_mov_b32 s4, s8
	s_addk_co_i32 s8, 0xff00
	s_wait_alu 0xfffe
	s_cmp_lt_i32 s8, 0
	s_cbranch_scc1 .LBB10_11
; %bb.5:                                ;   in Loop: Header=BB10_4 Depth=1
	s_lshr_b32 s9, s8, 1
	s_wait_alu 0xfffe
	v_add_nc_u32_e32 v1, s9, v0
	s_delay_alu instid0(VALU_DEP_1) | instskip(NEXT) | instid1(VALU_DEP_1)
	v_lshlrev_b64_e32 v[5:6], 2, v[1:2]
	v_add_co_u32 v5, vcc_lo, s6, v5
	s_wait_alu 0xfffd
	s_delay_alu instid0(VALU_DEP_2) | instskip(SKIP_4) | instid1(VALU_DEP_2)
	v_add_co_ci_u32_e64 v6, null, s7, v6, vcc_lo
	global_load_b32 v5, v[5:6], off
	s_wait_loadcnt 0x0
	v_lshrrev_b32_e32 v6, 16, v5
	v_cmp_class_f16_e64 s9, v5, 0x204
	v_cmp_class_f16_e64 s10, v6, 0x204
	s_and_b32 s11, s9, s10
	s_mov_b32 s10, 0
	s_wait_alu 0xfffe
	s_and_saveexec_b32 s9, s11
	s_cbranch_execz .LBB10_9
; %bb.6:                                ;   in Loop: Header=BB10_4 Depth=1
	v_add_nc_u32_e32 v5, s5, v1
	s_delay_alu instid0(VALU_DEP_1) | instskip(NEXT) | instid1(VALU_DEP_1)
	v_ashrrev_i32_e32 v6, 31, v5
	v_lshlrev_b64_e32 v[5:6], 2, v[5:6]
	s_delay_alu instid0(VALU_DEP_1) | instskip(SKIP_1) | instid1(VALU_DEP_2)
	v_add_co_u32 v5, vcc_lo, s6, v5
	s_wait_alu 0xfffd
	v_add_co_ci_u32_e64 v6, null, s7, v6, vcc_lo
	global_load_b32 v1, v[5:6], off
	s_wait_loadcnt 0x0
	v_cmp_class_f16_e64 s12, v1, 0x204
	s_and_saveexec_b32 s11, s12
; %bb.7:                                ;   in Loop: Header=BB10_4 Depth=1
	v_lshrrev_b32_e32 v1, 16, v1
	s_delay_alu instid0(VALU_DEP_1)
	v_cmp_class_f16_e64 s10, v1, 0x204
	s_and_b32 s10, s10, exec_lo
; %bb.8:                                ;   in Loop: Header=BB10_4 Depth=1
	s_wait_alu 0xfffe
	s_or_b32 exec_lo, exec_lo, s11
	s_delay_alu instid0(SALU_CYCLE_1)
	s_and_b32 s10, s10, exec_lo
.LBB10_9:                               ;   in Loop: Header=BB10_4 Depth=1
	s_wait_alu 0xfffe
	s_or_b32 exec_lo, exec_lo, s9
	v_cndmask_b32_e64 v1, 0, 1, s10
	s_mov_b32 s11, exec_lo
	s_delay_alu instid0(VALU_DEP_1)
	v_cmp_ne_u32_e32 vcc_lo, 0, v1
	s_and_saveexec_b32 s9, s0
	s_cbranch_execz .LBB10_3
; %bb.10:                               ;   in Loop: Header=BB10_4 Depth=1
	s_wait_alu 0xfffe
	s_cmp_eq_u32 vcc_lo, s11
	s_cselect_b32 s10, -1, 0
	s_wait_alu 0xfffe
	v_cndmask_b32_e64 v1, 0, 1, s10
	ds_store_b32 v3, v1
	s_branch .LBB10_3
.LBB10_11:                              ;   in Loop: Header=BB10_4 Depth=1
	s_cbranch_execz .LBB10_4
.LBB10_12:
	s_mov_b32 s0, exec_lo
	v_cmpx_eq_u32_e32 0, v0
	s_cbranch_execz .LBB10_14
; %bb.13:
	s_mul_i32 s0, s1, ttmp7
	v_dual_mov_b32 v0, 0 :: v_dual_mov_b32 v1, s4
	s_add_co_i32 s0, s0, ttmp9
	s_delay_alu instid0(SALU_CYCLE_1) | instskip(NEXT) | instid1(SALU_CYCLE_1)
	s_ashr_i32 s1, s0, 31
	s_lshl_b64 s[0:1], s[0:1], 2
	s_delay_alu instid0(SALU_CYCLE_1)
	s_add_nc_u64 s[0:1], s[2:3], s[0:1]
	global_store_b32 v0, v1, s[0:1]
.LBB10_14:
	s_endpgm
	.section	.rodata,"a",@progbits
	.p2align	6, 0x0
	.amdhsa_kernel _ZL25flash_attn_mask_to_KV_maxILi2EEvPK7__half2Piiii
		.amdhsa_group_segment_fixed_size 128
		.amdhsa_private_segment_fixed_size 0
		.amdhsa_kernarg_size 288
		.amdhsa_user_sgpr_count 2
		.amdhsa_user_sgpr_dispatch_ptr 0
		.amdhsa_user_sgpr_queue_ptr 0
		.amdhsa_user_sgpr_kernarg_segment_ptr 1
		.amdhsa_user_sgpr_dispatch_id 0
		.amdhsa_user_sgpr_private_segment_size 0
		.amdhsa_wavefront_size32 1
		.amdhsa_uses_dynamic_stack 0
		.amdhsa_enable_private_segment 0
		.amdhsa_system_sgpr_workgroup_id_x 1
		.amdhsa_system_sgpr_workgroup_id_y 1
		.amdhsa_system_sgpr_workgroup_id_z 0
		.amdhsa_system_sgpr_workgroup_info 0
		.amdhsa_system_vgpr_workitem_id 0
		.amdhsa_next_free_vgpr 7
		.amdhsa_next_free_sgpr 13
		.amdhsa_reserve_vcc 1
		.amdhsa_float_round_mode_32 0
		.amdhsa_float_round_mode_16_64 0
		.amdhsa_float_denorm_mode_32 3
		.amdhsa_float_denorm_mode_16_64 3
		.amdhsa_fp16_overflow 0
		.amdhsa_workgroup_processor_mode 1
		.amdhsa_memory_ordered 1
		.amdhsa_forward_progress 1
		.amdhsa_inst_pref_size 5
		.amdhsa_round_robin_scheduling 0
		.amdhsa_exception_fp_ieee_invalid_op 0
		.amdhsa_exception_fp_denorm_src 0
		.amdhsa_exception_fp_ieee_div_zero 0
		.amdhsa_exception_fp_ieee_overflow 0
		.amdhsa_exception_fp_ieee_underflow 0
		.amdhsa_exception_fp_ieee_inexact 0
		.amdhsa_exception_int_div_zero 0
	.end_amdhsa_kernel
	.section	.text._ZL25flash_attn_mask_to_KV_maxILi2EEvPK7__half2Piiii,"axG",@progbits,_ZL25flash_attn_mask_to_KV_maxILi2EEvPK7__half2Piiii,comdat
.Lfunc_end10:
	.size	_ZL25flash_attn_mask_to_KV_maxILi2EEvPK7__half2Piiii, .Lfunc_end10-_ZL25flash_attn_mask_to_KV_maxILi2EEvPK7__half2Piiii
                                        ; -- End function
	.set _ZL25flash_attn_mask_to_KV_maxILi2EEvPK7__half2Piiii.num_vgpr, 7
	.set _ZL25flash_attn_mask_to_KV_maxILi2EEvPK7__half2Piiii.num_agpr, 0
	.set _ZL25flash_attn_mask_to_KV_maxILi2EEvPK7__half2Piiii.numbered_sgpr, 13
	.set _ZL25flash_attn_mask_to_KV_maxILi2EEvPK7__half2Piiii.num_named_barrier, 0
	.set _ZL25flash_attn_mask_to_KV_maxILi2EEvPK7__half2Piiii.private_seg_size, 0
	.set _ZL25flash_attn_mask_to_KV_maxILi2EEvPK7__half2Piiii.uses_vcc, 1
	.set _ZL25flash_attn_mask_to_KV_maxILi2EEvPK7__half2Piiii.uses_flat_scratch, 0
	.set _ZL25flash_attn_mask_to_KV_maxILi2EEvPK7__half2Piiii.has_dyn_sized_stack, 0
	.set _ZL25flash_attn_mask_to_KV_maxILi2EEvPK7__half2Piiii.has_recursion, 0
	.set _ZL25flash_attn_mask_to_KV_maxILi2EEvPK7__half2Piiii.has_indirect_call, 0
	.section	.AMDGPU.csdata,"",@progbits
; Kernel info:
; codeLenInByte = 636
; TotalNumSgprs: 15
; NumVgprs: 7
; ScratchSize: 0
; MemoryBound: 0
; FloatMode: 240
; IeeeMode: 1
; LDSByteSize: 128 bytes/workgroup (compile time only)
; SGPRBlocks: 0
; VGPRBlocks: 0
; NumSGPRsForWavesPerEU: 15
; NumVGPRsForWavesPerEU: 7
; Occupancy: 16
; WaveLimiterHint : 0
; COMPUTE_PGM_RSRC2:SCRATCH_EN: 0
; COMPUTE_PGM_RSRC2:USER_SGPR: 2
; COMPUTE_PGM_RSRC2:TRAP_HANDLER: 0
; COMPUTE_PGM_RSRC2:TGID_X_EN: 1
; COMPUTE_PGM_RSRC2:TGID_Y_EN: 1
; COMPUTE_PGM_RSRC2:TGID_Z_EN: 0
; COMPUTE_PGM_RSRC2:TIDIG_COMP_CNT: 0
	.section	.text._ZL33flash_attn_stream_k_fixup_uniformILi96ELi2ELi8EEvPfPK15HIP_vector_typeIfLj2EEiiiiiiS1_IjLj3EES5_S5_,"axG",@progbits,_ZL33flash_attn_stream_k_fixup_uniformILi96ELi2ELi8EEvPfPK15HIP_vector_typeIfLj2EEiiiiiiS1_IjLj3EES5_S5_,comdat
	.globl	_ZL33flash_attn_stream_k_fixup_uniformILi96ELi2ELi8EEvPfPK15HIP_vector_typeIfLj2EEiiiiiiS1_IjLj3EES5_S5_ ; -- Begin function _ZL33flash_attn_stream_k_fixup_uniformILi96ELi2ELi8EEvPfPK15HIP_vector_typeIfLj2EEiiiiiiS1_IjLj3EES5_S5_
	.p2align	8
	.type	_ZL33flash_attn_stream_k_fixup_uniformILi96ELi2ELi8EEvPfPK15HIP_vector_typeIfLj2EEiiiiiiS1_IjLj3EES5_S5_,@function
_ZL33flash_attn_stream_k_fixup_uniformILi96ELi2ELi8EEvPfPK15HIP_vector_typeIfLj2EEiiiiiiS1_IjLj3EES5_S5_: ; @_ZL33flash_attn_stream_k_fixup_uniformILi96ELi2ELi8EEvPfPK15HIP_vector_typeIfLj2EEiiiiiiS1_IjLj3EES5_S5_
; %bb.0:
	s_clause 0x1
	s_load_b256 s[4:11], s[0:1], 0x1c
	s_load_b128 s[12:15], s[0:1], 0x3c
	s_wait_kmcnt 0x0
	s_mul_hi_u32 s2, s7, ttmp9
	s_delay_alu instid0(SALU_CYCLE_1) | instskip(NEXT) | instid1(SALU_CYCLE_1)
	s_add_co_i32 s2, ttmp9, s2
	s_lshr_b32 s2, s2, s8
	s_delay_alu instid0(SALU_CYCLE_1) | instskip(SKIP_2) | instid1(SALU_CYCLE_1)
	s_mul_i32 s3, s2, s9
	s_load_b64 s[8:9], s[0:1], 0x10
	s_sub_co_i32 s3, ttmp9, s3
	s_mul_hi_u32 s7, s3, s10
	s_delay_alu instid0(SALU_CYCLE_1) | instskip(NEXT) | instid1(SALU_CYCLE_1)
	s_add_co_i32 s7, s3, s7
	s_lshr_b32 s7, s7, s11
	s_lshr_b32 s11, ttmp7, 16
	s_mul_i32 s10, s7, s12
	s_delay_alu instid0(SALU_CYCLE_1) | instskip(NEXT) | instid1(SALU_CYCLE_1)
	s_sub_co_i32 s3, s3, s10
	s_mul_hi_u32 s10, s3, s13
	s_delay_alu instid0(SALU_CYCLE_1) | instskip(NEXT) | instid1(SALU_CYCLE_1)
	s_add_co_i32 s10, s3, s10
	s_lshr_b32 s13, s10, s14
	s_delay_alu instid0(SALU_CYCLE_1) | instskip(SKIP_4) | instid1(SALU_CYCLE_1)
	s_mul_i32 s10, s13, s15
	s_lshl_b32 s13, s13, 3
	s_sub_co_i32 s12, s3, s10
	s_and_b32 s10, ttmp7, 0xffff
	s_lshl_b32 s3, s12, 1
	s_add_co_i32 s3, s3, s10
	s_wait_kmcnt 0x0
	s_cmp_lt_i32 s3, s8
	s_cselect_b32 s3, -1, 0
	s_add_co_i32 s13, s13, s11
	s_delay_alu instid0(SALU_CYCLE_1) | instskip(SKIP_1) | instid1(SALU_CYCLE_1)
	s_cmp_lt_i32 s13, s5
	s_cselect_b32 s14, -1, 0
	s_and_b32 s3, s3, s14
	s_delay_alu instid0(SALU_CYCLE_1)
	s_and_not1_b32 vcc_lo, exec_lo, s3
	s_cbranch_vccnz .LBB11_6
; %bb.1:
	s_mul_i32 s8, s2, s8
	s_mul_i32 s7, s7, s5
	s_add_co_i32 s8, s8, s10
	s_add_co_i32 s5, s13, s7
	s_mul_i32 s8, s8, s9
	s_load_b128 s[0:3], s[0:1], 0x0
	s_mul_i32 s7, s9, s12
	s_add_co_i32 s5, s5, s8
	s_mulk_i32 s7, 0xc0
	s_mulk_i32 s5, 0x60
	s_mul_i32 s8, s6, ttmp9
	v_add3_u32 v1, s5, s7, v0
	s_lshl_b32 s5, s10, 3
	s_add_co_i32 s9, s8, s6
	s_delay_alu instid0(SALU_CYCLE_1) | instskip(NEXT) | instid1(VALU_DEP_1)
	s_add_co_i32 s7, s9, -2
	v_ashrrev_i32_e32 v2, 31, v1
	s_delay_alu instid0(VALU_DEP_1) | instskip(SKIP_1) | instid1(VALU_DEP_1)
	v_lshlrev_b64_e32 v[1:2], 2, v[1:2]
	s_wait_kmcnt 0x0
	v_add_co_u32 v1, vcc_lo, s0, v1
	s_delay_alu instid0(VALU_DEP_1)
	v_add_co_ci_u32_e64 v2, null, s1, v2, vcc_lo
	s_wait_alu 0xfffe
	s_add_co_i32 s0, s5, s11
	s_lshl_b32 s1, s9, 4
	global_load_b32 v5, v[1:2], off
	s_wait_alu 0xfffe
	s_add_co_i32 s0, s0, s1
	s_wait_alu 0xfffe
	s_add_co_i32 s0, s0, -16
	s_wait_alu 0xfffe
	s_ashr_i32 s1, s0, 31
	s_wait_alu 0xfffe
	s_lshl_b64 s[0:1], s[0:1], 3
	s_cmp_lt_i32 s7, s8
	s_wait_alu 0xfffe
	s_add_nc_u64 s[0:1], s[2:3], s[0:1]
	s_load_b32 s12, s[0:1], 0x4
	s_cbranch_scc1 .LBB11_4
; %bb.2:
	s_load_b32 s0, s[0:1], 0x0
	s_add_co_i32 s1, ttmp9, 1
	s_mulk_i32 s10, 0x300
	s_wait_alu 0xfffe
	s_mul_i32 s1, s6, s1
	s_lshl_b32 s14, s4, 6
	s_wait_alu 0xfffe
	s_lshl_b32 s13, s1, 4
	s_mulk_i32 s1, 0x600
	s_add_co_i32 s13, s11, s13
	s_mulk_i32 s11, 0x60
	s_lshl_b32 s4, s4, 4
	s_add_co_i32 s10, s11, s10
	s_ashr_i32 s15, s14, 31
	s_wait_alu 0xfffe
	s_add_co_i32 s10, s10, s1
	s_add_co_i32 s1, s13, s4
	v_add3_u32 v3, s10, v0, 0xfffff400
	s_wait_kmcnt 0x0
	v_mov_b32_e32 v6, s12
	s_lshl_b64 s[6:7], s[14:15], 2
	s_wait_alu 0xfffe
	s_add_co_i32 s4, s1, s5
	s_add_nc_u64 s[6:7], s[2:3], s[6:7]
	s_add_co_i32 s1, s9, -1
	s_wait_alu 0xfffe
	s_sub_co_i32 s4, s4, 32
.LBB11_3:                               ; =>This Inner Loop Header: Depth=1
	v_ashrrev_i32_e32 v4, 31, v3
	s_wait_alu 0xfffe
	s_ashr_i32 s5, s4, 31
	v_mov_b32_e32 v10, v6
	s_wait_alu 0xfffe
	s_lshl_b64 s[10:11], s[4:5], 3
	s_wait_loadcnt 0x0
	v_mov_b32_e32 v9, v5
	v_lshlrev_b64_e32 v[7:8], 2, v[3:4]
	s_wait_alu 0xfffe
	s_add_nc_u64 s[10:11], s[2:3], s[10:11]
	v_max_num_f32_e64 v4, s0, s0
	s_load_b64 s[10:11], s[10:11], 0x0
	v_add_nc_u32_e32 v3, 0xfffffa00, v3
	v_add_co_u32 v7, vcc_lo, s6, v7
	s_wait_alu 0xfffd
	v_add_co_ci_u32_e64 v8, null, s7, v8, vcc_lo
	v_readfirstlane_b32 s5, v4
	global_load_b32 v0, v[7:8], off
	s_wait_kmcnt 0x0
	v_max_num_f32_e64 v4, s10, s10
	s_delay_alu instid0(VALU_DEP_1) | instskip(SKIP_2) | instid1(SALU_CYCLE_2)
	v_readfirstlane_b32 s9, v4
	s_max_num_f32 s5, s5, s9
	s_wait_alu 0xfffe
	s_sub_f32 s0, s0, s5
	s_sub_f32 s9, s10, s5
	s_wait_alu 0xfffe
	s_delay_alu instid0(SALU_CYCLE_1) | instskip(NEXT) | instid1(SALU_CYCLE_1)
	s_mul_f32 s10, s0, 0x3fb8aa3b
	s_mul_f32 s12, s9, 0x3fb8aa3b
	s_wait_alu 0xfffe
	s_delay_alu instid0(SALU_CYCLE_1)
	s_xor_b32 s13, s10, 0x80000000
	s_rndne_f32 s14, s10
	s_wait_alu 0xfffe
	s_fmamk_f32 s13, s0, 0x3fb8aa3b, s13
	s_cmp_nlt_f32 s0, 0xc2ce8ed0
	s_rndne_f32 s15, s12
	s_sub_f32 s10, s10, s14
	s_wait_alu 0xfffe
	s_fmamk_f32 s13, s0, 0x32a5705f, s13
	s_cvt_i32_f32 s14, s14
	s_cselect_b32 vcc_lo, -1, 0
	s_cmp_ngt_f32 s0, 0x42b17218
	s_wait_alu 0xfffe
	s_add_f32 s10, s10, s13
	s_sub_f32 s13, s12, s15
	s_wait_alu 0xfffe
	s_delay_alu instid0(SALU_CYCLE_1) | instskip(SKIP_1) | instid1(TRANS32_DEP_1)
	v_s_exp_f32 s10, s10
	s_wait_alu 0xf1ff
	v_ldexp_f32 v4, s10, s14
	s_cvt_i32_f32 s10, s15
	s_delay_alu instid0(VALU_DEP_1) | instskip(SKIP_3) | instid1(VALU_DEP_1)
	v_cndmask_b32_e32 v4, 0, v4, vcc_lo
	s_cselect_b32 vcc_lo, -1, 0
	s_cmp_ge_f32 s0, 0xc1a00000
	s_wait_alu 0xfffe
	v_cndmask_b32_e32 v4, 0x7f800000, v4, vcc_lo
	s_cselect_b32 vcc_lo, -1, 0
	s_xor_b32 s0, s12, 0x80000000
	s_cmp_nlt_f32 s9, 0xc2ce8ed0
	s_wait_alu 0xfffe
	s_fmamk_f32 s0, s9, 0x3fb8aa3b, s0
	s_wait_alu 0xfffe
	s_delay_alu instid0(SALU_CYCLE_2) | instskip(SKIP_1) | instid1(SALU_CYCLE_2)
	s_fmamk_f32 s0, s9, 0x32a5705f, s0
	s_wait_alu 0xfffe
	s_add_f32 s0, s13, s0
	s_wait_alu 0xfffe
	s_delay_alu instid0(SALU_CYCLE_2) | instskip(SKIP_1) | instid1(TRANS32_DEP_1)
	v_s_exp_f32 s0, s0
	s_wait_alu 0xf1ff
	v_ldexp_f32 v7, s0, s10
	s_cselect_b32 s0, -1, 0
	s_cmp_ngt_f32 s9, 0x42b17218
	s_wait_alu 0xfffe
	s_delay_alu instid0(VALU_DEP_1) | instskip(SKIP_3) | instid1(VALU_DEP_1)
	v_cndmask_b32_e64 v7, 0, v7, s0
	s_cselect_b32 s0, -1, 0
	s_cmp_ge_f32 s9, 0xc1a00000
	s_wait_alu 0xfffe
	v_cndmask_b32_e64 v7, 0x7f800000, v7, s0
	s_cselect_b32 s0, -1, 0
	s_add_co_i32 s1, s1, -1
	s_add_co_i32 s4, s4, -16
	s_wait_alu 0xfffe
	s_cmp_le_i32 s1, s8
	v_cndmask_b32_e64 v7, 0, v7, s0
	s_mov_b32 s0, s5
	s_wait_loadcnt 0x0
	s_delay_alu instid0(VALU_DEP_1) | instskip(NEXT) | instid1(VALU_DEP_1)
	v_dual_mul_f32 v5, v0, v7 :: v_dual_cndmask_b32 v4, 0, v4
	v_dual_mul_f32 v8, s11, v7 :: v_dual_fmac_f32 v5, v9, v4
	s_delay_alu instid0(VALU_DEP_1) | instskip(NEXT) | instid1(VALU_DEP_1)
	v_mov_b32_e32 v6, v8
	v_fmac_f32_e32 v6, v10, v4
	s_cbranch_scc0 .LBB11_3
	s_branch .LBB11_5
.LBB11_4:
	s_wait_kmcnt 0x0
	v_mov_b32_e32 v6, s12
.LBB11_5:
	s_wait_loadcnt 0x0
	s_delay_alu instid0(VALU_DEP_1) | instskip(NEXT) | instid1(VALU_DEP_1)
	v_div_scale_f32 v0, null, v6, v6, v5
	v_rcp_f32_e32 v3, v0
	s_delay_alu instid0(TRANS32_DEP_1) | instskip(NEXT) | instid1(VALU_DEP_1)
	v_fma_f32 v4, -v0, v3, 1.0
	v_fmac_f32_e32 v3, v4, v3
	v_div_scale_f32 v4, vcc_lo, v5, v6, v5
	s_delay_alu instid0(VALU_DEP_1) | instskip(NEXT) | instid1(VALU_DEP_1)
	v_mul_f32_e32 v7, v4, v3
	v_fma_f32 v8, -v0, v7, v4
	s_delay_alu instid0(VALU_DEP_1) | instskip(NEXT) | instid1(VALU_DEP_1)
	v_fmac_f32_e32 v7, v8, v3
	v_fma_f32 v0, -v0, v7, v4
	s_wait_alu 0xfffd
	s_delay_alu instid0(VALU_DEP_1) | instskip(NEXT) | instid1(VALU_DEP_1)
	v_div_fmas_f32 v0, v0, v3, v7
	v_div_fixup_f32 v0, v0, v6, v5
	global_store_b32 v[1:2], v0, off
.LBB11_6:
	s_endpgm
	.section	.rodata,"a",@progbits
	.p2align	6, 0x0
	.amdhsa_kernel _ZL33flash_attn_stream_k_fixup_uniformILi96ELi2ELi8EEvPfPK15HIP_vector_typeIfLj2EEiiiiiiS1_IjLj3EES5_S5_
		.amdhsa_group_segment_fixed_size 0
		.amdhsa_private_segment_fixed_size 0
		.amdhsa_kernarg_size 76
		.amdhsa_user_sgpr_count 2
		.amdhsa_user_sgpr_dispatch_ptr 0
		.amdhsa_user_sgpr_queue_ptr 0
		.amdhsa_user_sgpr_kernarg_segment_ptr 1
		.amdhsa_user_sgpr_dispatch_id 0
		.amdhsa_user_sgpr_private_segment_size 0
		.amdhsa_wavefront_size32 1
		.amdhsa_uses_dynamic_stack 0
		.amdhsa_enable_private_segment 0
		.amdhsa_system_sgpr_workgroup_id_x 1
		.amdhsa_system_sgpr_workgroup_id_y 1
		.amdhsa_system_sgpr_workgroup_id_z 1
		.amdhsa_system_sgpr_workgroup_info 0
		.amdhsa_system_vgpr_workitem_id 0
		.amdhsa_next_free_vgpr 11
		.amdhsa_next_free_sgpr 16
		.amdhsa_reserve_vcc 1
		.amdhsa_float_round_mode_32 0
		.amdhsa_float_round_mode_16_64 0
		.amdhsa_float_denorm_mode_32 3
		.amdhsa_float_denorm_mode_16_64 3
		.amdhsa_fp16_overflow 0
		.amdhsa_workgroup_processor_mode 1
		.amdhsa_memory_ordered 1
		.amdhsa_forward_progress 1
		.amdhsa_inst_pref_size 9
		.amdhsa_round_robin_scheduling 0
		.amdhsa_exception_fp_ieee_invalid_op 0
		.amdhsa_exception_fp_denorm_src 0
		.amdhsa_exception_fp_ieee_div_zero 0
		.amdhsa_exception_fp_ieee_overflow 0
		.amdhsa_exception_fp_ieee_underflow 0
		.amdhsa_exception_fp_ieee_inexact 0
		.amdhsa_exception_int_div_zero 0
	.end_amdhsa_kernel
	.section	.text._ZL33flash_attn_stream_k_fixup_uniformILi96ELi2ELi8EEvPfPK15HIP_vector_typeIfLj2EEiiiiiiS1_IjLj3EES5_S5_,"axG",@progbits,_ZL33flash_attn_stream_k_fixup_uniformILi96ELi2ELi8EEvPfPK15HIP_vector_typeIfLj2EEiiiiiiS1_IjLj3EES5_S5_,comdat
.Lfunc_end11:
	.size	_ZL33flash_attn_stream_k_fixup_uniformILi96ELi2ELi8EEvPfPK15HIP_vector_typeIfLj2EEiiiiiiS1_IjLj3EES5_S5_, .Lfunc_end11-_ZL33flash_attn_stream_k_fixup_uniformILi96ELi2ELi8EEvPfPK15HIP_vector_typeIfLj2EEiiiiiiS1_IjLj3EES5_S5_
                                        ; -- End function
	.set _ZL33flash_attn_stream_k_fixup_uniformILi96ELi2ELi8EEvPfPK15HIP_vector_typeIfLj2EEiiiiiiS1_IjLj3EES5_S5_.num_vgpr, 11
	.set _ZL33flash_attn_stream_k_fixup_uniformILi96ELi2ELi8EEvPfPK15HIP_vector_typeIfLj2EEiiiiiiS1_IjLj3EES5_S5_.num_agpr, 0
	.set _ZL33flash_attn_stream_k_fixup_uniformILi96ELi2ELi8EEvPfPK15HIP_vector_typeIfLj2EEiiiiiiS1_IjLj3EES5_S5_.numbered_sgpr, 16
	.set _ZL33flash_attn_stream_k_fixup_uniformILi96ELi2ELi8EEvPfPK15HIP_vector_typeIfLj2EEiiiiiiS1_IjLj3EES5_S5_.num_named_barrier, 0
	.set _ZL33flash_attn_stream_k_fixup_uniformILi96ELi2ELi8EEvPfPK15HIP_vector_typeIfLj2EEiiiiiiS1_IjLj3EES5_S5_.private_seg_size, 0
	.set _ZL33flash_attn_stream_k_fixup_uniformILi96ELi2ELi8EEvPfPK15HIP_vector_typeIfLj2EEiiiiiiS1_IjLj3EES5_S5_.uses_vcc, 1
	.set _ZL33flash_attn_stream_k_fixup_uniformILi96ELi2ELi8EEvPfPK15HIP_vector_typeIfLj2EEiiiiiiS1_IjLj3EES5_S5_.uses_flat_scratch, 0
	.set _ZL33flash_attn_stream_k_fixup_uniformILi96ELi2ELi8EEvPfPK15HIP_vector_typeIfLj2EEiiiiiiS1_IjLj3EES5_S5_.has_dyn_sized_stack, 0
	.set _ZL33flash_attn_stream_k_fixup_uniformILi96ELi2ELi8EEvPfPK15HIP_vector_typeIfLj2EEiiiiiiS1_IjLj3EES5_S5_.has_recursion, 0
	.set _ZL33flash_attn_stream_k_fixup_uniformILi96ELi2ELi8EEvPfPK15HIP_vector_typeIfLj2EEiiiiiiS1_IjLj3EES5_S5_.has_indirect_call, 0
	.section	.AMDGPU.csdata,"",@progbits
; Kernel info:
; codeLenInByte = 1148
; TotalNumSgprs: 18
; NumVgprs: 11
; ScratchSize: 0
; MemoryBound: 0
; FloatMode: 240
; IeeeMode: 1
; LDSByteSize: 0 bytes/workgroup (compile time only)
; SGPRBlocks: 0
; VGPRBlocks: 1
; NumSGPRsForWavesPerEU: 18
; NumVGPRsForWavesPerEU: 11
; Occupancy: 16
; WaveLimiterHint : 0
; COMPUTE_PGM_RSRC2:SCRATCH_EN: 0
; COMPUTE_PGM_RSRC2:USER_SGPR: 2
; COMPUTE_PGM_RSRC2:TRAP_HANDLER: 0
; COMPUTE_PGM_RSRC2:TGID_X_EN: 1
; COMPUTE_PGM_RSRC2:TGID_Y_EN: 1
; COMPUTE_PGM_RSRC2:TGID_Z_EN: 1
; COMPUTE_PGM_RSRC2:TIDIG_COMP_CNT: 0
	.section	.text._ZL33flash_attn_stream_k_fixup_generalILi96ELi2ELi8EEvPfPK15HIP_vector_typeIfLj2EEiiiiS1_IjLj3EES5_S5_S5_,"axG",@progbits,_ZL33flash_attn_stream_k_fixup_generalILi96ELi2ELi8EEvPfPK15HIP_vector_typeIfLj2EEiiiiS1_IjLj3EES5_S5_S5_,comdat
	.globl	_ZL33flash_attn_stream_k_fixup_generalILi96ELi2ELi8EEvPfPK15HIP_vector_typeIfLj2EEiiiiS1_IjLj3EES5_S5_S5_ ; -- Begin function _ZL33flash_attn_stream_k_fixup_generalILi96ELi2ELi8EEvPfPK15HIP_vector_typeIfLj2EEiiiiS1_IjLj3EES5_S5_S5_
	.p2align	8
	.type	_ZL33flash_attn_stream_k_fixup_generalILi96ELi2ELi8EEvPfPK15HIP_vector_typeIfLj2EEiiiiS1_IjLj3EES5_S5_S5_,@function
_ZL33flash_attn_stream_k_fixup_generalILi96ELi2ELi8EEvPfPK15HIP_vector_typeIfLj2EEiiiiS1_IjLj3EES5_S5_S5_: ; @_ZL33flash_attn_stream_k_fixup_generalILi96ELi2ELi8EEvPfPK15HIP_vector_typeIfLj2EEiiiiS1_IjLj3EES5_S5_S5_
; %bb.0:
	s_clause 0x1
	s_load_b128 s[4:7], s[0:1], 0x10
	s_load_b32 s16, s[0:1], 0x50
	s_mov_b32 s2, ttmp9
	s_ashr_i32 s3, ttmp9, 31
	s_mov_b32 s17, 0
	s_delay_alu instid0(SALU_CYCLE_1) | instskip(SKIP_3) | instid1(SALU_CYCLE_1)
	s_mov_b32 s8, s17
	s_wait_kmcnt 0x0
	s_ashr_i32 s19, s7, 31
	s_mov_b32 s18, s7
	s_mul_u64 s[2:3], s[18:19], s[2:3]
	s_delay_alu instid0(SALU_CYCLE_1) | instskip(NEXT) | instid1(SALU_CYCLE_1)
	s_mov_b32 s9, s3
	s_cmp_lg_u64 s[8:9], 0
	s_cbranch_scc0 .LBB12_21
; %bb.1:
	s_add_nc_u64 s[8:9], s[16:17], 0
	s_mov_b32 s15, s17
	s_xor_b64 s[8:9], s[8:9], 0
	s_mov_b32 s23, s17
	s_cvt_f32_u32 s7, s8
	s_cvt_f32_u32 s10, s9
	s_sub_nc_u64 s[12:13], 0, s[8:9]
	s_delay_alu instid0(SALU_CYCLE_2) | instskip(NEXT) | instid1(SALU_CYCLE_3)
	s_fmamk_f32 s7, s10, 0x4f800000, s7
	v_s_rcp_f32 s7, s7
	s_delay_alu instid0(TRANS32_DEP_1) | instskip(SKIP_1) | instid1(SALU_CYCLE_2)
	s_mul_f32 s7, s7, 0x5f7ffffc
	s_wait_alu 0xfffe
	s_mul_f32 s10, s7, 0x2f800000
	s_delay_alu instid0(SALU_CYCLE_3) | instskip(NEXT) | instid1(SALU_CYCLE_3)
	s_trunc_f32 s10, s10
	s_fmamk_f32 s7, s10, 0xcf800000, s7
	s_cvt_u32_f32 s11, s10
	s_wait_alu 0xfffe
	s_delay_alu instid0(SALU_CYCLE_1) | instskip(NEXT) | instid1(SALU_CYCLE_3)
	s_cvt_u32_f32 s10, s7
	s_mul_u64 s[20:21], s[12:13], s[10:11]
	s_delay_alu instid0(SALU_CYCLE_1)
	s_mul_hi_u32 s25, s10, s21
	s_mul_i32 s24, s10, s21
	s_mul_hi_u32 s14, s10, s20
	s_mul_i32 s22, s11, s20
	s_add_nc_u64 s[14:15], s[14:15], s[24:25]
	s_mul_hi_u32 s7, s11, s20
	s_mul_hi_u32 s26, s11, s21
	s_add_co_u32 s14, s14, s22
	s_wait_alu 0xfffe
	s_add_co_ci_u32 s22, s15, s7
	s_mul_i32 s20, s11, s21
	s_add_co_ci_u32 s21, s26, 0
	s_delay_alu instid0(SALU_CYCLE_1)
	s_add_nc_u64 s[14:15], s[22:23], s[20:21]
	s_mov_b32 s21, s17
	s_add_co_u32 s10, s10, s14
	s_cselect_b32 s7, -1, 0
	s_wait_alu 0xfffe
	s_cmp_lg_u32 s7, 0
	s_add_co_ci_u32 s11, s11, s15
	s_mov_b32 s15, s17
	s_mul_u64 s[12:13], s[12:13], s[10:11]
	s_delay_alu instid0(SALU_CYCLE_1)
	s_mul_hi_u32 s23, s10, s13
	s_mul_i32 s22, s10, s13
	s_mul_hi_u32 s14, s10, s12
	s_mul_i32 s20, s11, s12
	s_add_nc_u64 s[14:15], s[14:15], s[22:23]
	s_mul_hi_u32 s7, s11, s12
	s_mul_hi_u32 s24, s11, s13
	s_mul_i32 s12, s11, s13
	s_add_co_u32 s13, s14, s20
	s_wait_alu 0xfffe
	s_add_co_ci_u32 s20, s15, s7
	s_add_co_ci_u32 s13, s24, 0
	s_mov_b32 s15, s17
	s_add_nc_u64 s[12:13], s[20:21], s[12:13]
	s_delay_alu instid0(SALU_CYCLE_1) | instskip(SKIP_1) | instid1(SALU_CYCLE_1)
	s_add_co_u32 s7, s10, s12
	s_cselect_b32 s10, -1, 0
	s_cmp_lg_u32 s10, 0
	s_add_co_ci_u32 s20, s11, s13
	s_ashr_i32 s10, s3, 31
	s_delay_alu instid0(SALU_CYCLE_1) | instskip(NEXT) | instid1(SALU_CYCLE_1)
	s_mov_b32 s11, s10
	s_add_nc_u64 s[12:13], s[2:3], s[10:11]
	s_delay_alu instid0(SALU_CYCLE_1) | instskip(NEXT) | instid1(SALU_CYCLE_1)
	s_xor_b64 s[12:13], s[12:13], s[10:11]
	s_mul_hi_u32 s23, s12, s20
	s_mul_i32 s22, s12, s20
	s_wait_alu 0xfffe
	s_mul_hi_u32 s14, s12, s7
	s_mul_hi_u32 s24, s13, s7
	s_mul_i32 s7, s13, s7
	s_add_nc_u64 s[14:15], s[14:15], s[22:23]
	s_mul_hi_u32 s3, s13, s20
	s_wait_alu 0xfffe
	s_add_co_u32 s7, s14, s7
	s_mul_i32 s22, s13, s20
	s_add_co_ci_u32 s20, s15, s24
	s_add_co_ci_u32 s23, s3, 0
	s_delay_alu instid0(SALU_CYCLE_1) | instskip(NEXT) | instid1(SALU_CYCLE_1)
	s_add_nc_u64 s[14:15], s[20:21], s[22:23]
	s_mul_u64 s[20:21], s[8:9], s[14:15]
	s_delay_alu instid0(SALU_CYCLE_1)
	s_sub_co_u32 s3, s12, s20
	s_cselect_b32 s7, -1, 0
	s_sub_co_i32 s12, s13, s21
	s_wait_alu 0xfffe
	s_cmp_lg_u32 s7, 0
	s_sub_co_ci_u32 s12, s12, s9
	s_sub_co_u32 s20, s3, s8
	s_cselect_b32 s22, -1, 0
	s_delay_alu instid0(SALU_CYCLE_1) | instskip(SKIP_2) | instid1(SALU_CYCLE_1)
	s_cmp_lg_u32 s22, 0
	s_add_nc_u64 s[22:23], s[14:15], 1
	s_sub_co_ci_u32 s12, s12, 0
	s_cmp_ge_u32 s12, s9
	s_cselect_b32 s24, -1, 0
	s_cmp_ge_u32 s20, s8
	s_cselect_b32 s20, -1, 0
	s_cmp_eq_u32 s12, s9
	s_cselect_b32 s12, s20, s24
	s_add_nc_u64 s[24:25], s[14:15], 2
	s_cmp_lg_u32 s12, 0
	s_cselect_b32 s12, s24, s22
	s_cselect_b32 s20, s25, s23
	s_cmp_lg_u32 s7, 0
	s_sub_co_ci_u32 s7, s13, s21
	s_wait_alu 0xfffe
	s_cmp_ge_u32 s7, s9
	s_cselect_b32 s13, -1, 0
	s_cmp_ge_u32 s3, s8
	s_cselect_b32 s3, -1, 0
	s_cmp_eq_u32 s7, s9
	s_cselect_b32 s3, s3, s13
	s_delay_alu instid0(SALU_CYCLE_1) | instskip(SKIP_4) | instid1(SALU_CYCLE_1)
	s_cmp_lg_u32 s3, 0
	s_mov_b32 s3, s17
	s_cselect_b32 s9, s20, s15
	s_cselect_b32 s8, s12, s14
	s_xor_b64 s[10:11], s[10:11], 0
	s_xor_b64 s[8:9], s[8:9], s[10:11]
	s_delay_alu instid0(SALU_CYCLE_1)
	s_sub_nc_u64 s[20:21], s[8:9], s[10:11]
	s_and_not1_b32 vcc_lo, exec_lo, s3
	s_cbranch_vccnz .LBB12_3
.LBB12_2:
	v_cvt_f32_u32_e32 v1, s16
	s_sub_co_i32 s7, 0, s16
	s_delay_alu instid0(VALU_DEP_1) | instskip(NEXT) | instid1(TRANS32_DEP_1)
	v_rcp_iflag_f32_e32 v1, v1
	v_mul_f32_e32 v1, 0x4f7ffffe, v1
	s_delay_alu instid0(VALU_DEP_1) | instskip(NEXT) | instid1(VALU_DEP_1)
	v_cvt_u32_f32_e32 v1, v1
	v_readfirstlane_b32 s3, v1
	s_wait_alu 0xfffe
	s_mul_i32 s7, s7, s3
	s_wait_alu 0xfffe
	s_mul_hi_u32 s7, s3, s7
	s_wait_alu 0xfffe
	s_add_co_i32 s3, s3, s7
	s_delay_alu instid0(SALU_CYCLE_1) | instskip(NEXT) | instid1(SALU_CYCLE_1)
	s_mul_hi_u32 s3, s2, s3
	s_mul_i32 s7, s3, s16
	s_wait_alu 0xfffe
	s_sub_co_i32 s2, s2, s7
	s_add_co_i32 s7, s3, 1
	s_sub_co_i32 s8, s2, s16
	s_cmp_ge_u32 s2, s16
	s_wait_alu 0xfffe
	s_cselect_b32 s3, s7, s3
	s_cselect_b32 s2, s8, s2
	s_add_co_i32 s7, s3, 1
	s_cmp_ge_u32 s2, s16
	s_wait_alu 0xfffe
	s_cselect_b32 s20, s7, s3
.LBB12_3:
	s_add_co_i32 s2, ttmp9, 1
	s_mov_b32 s8, 0
	s_ashr_i32 s3, s2, 31
	s_delay_alu instid0(SALU_CYCLE_1) | instskip(NEXT) | instid1(SALU_CYCLE_1)
	s_mul_u64 s[2:3], s[18:19], s[2:3]
	s_mov_b32 s9, s3
	s_delay_alu instid0(SALU_CYCLE_1)
	s_cmp_lg_u64 s[8:9], 0
	s_cbranch_scc0 .LBB12_22
; %bb.4:
	s_add_nc_u64 s[10:11], s[16:17], 0
	s_mov_b32 s23, s8
	s_xor_b64 s[10:11], s[10:11], 0
	s_mov_b32 s27, s8
	s_cvt_f32_u32 s7, s10
	s_cvt_f32_u32 s9, s11
	s_sub_nc_u64 s[14:15], 0, s[10:11]
	s_wait_alu 0xfffe
	s_delay_alu instid0(SALU_CYCLE_1) | instskip(SKIP_1) | instid1(SALU_CYCLE_2)
	s_fmamk_f32 s7, s9, 0x4f800000, s7
	s_wait_alu 0xfffe
	v_s_rcp_f32 s7, s7
	s_delay_alu instid0(TRANS32_DEP_1) | instskip(SKIP_1) | instid1(SALU_CYCLE_2)
	s_mul_f32 s7, s7, 0x5f7ffffc
	s_wait_alu 0xfffe
	s_mul_f32 s9, s7, 0x2f800000
	s_delay_alu instid0(SALU_CYCLE_3) | instskip(NEXT) | instid1(SALU_CYCLE_3)
	s_trunc_f32 s9, s9
	s_fmamk_f32 s7, s9, 0xcf800000, s7
	s_cvt_u32_f32 s13, s9
	s_wait_alu 0xfffe
	s_delay_alu instid0(SALU_CYCLE_1) | instskip(NEXT) | instid1(SALU_CYCLE_3)
	s_cvt_u32_f32 s12, s7
	s_mul_u64 s[24:25], s[14:15], s[12:13]
	s_delay_alu instid0(SALU_CYCLE_1)
	s_mul_hi_u32 s29, s12, s25
	s_mul_i32 s28, s12, s25
	s_mul_hi_u32 s22, s12, s24
	s_mul_i32 s9, s13, s24
	s_add_nc_u64 s[22:23], s[22:23], s[28:29]
	s_mul_hi_u32 s7, s13, s24
	s_mul_hi_u32 s21, s13, s25
	s_add_co_u32 s9, s22, s9
	s_wait_alu 0xfffe
	s_add_co_ci_u32 s26, s23, s7
	s_mul_i32 s24, s13, s25
	s_add_co_ci_u32 s25, s21, 0
	s_delay_alu instid0(SALU_CYCLE_1)
	s_add_nc_u64 s[22:23], s[26:27], s[24:25]
	s_mov_b32 s25, s8
	s_add_co_u32 s12, s12, s22
	s_cselect_b32 s7, -1, 0
	s_wait_alu 0xfffe
	s_cmp_lg_u32 s7, 0
	s_add_co_ci_u32 s13, s13, s23
	s_mov_b32 s23, s8
	s_mul_u64 s[14:15], s[14:15], s[12:13]
	s_delay_alu instid0(SALU_CYCLE_1)
	s_mul_hi_u32 s27, s12, s15
	s_mul_i32 s26, s12, s15
	s_mul_hi_u32 s22, s12, s14
	s_mul_i32 s9, s13, s14
	s_add_nc_u64 s[22:23], s[22:23], s[26:27]
	s_mul_hi_u32 s7, s13, s14
	s_mul_hi_u32 s21, s13, s15
	s_add_co_u32 s9, s22, s9
	s_wait_alu 0xfffe
	s_add_co_ci_u32 s24, s23, s7
	s_mul_i32 s14, s13, s15
	s_add_co_ci_u32 s15, s21, 0
	s_mov_b32 s23, s8
	s_add_nc_u64 s[14:15], s[24:25], s[14:15]
	s_delay_alu instid0(SALU_CYCLE_1) | instskip(SKIP_1) | instid1(SALU_CYCLE_1)
	s_add_co_u32 s7, s12, s14
	s_cselect_b32 s9, -1, 0
	s_cmp_lg_u32 s9, 0
	s_add_co_ci_u32 s9, s13, s15
	s_ashr_i32 s12, s3, 31
	s_delay_alu instid0(SALU_CYCLE_1) | instskip(NEXT) | instid1(SALU_CYCLE_1)
	s_mov_b32 s13, s12
	s_add_nc_u64 s[14:15], s[2:3], s[12:13]
	s_delay_alu instid0(SALU_CYCLE_1) | instskip(NEXT) | instid1(SALU_CYCLE_1)
	s_xor_b64 s[14:15], s[14:15], s[12:13]
	s_mul_hi_u32 s27, s14, s9
	s_mul_i32 s26, s14, s9
	s_wait_alu 0xfffe
	s_mul_hi_u32 s22, s14, s7
	s_mul_hi_u32 s21, s15, s7
	s_mul_i32 s7, s15, s7
	s_add_nc_u64 s[22:23], s[22:23], s[26:27]
	s_mul_hi_u32 s3, s15, s9
	s_wait_alu 0xfffe
	s_add_co_u32 s7, s22, s7
	s_add_co_ci_u32 s24, s23, s21
	s_mul_i32 s26, s15, s9
	s_add_co_ci_u32 s27, s3, 0
	s_delay_alu instid0(SALU_CYCLE_1) | instskip(NEXT) | instid1(SALU_CYCLE_1)
	s_add_nc_u64 s[22:23], s[24:25], s[26:27]
	s_mul_u64 s[24:25], s[10:11], s[22:23]
	s_add_nc_u64 s[26:27], s[22:23], 1
	s_sub_co_u32 s3, s14, s24
	s_cselect_b32 s7, -1, 0
	s_sub_co_i32 s9, s15, s25
	s_wait_alu 0xfffe
	s_cmp_lg_u32 s7, 0
	s_add_nc_u64 s[28:29], s[22:23], 2
	s_sub_co_ci_u32 s9, s9, s11
	s_sub_co_u32 s14, s3, s10
	s_cselect_b32 s21, -1, 0
	s_delay_alu instid0(SALU_CYCLE_1) | instskip(SKIP_1) | instid1(SALU_CYCLE_1)
	s_cmp_lg_u32 s21, 0
	s_sub_co_ci_u32 s9, s9, 0
	s_cmp_ge_u32 s9, s11
	s_cselect_b32 s21, -1, 0
	s_cmp_ge_u32 s14, s10
	s_cselect_b32 s14, -1, 0
	s_cmp_eq_u32 s9, s11
	s_cselect_b32 s9, s14, s21
	s_delay_alu instid0(SALU_CYCLE_1)
	s_cmp_lg_u32 s9, 0
	s_cselect_b32 s9, s28, s26
	s_cselect_b32 s14, s29, s27
	s_cmp_lg_u32 s7, 0
	s_sub_co_ci_u32 s7, s15, s25
	s_wait_alu 0xfffe
	s_cmp_ge_u32 s7, s11
	s_cselect_b32 s15, -1, 0
	s_cmp_ge_u32 s3, s10
	s_cselect_b32 s3, -1, 0
	s_cmp_eq_u32 s7, s11
	s_cselect_b32 s3, s3, s15
	s_delay_alu instid0(SALU_CYCLE_1) | instskip(SKIP_3) | instid1(SALU_CYCLE_1)
	s_cmp_lg_u32 s3, 0
	s_cselect_b32 s11, s14, s23
	s_cselect_b32 s10, s9, s22
	s_xor_b64 s[12:13], s[12:13], 0
	s_xor_b64 s[10:11], s[10:11], s[12:13]
	s_delay_alu instid0(SALU_CYCLE_1)
	s_sub_nc_u64 s[10:11], s[10:11], s[12:13]
	s_load_b96 s[12:14], s[0:1], 0x44
	s_and_not1_b32 vcc_lo, exec_lo, s8
	s_cbranch_vccnz .LBB12_6
.LBB12_5:
	v_cvt_f32_u32_e32 v1, s16
	s_sub_co_i32 s7, 0, s16
	s_delay_alu instid0(VALU_DEP_1) | instskip(NEXT) | instid1(TRANS32_DEP_1)
	v_rcp_iflag_f32_e32 v1, v1
	v_mul_f32_e32 v1, 0x4f7ffffe, v1
	s_delay_alu instid0(VALU_DEP_1) | instskip(NEXT) | instid1(VALU_DEP_1)
	v_cvt_u32_f32_e32 v1, v1
	v_readfirstlane_b32 s3, v1
	s_wait_alu 0xfffe
	s_mul_i32 s7, s7, s3
	s_wait_alu 0xfffe
	s_mul_hi_u32 s7, s3, s7
	s_wait_alu 0xfffe
	s_add_co_i32 s3, s3, s7
	s_delay_alu instid0(SALU_CYCLE_1) | instskip(NEXT) | instid1(SALU_CYCLE_1)
	s_mul_hi_u32 s3, s2, s3
	s_mul_i32 s7, s3, s16
	s_wait_alu 0xfffe
	s_sub_co_i32 s2, s2, s7
	s_add_co_i32 s7, s3, 1
	s_sub_co_i32 s8, s2, s16
	s_cmp_ge_u32 s2, s16
	s_wait_alu 0xfffe
	s_cselect_b32 s3, s7, s3
	s_cselect_b32 s2, s8, s2
	s_add_co_i32 s7, s3, 1
	s_cmp_ge_u32 s2, s16
	s_wait_alu 0xfffe
	s_cselect_b32 s10, s7, s3
.LBB12_6:
	s_mov_b32 s21, 0
	s_wait_kmcnt 0x0
	s_mov_b32 s22, s12
	s_mov_b32 s23, s21
	s_cmp_eq_u32 s20, s10
	s_mul_u64 s[2:3], s[20:21], s[22:23]
	s_cselect_b32 s7, -1, 0
	s_add_co_i32 s2, s3, s20
	s_mov_b32 s11, s21
	s_lshr_b32 s12, s2, s13
	s_mul_u64 s[2:3], s[10:11], s[22:23]
	s_mul_i32 s2, s12, s14
	s_delay_alu instid0(SALU_CYCLE_1) | instskip(SKIP_2) | instid1(SALU_CYCLE_1)
	s_cmp_eq_u32 s2, s20
	s_cselect_b32 s2, -1, 0
	s_add_co_i32 s3, s3, s10
	s_lshr_b32 s3, s3, s13
	s_delay_alu instid0(SALU_CYCLE_1)
	s_cmp_eq_u32 s12, s3
	s_mul_i32 s3, s3, s14
	s_cselect_b32 s8, -1, 0
	s_cmp_lg_u32 s3, s10
	s_cselect_b32 s3, -1, 0
	s_wait_alu 0xfffe
	s_or_b32 s2, s7, s2
	s_and_b32 s3, s8, s3
	s_delay_alu instid0(SALU_CYCLE_1) | instskip(NEXT) | instid1(SALU_CYCLE_1)
	s_or_b32 s2, s2, s3
	s_and_b32 vcc_lo, exec_lo, s2
	s_cbranch_vccnz .LBB12_24
; %bb.7:
	s_load_b256 s[24:31], s[0:1], 0x20
	s_mov_b32 s3, s21
	s_wait_kmcnt 0x0
	s_mov_b32 s2, s24
	s_delay_alu instid0(SALU_CYCLE_1) | instskip(NEXT) | instid1(SALU_CYCLE_1)
	s_mul_u64 s[2:3], s[20:21], s[2:3]
	s_add_co_i32 s2, s3, s20
	s_delay_alu instid0(SALU_CYCLE_1) | instskip(SKIP_2) | instid1(SALU_CYCLE_1)
	s_lshr_b32 s7, s2, s25
	s_load_b32 s2, s[0:1], 0x40
	s_mul_i32 s3, s7, s26
	s_sub_co_i32 s3, s20, s3
	s_delay_alu instid0(SALU_CYCLE_1) | instskip(NEXT) | instid1(SALU_CYCLE_1)
	s_mul_hi_u32 s8, s3, s27
	s_add_co_i32 s8, s3, s8
	s_delay_alu instid0(SALU_CYCLE_1) | instskip(NEXT) | instid1(SALU_CYCLE_1)
	s_lshr_b32 s15, s8, s28
	s_mul_i32 s8, s15, s29
	s_delay_alu instid0(SALU_CYCLE_1) | instskip(NEXT) | instid1(SALU_CYCLE_1)
	s_sub_co_i32 s8, s3, s8
	s_mul_hi_u32 s3, s8, s30
	s_delay_alu instid0(SALU_CYCLE_1) | instskip(NEXT) | instid1(SALU_CYCLE_1)
	s_add_co_i32 s3, s8, s3
	s_lshr_b32 s10, s3, s31
	s_mov_b32 s3, s21
	s_wait_kmcnt 0x0
	s_mul_i32 s2, s10, s2
	s_lshl_b32 s24, s10, 3
	s_sub_co_i32 s2, s8, s2
	s_delay_alu instid0(SALU_CYCLE_1) | instskip(SKIP_2) | instid1(SALU_CYCLE_1)
	s_mul_u64 s[8:9], s[2:3], s[22:23]
	s_lshr_b32 s3, ttmp7, 16
	s_add_co_i32 s2, s2, s9
	s_lshr_b32 s21, s2, s13
	s_and_b32 s2, ttmp7, 0xffff
	s_lshl_b32 s8, s21, 1
	s_delay_alu instid0(SALU_CYCLE_1) | instskip(NEXT) | instid1(SALU_CYCLE_1)
	s_add_co_i32 s8, s8, s2
	s_cmp_lt_i32 s8, s4
	s_cselect_b32 s8, -1, 0
	s_add_co_i32 s24, s24, s3
	s_delay_alu instid0(SALU_CYCLE_1) | instskip(SKIP_1) | instid1(SALU_CYCLE_1)
	s_cmp_lt_i32 s24, s6
	s_cselect_b32 s9, -1, 0
	s_and_b32 s8, s8, s9
	s_delay_alu instid0(SALU_CYCLE_1)
	s_and_not1_b32 vcc_lo, exec_lo, s8
	s_cbranch_vccnz .LBB12_24
; %bb.8:
	s_mul_i32 s4, s7, s4
	s_load_b128 s[8:11], s[0:1], 0x0
	s_add_co_i32 s0, s4, s2
	s_mul_i32 s15, s15, s6
	s_mul_i32 s0, s0, s5
	s_add_co_i32 s1, s24, s15
	s_mul_i32 s4, s5, s21
	s_add_co_i32 s0, s1, s0
	s_mulk_i32 s4, 0xc0
	s_mulk_i32 s0, 0x60
	s_lshl_b32 s15, s2, 3
	v_add3_u32 v1, s4, s0, v0
	s_add_nc_u64 s[0:1], s[16:17], 0
	s_add_co_i32 s15, s15, s3
	s_wait_alu 0xfffe
	s_xor_b64 s[6:7], s[0:1], 0
	s_lshl_b32 s0, ttmp9, 4
	v_ashrrev_i32_e32 v2, 31, v1
	s_wait_alu 0xfffe
	s_cvt_f32_u32 s1, s6
	s_cvt_f32_u32 s2, s7
	s_add_co_i32 s0, s15, s0
	v_cvt_f32_u32_e32 v3, s16
	v_lshlrev_b64_e32 v[1:2], 2, v[1:2]
	s_wait_alu 0xfffe
	s_fmamk_f32 s2, s2, 0x4f800000, s1
	s_ashr_i32 s1, s0, 31
	s_add_co_i32 s34, ttmp9, -1
	s_wait_alu 0xfffe
	s_lshl_b64 s[0:1], s[0:1], 3
	v_s_rcp_f32 s2, s2
	s_wait_kmcnt 0x0
	v_add_co_u32 v1, vcc_lo, s8, v1
	s_delay_alu instid0(VALU_DEP_1)
	v_add_co_ci_u32_e64 v2, null, s9, v2, vcc_lo
	s_wait_alu 0xfffe
	s_add_nc_u64 s[0:1], s[10:11], s[0:1]
	v_rcp_iflag_f32_e32 v3, v3
	s_load_b64 s[26:27], s[0:1], 0x0
	global_load_b32 v5, v[1:2], off
	s_mul_f32 s2, s2, 0x5f7ffffc
	s_mov_b32 s8, 0
	s_lshl_b32 s0, s16, 6
	s_wait_alu 0xfffe
	s_mov_b32 s1, s8
	s_mul_f32 s3, s2, 0x2f800000
	s_wait_alu 0xfffe
	s_lshl_b64 s[0:1], s[0:1], 2
	s_sub_nc_u64 s[30:31], 0, s[6:7]
	v_mul_f32_e32 v6, 0x4f7ffffe, v3
	s_trunc_f32 s3, s3
	s_wait_alu 0xfffe
	s_add_nc_u64 s[24:25], s[10:11], s[0:1]
	v_mad_co_u64_u32 v[3:4], null, 0x60, s15, v[0:1]
	s_fmamk_f32 s0, s3, 0xcf800000, s2
	v_cvt_u32_f32_e32 v0, v6
	s_cvt_u32_f32 s29, s3
	s_wait_alu 0xfffe
	s_cvt_u32_f32 s28, s0
	s_wait_kmcnt 0x0
	v_mov_b32_e32 v4, s27
.LBB12_9:                               ; =>This Inner Loop Header: Depth=1
	s_wait_alu 0xfffe
	s_ashr_i32 s35, s34, 31
	s_mov_b32 s2, -1
	s_wait_alu 0xfffe
	s_mul_u64 s[0:1], s[34:35], s[18:19]
                                        ; implicit-def: $sgpr38_sgpr39
	s_wait_alu 0xfffe
	s_mov_b32 s9, s1
	s_wait_alu 0xfffe
	s_cmp_lg_u64 s[8:9], 0
	s_cbranch_scc0 .LBB12_11
; %bb.10:                               ;   in Loop: Header=BB12_9 Depth=1
	s_mul_u64 s[2:3], s[30:31], s[28:29]
	s_mov_b32 s37, s8
	s_wait_alu 0xfffe
	s_mul_hi_u32 s5, s28, s3
	s_mul_i32 s4, s28, s3
	s_mul_hi_u32 s36, s28, s2
	s_mul_hi_u32 s9, s29, s2
	s_wait_alu 0xfffe
	s_add_nc_u64 s[4:5], s[36:37], s[4:5]
	s_mul_i32 s2, s29, s2
	s_mul_hi_u32 s17, s29, s3
	s_wait_alu 0xfffe
	s_add_co_u32 s2, s4, s2
	s_add_co_ci_u32 s2, s5, s9
	s_add_co_ci_u32 s5, s17, 0
	s_mul_i32 s4, s29, s3
	s_mov_b32 s3, s8
	s_mov_b32 s39, s8
	s_wait_alu 0xfffe
	s_add_nc_u64 s[2:3], s[2:3], s[4:5]
	s_wait_alu 0xfffe
	s_add_co_u32 s2, s28, s2
	s_cselect_b32 s4, -1, 0
	s_wait_alu 0xfffe
	s_cmp_lg_u32 s4, 0
	s_add_co_ci_u32 s3, s29, s3
	s_wait_alu 0xfffe
	s_mul_u64 s[4:5], s[30:31], s[2:3]
	s_wait_alu 0xfffe
	s_mul_hi_u32 s37, s2, s5
	s_mul_i32 s36, s2, s5
	s_mul_hi_u32 s38, s2, s4
	s_mul_hi_u32 s9, s3, s4
	s_mul_i32 s4, s3, s4
	s_wait_alu 0xfffe
	s_add_nc_u64 s[36:37], s[38:39], s[36:37]
	s_mul_hi_u32 s17, s3, s5
	s_wait_alu 0xfffe
	s_add_co_u32 s4, s36, s4
	s_add_co_ci_u32 s4, s37, s9
	s_add_co_ci_u32 s37, s17, 0
	s_mul_i32 s36, s3, s5
	s_mov_b32 s5, s8
	s_wait_alu 0xfffe
	s_add_nc_u64 s[4:5], s[4:5], s[36:37]
	s_mov_b32 s37, s8
	s_wait_alu 0xfffe
	s_add_co_u32 s9, s2, s4
	s_cselect_b32 s2, -1, 0
	s_wait_alu 0xfffe
	s_cmp_lg_u32 s2, 0
	s_add_co_ci_u32 s17, s3, s5
	s_ashr_i32 s2, s1, 31
	s_wait_alu 0xfffe
	s_mov_b32 s3, s2
	s_wait_alu 0xfffe
	s_add_nc_u64 s[4:5], s[0:1], s[2:3]
	s_wait_alu 0xfffe
	s_xor_b64 s[4:5], s[4:5], s[2:3]
	s_wait_alu 0xfffe
	s_mul_hi_u32 s39, s4, s17
	s_mul_i32 s38, s4, s17
	s_mul_hi_u32 s36, s4, s9
	s_mul_i32 s21, s5, s9
	s_wait_alu 0xfffe
	s_add_nc_u64 s[36:37], s[36:37], s[38:39]
	s_mul_hi_u32 s9, s5, s9
	s_mul_hi_u32 s1, s5, s17
	s_wait_alu 0xfffe
	s_add_co_u32 s21, s36, s21
	s_add_co_ci_u32 s36, s37, s9
	s_add_co_ci_u32 s39, s1, 0
	s_mul_i32 s38, s5, s17
	s_mov_b32 s37, s8
	s_wait_alu 0xfffe
	s_add_nc_u64 s[36:37], s[36:37], s[38:39]
	s_wait_alu 0xfffe
	s_mul_u64 s[38:39], s[6:7], s[36:37]
	s_add_nc_u64 s[40:41], s[36:37], 1
	s_sub_co_u32 s1, s4, s38
	s_cselect_b32 s4, -1, 0
	s_sub_co_i32 s9, s5, s39
	s_wait_alu 0xfffe
	s_cmp_lg_u32 s4, 0
	s_add_nc_u64 s[42:43], s[36:37], 2
	s_sub_co_ci_u32 s9, s9, s7
	s_sub_co_u32 s17, s1, s6
	s_cselect_b32 s21, -1, 0
	s_delay_alu instid0(SALU_CYCLE_1)
	s_cmp_lg_u32 s21, 0
	s_wait_alu 0xfffe
	s_sub_co_ci_u32 s9, s9, 0
	s_wait_alu 0xfffe
	s_cmp_ge_u32 s9, s7
	s_cselect_b32 s21, -1, 0
	s_cmp_ge_u32 s17, s6
	s_cselect_b32 s17, -1, 0
	s_cmp_eq_u32 s9, s7
	s_wait_alu 0xfffe
	s_cselect_b32 s9, s17, s21
	s_wait_alu 0xfffe
	s_cmp_lg_u32 s9, 0
	s_cselect_b32 s9, s42, s40
	s_cselect_b32 s17, s43, s41
	s_cmp_lg_u32 s4, 0
	s_sub_co_ci_u32 s4, s5, s39
	s_wait_alu 0xfffe
	s_cmp_ge_u32 s4, s7
	s_cselect_b32 s5, -1, 0
	s_cmp_ge_u32 s1, s6
	s_cselect_b32 s1, -1, 0
	s_cmp_eq_u32 s4, s7
	s_wait_alu 0xfffe
	s_cselect_b32 s1, s1, s5
	s_wait_alu 0xfffe
	s_cmp_lg_u32 s1, 0
	s_cselect_b32 s5, s17, s37
	s_cselect_b32 s4, s9, s36
	s_xor_b64 s[2:3], s[2:3], 0
	s_wait_alu 0xfffe
	s_xor_b64 s[4:5], s[4:5], s[2:3]
	s_wait_alu 0xfffe
	s_sub_nc_u64 s[38:39], s[4:5], s[2:3]
	s_mov_b32 s2, 0
.LBB12_11:                              ;   in Loop: Header=BB12_9 Depth=1
	s_wait_alu 0xfffe
	s_and_not1_b32 vcc_lo, exec_lo, s2
	s_wait_alu 0xfffe
	s_cbranch_vccnz .LBB12_13
; %bb.12:                               ;   in Loop: Header=BB12_9 Depth=1
	v_readfirstlane_b32 s1, v0
	s_sub_co_i32 s2, 0, s16
	s_wait_alu 0xfffe
	s_mul_i32 s2, s2, s1
	s_wait_alu 0xfffe
	s_mul_hi_u32 s2, s1, s2
	s_wait_alu 0xfffe
	s_add_co_i32 s1, s1, s2
	s_wait_alu 0xfffe
	s_mul_hi_u32 s1, s0, s1
	s_wait_alu 0xfffe
	s_mul_i32 s2, s1, s16
	s_wait_alu 0xfffe
	s_sub_co_i32 s0, s0, s2
	s_add_co_i32 s2, s1, 1
	s_wait_alu 0xfffe
	s_sub_co_i32 s3, s0, s16
	s_cmp_ge_u32 s0, s16
	s_cselect_b32 s1, s2, s1
	s_wait_alu 0xfffe
	s_cselect_b32 s0, s3, s0
	s_add_co_i32 s2, s1, 1
	s_wait_alu 0xfffe
	s_cmp_ge_u32 s0, s16
	s_cselect_b32 s38, s2, s1
.LBB12_13:                              ;   in Loop: Header=BB12_9 Depth=1
	v_readfirstlane_b32 s9, v0
	s_cmp_lg_u32 s20, s38
	s_mov_b32 s0, -1
                                        ; implicit-def: $sgpr21
                                        ; implicit-def: $vgpr6
                                        ; implicit-def: $vgpr7
                                        ; implicit-def: $sgpr17
                                        ; implicit-def: $sgpr27
	s_cbranch_scc1 .LBB12_16
; %bb.14:                               ;   in Loop: Header=BB12_9 Depth=1
	s_wait_alu 0xfffe
	s_and_not1_b32 vcc_lo, exec_lo, s0
	s_wait_alu 0xfffe
	s_cbranch_vccz .LBB12_19
.LBB12_15:                              ;   in Loop: Header=BB12_9 Depth=1
	s_and_not1_b32 vcc_lo, exec_lo, s21
	s_wait_alu 0xfffe
	s_cbranch_vccnz .LBB12_20
	s_branch .LBB12_23
.LBB12_16:                              ;   in Loop: Header=BB12_9 Depth=1
	s_add_co_i32 s0, s34, s16
	s_mov_b32 s1, s8
	s_wait_alu 0xfffe
	s_lshl_b32 s0, s0, 4
	v_max_num_f32_e64 v6, s26, s26
	s_wait_alu 0xfffe
	s_add_co_i32 s0, s0, s15
	s_mov_b32 s39, s8
	s_wait_alu 0xfffe
	s_lshl_b64 s[0:1], s[0:1], 3
	s_mul_u64 s[40:41], s[38:39], s[22:23]
	s_wait_alu 0xfffe
	s_add_nc_u64 s[0:1], s[10:11], s[0:1]
	s_mov_b32 s27, s20
	s_load_b64 s[36:37], s[0:1], 0x0
	v_readfirstlane_b32 s0, v6
	s_wait_kmcnt 0x0
	v_max_num_f32_e64 v7, s36, s36
	s_delay_alu instid0(VALU_DEP_1) | instskip(SKIP_2) | instid1(SALU_CYCLE_2)
	v_readfirstlane_b32 s1, v7
	s_max_num_f32 s9, s0, s1
	s_wait_alu 0xfffe
	s_sub_f32 s33, s26, s9
	s_sub_f32 s35, s36, s9
	s_wait_alu 0xfffe
	s_delay_alu instid0(SALU_CYCLE_1)
	s_cmp_nlt_f32 s33, 0xc2ce8ed0
	s_cselect_b32 s0, -1, 0
	s_cmp_ngt_f32 s33, 0x42b17218
	s_cselect_b32 s1, -1, 0
	s_cmp_ge_f32 s33, 0xc1a00000
	s_cselect_b32 s2, -1, 0
	s_cmp_nlt_f32 s35, 0xc2ce8ed0
	s_cselect_b32 s3, -1, 0
	s_cmp_ngt_f32 s35, 0x42b17218
	s_cselect_b32 s4, -1, 0
	s_cmp_ge_f32 s35, 0xc1a00000
	s_cselect_b32 s5, -1, 0
	s_add_co_i32 s17, s41, s38
	s_wait_alu 0xfffe
	s_lshr_b32 s17, s17, s13
	s_wait_alu 0xfffe
	s_mul_i32 s21, s17, s14
	s_delay_alu instid0(SALU_CYCLE_1)
	s_cmp_eq_u32 s21, s38
	s_cselect_b32 s21, -1, 0
	s_cmp_lt_u32 s17, s12
	s_cselect_b32 s17, -1, 0
	s_wait_alu 0xfffe
	s_or_b32 s17, s17, s21
	s_mov_b32 s21, -1
	s_wait_alu 0xfffe
	s_and_b32 vcc_lo, exec_lo, s17
	s_mov_b32 s17, s34
	s_wait_alu 0xfffe
	s_cbranch_vccnz .LBB12_18
; %bb.17:                               ;   in Loop: Header=BB12_9 Depth=1
	s_add_co_i32 s17, s34, -1
	s_mov_b32 s21, 0
	s_mov_b32 s27, s38
.LBB12_18:                              ;   in Loop: Header=BB12_9 Depth=1
	v_mad_co_u64_u32 v[6:7], null, 0x600, s34, v[3:4]
	s_mul_f32 s36, s35, 0x3fb8aa3b
	s_mul_f32 s38, s33, 0x3fb8aa3b
	s_wait_alu 0xfffe
	s_delay_alu instid0(SALU_CYCLE_1)
	s_xor_b32 s39, s36, 0x80000000
	s_rndne_f32 s40, s36
	v_ashrrev_i32_e32 v7, 31, v6
	s_fmamk_f32 s39, s35, 0x3fb8aa3b, s39
	s_xor_b32 s41, s38, 0x80000000
	s_sub_f32 s36, s36, s40
	s_rndne_f32 s42, s38
	v_lshlrev_b64_e32 v[6:7], 2, v[6:7]
	s_fmamk_f32 s35, s35, 0x32a5705f, s39
	s_fmamk_f32 s39, s33, 0x3fb8aa3b, s41
	s_sub_f32 s38, s38, s42
	s_wait_alu 0xfffe
	s_add_f32 s35, s36, s35
	v_add_co_u32 v6, vcc_lo, s24, v6
	s_wait_alu 0xfffd
	v_add_co_ci_u32_e64 v7, null, s25, v7, vcc_lo
	s_fmamk_f32 s33, s33, 0x32a5705f, s39
	s_wait_alu 0xfffe
	v_s_exp_f32 s35, s35
	s_cvt_i32_f32 s36, s40
	global_load_b32 v6, v[6:7], off
	s_add_f32 s33, s38, s33
	s_wait_alu 0xfffe
	s_delay_alu instid0(SALU_CYCLE_2) | instskip(SKIP_2) | instid1(VALU_DEP_1)
	v_s_exp_f32 s33, s33
	v_ldexp_f32 v7, s35, s36
	s_cvt_i32_f32 s35, s42
	v_cndmask_b32_e64 v7, 0, v7, s3
	s_wait_alu 0xf1fe
	s_delay_alu instid0(TRANS32_DEP_1) | instid1(SALU_CYCLE_1)
	v_ldexp_f32 v8, s33, s35
	s_delay_alu instid0(VALU_DEP_2) | instskip(NEXT) | instid1(VALU_DEP_2)
	v_cndmask_b32_e64 v7, 0x7f800000, v7, s4
	v_cndmask_b32_e64 v8, 0, v8, s0
	s_delay_alu instid0(VALU_DEP_2) | instskip(NEXT) | instid1(VALU_DEP_2)
	v_cndmask_b32_e64 v7, 0, v7, s5
	v_cndmask_b32_e64 v8, 0x7f800000, v8, s1
	s_delay_alu instid0(VALU_DEP_1) | instskip(SKIP_1) | instid1(VALU_DEP_3)
	v_cndmask_b32_e64 v8, 0, v8, s2
	s_wait_loadcnt 0x0
	v_mul_f32_e32 v6, v6, v7
	v_mul_f32_e32 v7, s37, v7
	s_delay_alu instid0(VALU_DEP_1) | instskip(NEXT) | instid1(VALU_DEP_3)
	v_fmac_f32_e32 v7, v4, v8
	v_fmac_f32_e32 v6, v5, v8
	s_cbranch_execnz .LBB12_15
.LBB12_19:                              ;   in Loop: Header=BB12_9 Depth=1
	s_wait_loadcnt 0x0
	v_dual_mov_b32 v7, v4 :: v_dual_mov_b32 v6, v5
	s_add_co_i32 s17, s34, -1
	s_mov_b32 s27, s20
	s_mov_b32 s9, s26
	s_cbranch_execz .LBB12_23
.LBB12_20:                              ;   in Loop: Header=BB12_9 Depth=1
	s_wait_loadcnt 0x0
	v_dual_mov_b32 v4, v7 :: v_dual_mov_b32 v5, v6
	s_wait_alu 0xfffe
	s_mov_b32 s20, s27
	s_mov_b32 s34, s17
	;; [unrolled: 1-line block ×3, first 2 shown]
	s_branch .LBB12_9
.LBB12_21:
                                        ; implicit-def: $sgpr20_sgpr21
	s_branch .LBB12_2
.LBB12_22:
                                        ; implicit-def: $sgpr10_sgpr11
	s_load_b96 s[12:14], s[0:1], 0x44
	s_branch .LBB12_5
.LBB12_23:
	v_div_scale_f32 v0, null, v7, v7, v6
	s_delay_alu instid0(VALU_DEP_1) | instskip(NEXT) | instid1(TRANS32_DEP_1)
	v_rcp_f32_e32 v3, v0
	v_fma_f32 v4, -v0, v3, 1.0
	s_delay_alu instid0(VALU_DEP_1) | instskip(SKIP_2) | instid1(VALU_DEP_1)
	v_fmac_f32_e32 v3, v4, v3
	v_div_scale_f32 v4, vcc_lo, v6, v7, v6
	s_wait_loadcnt 0x0
	v_mul_f32_e32 v5, v4, v3
	s_delay_alu instid0(VALU_DEP_1) | instskip(NEXT) | instid1(VALU_DEP_1)
	v_fma_f32 v8, -v0, v5, v4
	v_fmac_f32_e32 v5, v8, v3
	s_delay_alu instid0(VALU_DEP_1) | instskip(SKIP_1) | instid1(VALU_DEP_1)
	v_fma_f32 v0, -v0, v5, v4
	s_wait_alu 0xfffd
	v_div_fmas_f32 v0, v0, v3, v5
	s_delay_alu instid0(VALU_DEP_1)
	v_div_fixup_f32 v0, v0, v7, v6
	global_store_b32 v[1:2], v0, off
.LBB12_24:
	s_endpgm
	.section	.rodata,"a",@progbits
	.p2align	6, 0x0
	.amdhsa_kernel _ZL33flash_attn_stream_k_fixup_generalILi96ELi2ELi8EEvPfPK15HIP_vector_typeIfLj2EEiiiiS1_IjLj3EES5_S5_S5_
		.amdhsa_group_segment_fixed_size 0
		.amdhsa_private_segment_fixed_size 0
		.amdhsa_kernarg_size 336
		.amdhsa_user_sgpr_count 2
		.amdhsa_user_sgpr_dispatch_ptr 0
		.amdhsa_user_sgpr_queue_ptr 0
		.amdhsa_user_sgpr_kernarg_segment_ptr 1
		.amdhsa_user_sgpr_dispatch_id 0
		.amdhsa_user_sgpr_private_segment_size 0
		.amdhsa_wavefront_size32 1
		.amdhsa_uses_dynamic_stack 0
		.amdhsa_enable_private_segment 0
		.amdhsa_system_sgpr_workgroup_id_x 1
		.amdhsa_system_sgpr_workgroup_id_y 1
		.amdhsa_system_sgpr_workgroup_id_z 1
		.amdhsa_system_sgpr_workgroup_info 0
		.amdhsa_system_vgpr_workitem_id 0
		.amdhsa_next_free_vgpr 9
		.amdhsa_next_free_sgpr 44
		.amdhsa_reserve_vcc 1
		.amdhsa_float_round_mode_32 0
		.amdhsa_float_round_mode_16_64 0
		.amdhsa_float_denorm_mode_32 3
		.amdhsa_float_denorm_mode_16_64 3
		.amdhsa_fp16_overflow 0
		.amdhsa_workgroup_processor_mode 1
		.amdhsa_memory_ordered 1
		.amdhsa_forward_progress 1
		.amdhsa_inst_pref_size 28
		.amdhsa_round_robin_scheduling 0
		.amdhsa_exception_fp_ieee_invalid_op 0
		.amdhsa_exception_fp_denorm_src 0
		.amdhsa_exception_fp_ieee_div_zero 0
		.amdhsa_exception_fp_ieee_overflow 0
		.amdhsa_exception_fp_ieee_underflow 0
		.amdhsa_exception_fp_ieee_inexact 0
		.amdhsa_exception_int_div_zero 0
	.end_amdhsa_kernel
	.section	.text._ZL33flash_attn_stream_k_fixup_generalILi96ELi2ELi8EEvPfPK15HIP_vector_typeIfLj2EEiiiiS1_IjLj3EES5_S5_S5_,"axG",@progbits,_ZL33flash_attn_stream_k_fixup_generalILi96ELi2ELi8EEvPfPK15HIP_vector_typeIfLj2EEiiiiS1_IjLj3EES5_S5_S5_,comdat
.Lfunc_end12:
	.size	_ZL33flash_attn_stream_k_fixup_generalILi96ELi2ELi8EEvPfPK15HIP_vector_typeIfLj2EEiiiiS1_IjLj3EES5_S5_S5_, .Lfunc_end12-_ZL33flash_attn_stream_k_fixup_generalILi96ELi2ELi8EEvPfPK15HIP_vector_typeIfLj2EEiiiiS1_IjLj3EES5_S5_S5_
                                        ; -- End function
	.set _ZL33flash_attn_stream_k_fixup_generalILi96ELi2ELi8EEvPfPK15HIP_vector_typeIfLj2EEiiiiS1_IjLj3EES5_S5_S5_.num_vgpr, 9
	.set _ZL33flash_attn_stream_k_fixup_generalILi96ELi2ELi8EEvPfPK15HIP_vector_typeIfLj2EEiiiiS1_IjLj3EES5_S5_S5_.num_agpr, 0
	.set _ZL33flash_attn_stream_k_fixup_generalILi96ELi2ELi8EEvPfPK15HIP_vector_typeIfLj2EEiiiiS1_IjLj3EES5_S5_S5_.numbered_sgpr, 44
	.set _ZL33flash_attn_stream_k_fixup_generalILi96ELi2ELi8EEvPfPK15HIP_vector_typeIfLj2EEiiiiS1_IjLj3EES5_S5_S5_.num_named_barrier, 0
	.set _ZL33flash_attn_stream_k_fixup_generalILi96ELi2ELi8EEvPfPK15HIP_vector_typeIfLj2EEiiiiS1_IjLj3EES5_S5_S5_.private_seg_size, 0
	.set _ZL33flash_attn_stream_k_fixup_generalILi96ELi2ELi8EEvPfPK15HIP_vector_typeIfLj2EEiiiiS1_IjLj3EES5_S5_S5_.uses_vcc, 1
	.set _ZL33flash_attn_stream_k_fixup_generalILi96ELi2ELi8EEvPfPK15HIP_vector_typeIfLj2EEiiiiS1_IjLj3EES5_S5_S5_.uses_flat_scratch, 0
	.set _ZL33flash_attn_stream_k_fixup_generalILi96ELi2ELi8EEvPfPK15HIP_vector_typeIfLj2EEiiiiS1_IjLj3EES5_S5_S5_.has_dyn_sized_stack, 0
	.set _ZL33flash_attn_stream_k_fixup_generalILi96ELi2ELi8EEvPfPK15HIP_vector_typeIfLj2EEiiiiS1_IjLj3EES5_S5_S5_.has_recursion, 0
	.set _ZL33flash_attn_stream_k_fixup_generalILi96ELi2ELi8EEvPfPK15HIP_vector_typeIfLj2EEiiiiS1_IjLj3EES5_S5_S5_.has_indirect_call, 0
	.section	.AMDGPU.csdata,"",@progbits
; Kernel info:
; codeLenInByte = 3540
; TotalNumSgprs: 46
; NumVgprs: 9
; ScratchSize: 0
; MemoryBound: 0
; FloatMode: 240
; IeeeMode: 1
; LDSByteSize: 0 bytes/workgroup (compile time only)
; SGPRBlocks: 0
; VGPRBlocks: 1
; NumSGPRsForWavesPerEU: 46
; NumVGPRsForWavesPerEU: 9
; Occupancy: 16
; WaveLimiterHint : 0
; COMPUTE_PGM_RSRC2:SCRATCH_EN: 0
; COMPUTE_PGM_RSRC2:USER_SGPR: 2
; COMPUTE_PGM_RSRC2:TRAP_HANDLER: 0
; COMPUTE_PGM_RSRC2:TGID_X_EN: 1
; COMPUTE_PGM_RSRC2:TGID_Y_EN: 1
; COMPUTE_PGM_RSRC2:TGID_Z_EN: 1
; COMPUTE_PGM_RSRC2:TIDIG_COMP_CNT: 0
	.section	.text._ZL15flash_attn_tileILi96ELi96ELi1ELi8ELb0EEvPKcS1_S1_S1_S1_PKiPfP15HIP_vector_typeIfLj2EEffffjfiS5_IjLj3EEiiiiiiiiiiiliiliiiiil,"axG",@progbits,_ZL15flash_attn_tileILi96ELi96ELi1ELi8ELb0EEvPKcS1_S1_S1_S1_PKiPfP15HIP_vector_typeIfLj2EEffffjfiS5_IjLj3EEiiiiiiiiiiiliiliiiiil,comdat
	.globl	_ZL15flash_attn_tileILi96ELi96ELi1ELi8ELb0EEvPKcS1_S1_S1_S1_PKiPfP15HIP_vector_typeIfLj2EEffffjfiS5_IjLj3EEiiiiiiiiiiiliiliiiiil ; -- Begin function _ZL15flash_attn_tileILi96ELi96ELi1ELi8ELb0EEvPKcS1_S1_S1_S1_PKiPfP15HIP_vector_typeIfLj2EEffffjfiS5_IjLj3EEiiiiiiiiiiiliiliiiiil
	.p2align	8
	.type	_ZL15flash_attn_tileILi96ELi96ELi1ELi8ELb0EEvPKcS1_S1_S1_S1_PKiPfP15HIP_vector_typeIfLj2EEffffjfiS5_IjLj3EEiiiiiiiiiiiliiliiiiil,@function
_ZL15flash_attn_tileILi96ELi96ELi1ELi8ELb0EEvPKcS1_S1_S1_S1_PKiPfP15HIP_vector_typeIfLj2EEffffjfiS5_IjLj3EEiiiiiiiiiiiliiliiiiil: ; @_ZL15flash_attn_tileILi96ELi96ELi1ELi8ELb0EEvPKcS1_S1_S1_S1_PKiPfP15HIP_vector_typeIfLj2EEffffjfiS5_IjLj3EEiiiiiiiiiiiliiliiiiil
; %bb.0:
	s_clause 0x1
	s_load_b128 s[20:23], s[0:1], 0x5c
	s_load_b64 s[30:31], s[0:1], 0x80
	s_lshr_b32 s5, ttmp7, 16
	s_mov_b32 s37, 0
	s_mov_b64 s[34:35], 0
	s_wait_kmcnt 0x0
	s_ashr_i32 s2, s23, 31
	s_delay_alu instid0(SALU_CYCLE_1) | instskip(NEXT) | instid1(SALU_CYCLE_1)
	s_lshr_b32 s2, s2, 29
	s_add_co_i32 s2, s23, s2
	s_delay_alu instid0(SALU_CYCLE_1) | instskip(NEXT) | instid1(SALU_CYCLE_1)
	s_ashr_i32 s2, s2, 3
	s_cvt_f32_u32 s3, s2
	s_sub_co_i32 s4, 0, s2
	s_delay_alu instid0(SALU_CYCLE_2) | instskip(NEXT) | instid1(TRANS32_DEP_1)
	v_rcp_iflag_f32_e32 v1, s3
	v_readfirstlane_b32 s3, v1
	s_mul_f32 s3, s3, 0x4f7ffffe
	s_wait_alu 0xfffe
	s_delay_alu instid0(SALU_CYCLE_2) | instskip(SKIP_1) | instid1(SALU_CYCLE_2)
	s_cvt_u32_f32 s3, s3
	s_wait_alu 0xfffe
	s_mul_i32 s4, s4, s3
	s_delay_alu instid0(SALU_CYCLE_1) | instskip(NEXT) | instid1(SALU_CYCLE_1)
	s_mul_hi_u32 s4, s3, s4
	s_add_co_i32 s3, s3, s4
	s_wait_alu 0xfffe
	s_mul_hi_u32 s3, s5, s3
	s_wait_alu 0xfffe
	s_mul_i32 s4, s3, s2
	s_add_co_i32 s6, s3, 1
	s_sub_co_i32 s4, s5, s4
	s_delay_alu instid0(SALU_CYCLE_1)
	s_sub_co_i32 s7, s4, s2
	s_cmp_ge_u32 s4, s2
	s_cselect_b32 s3, s6, s3
	s_cselect_b32 s4, s7, s4
	s_wait_alu 0xfffe
	s_add_co_i32 s6, s3, 1
	s_cmp_ge_u32 s4, s2
	s_cselect_b32 s28, s6, s3
	s_abs_i32 s2, s31
	s_abs_i32 s6, s23
	s_wait_alu 0xfffe
	s_cvt_f32_u32 s3, s2
	s_sub_co_i32 s4, 0, s2
	s_lshl_b32 s25, s5, 3
	s_mul_i32 s26, s28, s23
	s_wait_alu 0xfffe
	v_rcp_iflag_f32_e32 v1, s3
	s_delay_alu instid0(TRANS32_DEP_1) | instskip(SKIP_2) | instid1(SALU_CYCLE_2)
	v_readfirstlane_b32 s3, v1
	s_mul_f32 s3, s3, 0x4f7ffffe
	s_wait_alu 0xfffe
	s_cvt_u32_f32 s3, s3
	s_wait_alu 0xfffe
	s_delay_alu instid0(SALU_CYCLE_2) | instskip(NEXT) | instid1(SALU_CYCLE_1)
	s_mul_i32 s4, s4, s3
	s_mul_hi_u32 s4, s3, s4
	s_delay_alu instid0(SALU_CYCLE_1)
	s_add_co_i32 s3, s3, s4
	s_xor_b32 s4, s23, s31
	s_wait_alu 0xfffe
	s_mul_hi_u32 s3, s6, s3
	s_ashr_i32 s24, s4, 31
	s_wait_alu 0xfffe
	s_mul_i32 s5, s3, s2
	s_delay_alu instid0(SALU_CYCLE_1)
	s_sub_co_i32 s4, s6, s5
	s_add_co_i32 s5, s3, 1
	s_sub_co_i32 s6, s4, s2
	s_cmp_ge_u32 s4, s2
	s_cselect_b32 s3, s5, s3
	s_cselect_b32 s4, s6, s4
	s_wait_alu 0xfffe
	s_add_co_i32 s5, s3, 1
	s_cmp_ge_u32 s4, s2
	s_cselect_b32 s2, s5, s3
	s_load_b512 s[4:19], s[0:1], 0x0
	s_xor_b32 s2, s2, s24
	s_wait_alu 0xfffe
	s_sub_co_i32 s33, s2, s24
	s_load_b64 s[2:3], s[0:1], 0xb8
	s_abs_i32 s31, s33
	s_delay_alu instid0(SALU_CYCLE_1) | instskip(NEXT) | instid1(SALU_CYCLE_3)
	s_cvt_f32_u32 s24, s31
	v_rcp_iflag_f32_e32 v1, s24
	s_wait_kmcnt 0x0
	s_cmp_eq_u64 s[10:11], 0
	s_delay_alu instid0(TRANS32_DEP_1)
	v_readfirstlane_b32 s24, v1
	s_cbranch_scc1 .LBB13_2
; %bb.1:
	s_abs_i32 s2, s2
	s_load_b64 s[34:35], s[0:1], 0xc8
	s_cvt_f32_u32 s27, s2
	s_sub_co_i32 s29, 0, s2
	s_delay_alu instid0(SALU_CYCLE_2) | instskip(NEXT) | instid1(TRANS32_DEP_1)
	v_rcp_iflag_f32_e32 v1, s27
	v_readfirstlane_b32 s27, v1
	s_mul_f32 s27, s27, 0x4f7ffffe
	s_wait_alu 0xfffe
	s_delay_alu instid0(SALU_CYCLE_2) | instskip(SKIP_1) | instid1(SALU_CYCLE_2)
	s_cvt_u32_f32 s27, s27
	s_wait_alu 0xfffe
	s_mul_i32 s29, s29, s27
	s_delay_alu instid0(SALU_CYCLE_1) | instskip(NEXT) | instid1(SALU_CYCLE_1)
	s_mul_hi_u32 s29, s27, s29
	s_add_co_i32 s27, s27, s29
	s_wait_alu 0xfffe
	s_mul_hi_u32 s27, s28, s27
	s_wait_alu 0xfffe
	s_mul_i32 s27, s27, s2
	s_wait_alu 0xfffe
	s_sub_co_i32 s27, s28, s27
	s_wait_alu 0xfffe
	s_sub_co_i32 s29, s27, s2
	s_cmp_ge_u32 s27, s2
	s_cselect_b32 s27, s29, s27
	s_wait_alu 0xfffe
	s_sub_co_i32 s29, s27, s2
	s_cmp_ge_u32 s27, s2
	s_cselect_b32 s38, s29, s27
	s_delay_alu instid0(SALU_CYCLE_1) | instskip(SKIP_2) | instid1(SALU_CYCLE_1)
	s_ashr_i32 s39, s38, 31
	s_wait_kmcnt 0x0
	s_mul_u64 s[34:35], s[34:35], s[38:39]
	s_add_nc_u64 s[34:35], s[10:11], s[34:35]
.LBB13_2:
	v_and_b32_e32 v40, 0x3ff, v0
	v_bfe_u32 v0, v0, 10, 10
	s_movk_i32 s10, 0xc0
	s_sub_co_i32 s11, s25, s26
	s_delay_alu instid0(VALU_DEP_2) | instskip(NEXT) | instid1(VALU_DEP_2)
	v_cmp_gt_u32_e64 s2, 24, v40
	v_mad_u32_u24 v53, v0, s10, 0xe80
	v_lshlrev_b32_e32 v54, 3, v40
	v_and_b32_e32 v51, 7, v0
	v_lshrrev_b32_e32 v52, 3, v0
	s_and_saveexec_b32 s10, s2
	s_cbranch_execz .LBB13_4
; %bb.3:
	s_delay_alu instid0(VALU_DEP_1) | instskip(SKIP_1) | instid1(VALU_DEP_1)
	v_add_nc_u32_e32 v1, ttmp9, v52
	s_load_b96 s[40:42], s[0:1], 0x70
	v_mul_hi_u32 v2, s20, v1
	s_delay_alu instid0(VALU_DEP_1) | instskip(NEXT) | instid1(VALU_DEP_1)
	v_add_nc_u32_e32 v2, v1, v2
	v_lshrrev_b32_e32 v2, s21, v2
	s_wait_kmcnt 0x0
	s_ashr_i32 s39, s41, 31
	s_mov_b32 s38, s41
	s_delay_alu instid0(VALU_DEP_1)
	v_mul_lo_u32 v2, v2, s22
	s_mul_i32 s26, s11, s41
	s_ashr_i32 s41, s40, 31
	s_lshr_b64 s[44:45], s[38:39], 2
	s_lshr_b32 s25, s39, 2
	s_mul_i32 s38, s28, s42
	s_wait_alu 0xfffe
	s_ashr_i32 s27, s26, 31
	s_ashr_i32 s39, s38, 31
	v_sub_nc_u32_e32 v7, v1, v2
	v_mad_co_u64_u32 v[1:2], null, s44, v51, 0
	s_lshr_b64 s[44:45], s[40:41], 2
	s_add_nc_u64 s[4:5], s[4:5], s[38:39]
	s_wait_alu 0xfffe
	v_mad_co_u64_u32 v[3:4], null, s44, v7, 0
	s_add_nc_u64 s[4:5], s[4:5], s[26:27]
	v_mad_co_u64_u32 v[5:6], null, s25, v51, v[2:3]
	s_lshr_b32 s25, s41, 2
	s_wait_alu 0xfffe
	v_mad_co_u64_u32 v[6:7], null, s25, v7, v[4:5]
	v_dual_mov_b32 v2, v5 :: v_dual_lshlrev_b32 v5, 4, v40
	s_delay_alu instid0(VALU_DEP_1) | instskip(NEXT) | instid1(VALU_DEP_3)
	v_lshlrev_b64_e32 v[1:2], 2, v[1:2]
	v_mov_b32_e32 v4, v6
	s_delay_alu instid0(VALU_DEP_2) | instskip(NEXT) | instid1(VALU_DEP_2)
	v_add_co_u32 v1, vcc_lo, s4, v1
	v_lshlrev_b64_e32 v[3:4], 2, v[3:4]
	s_delay_alu instid0(VALU_DEP_4) | instskip(SKIP_4) | instid1(VALU_DEP_2)
	v_add_co_ci_u32_e64 v2, null, s5, v2, vcc_lo
	s_load_b32 s4, s[0:1], 0x40
	v_add_co_u32 v1, vcc_lo, v1, v3
	s_wait_alu 0xfffd
	v_add_co_ci_u32_e64 v2, null, v2, v4, vcc_lo
	v_add_co_u32 v1, vcc_lo, v1, v5
	s_wait_alu 0xfffd
	s_delay_alu instid0(VALU_DEP_2)
	v_add_co_ci_u32_e64 v2, null, 0, v2, vcc_lo
	v_add_nc_u32_e32 v5, v53, v54
	global_load_b128 v[1:4], v[1:2], off
	s_wait_loadcnt 0x0
	s_wait_kmcnt 0x0
	v_fma_mixlo_f16 v2, s4, v2, 0
	v_fma_mixlo_f16 v1, s4, v1, 0
	;; [unrolled: 1-line block ×4, first 2 shown]
	s_delay_alu instid0(VALU_DEP_4) | instskip(NEXT) | instid1(VALU_DEP_4)
	v_lshlrev_b32_e32 v2, 16, v2
	v_and_b32_e32 v1, 0xffff, v1
	s_delay_alu instid0(VALU_DEP_4) | instskip(NEXT) | instid1(VALU_DEP_4)
	v_and_b32_e32 v3, 0xffff, v3
	v_lshlrev_b32_e32 v4, 16, v4
	s_delay_alu instid0(VALU_DEP_3) | instskip(NEXT) | instid1(VALU_DEP_2)
	v_or_b32_e32 v1, v2, v1
	v_or3_b32 v2, v4, v3, 0
	s_delay_alu instid0(VALU_DEP_2)
	v_or3_b32 v1, 0, 0, v1
	ds_store_b64 v5, v[1:2]
.LBB13_4:
	s_wait_alu 0xfffe
	s_or_b32 exec_lo, exec_lo, s10
	s_cmp_eq_u64 s[14:15], 0
	s_wait_dscnt 0x0
	s_barrier_signal -1
	s_barrier_wait -1
	global_inv scope:SCOPE_SE
	s_cbranch_scc1 .LBB13_6
; %bb.5:
	s_load_b32 s4, s[0:1], 0xd0
	s_mov_b32 s5, 0
	s_wait_kmcnt 0x0
	s_mul_i32 s4, s4, s28
	s_wait_alu 0xfffe
	s_add_co_i32 s4, s4, ttmp9
	s_wait_alu 0xfffe
	s_lshl_b64 s[4:5], s[4:5], 2
	s_wait_alu 0xfffe
	s_add_nc_u64 s[4:5], s[14:15], s[4:5]
	s_load_b32 s30, s[4:5], 0x0
.LBB13_6:
	s_and_b32 s10, ttmp7, 0xffff
	v_mbcnt_lo_u32_b32 v55, -1, 0
	s_wait_alu 0xfffe
	s_lshl_b32 s14, s10, 5
	s_wait_kmcnt 0x0
	s_cmp_lt_i32 s14, s30
	s_cbranch_scc1 .LBB13_9
; %bb.7:
	v_mbcnt_lo_u32_b32 v1, -1, 0
	v_mov_b32_e32 v56, 32
	s_delay_alu instid0(VALU_DEP_2)
	v_xor_b32_e32 v61, 16, v1
	v_xor_b32_e32 v60, 8, v1
	;; [unrolled: 1-line block ×5, first 2 shown]
	s_mov_b32 s29, 0
	s_cbranch_execz .LBB13_10
; %bb.8:
	v_dual_mov_b32 v74, 0 :: v_dual_mov_b32 v75, 0
	v_dual_mov_b32 v50, 0xfeffffff :: v_dual_mov_b32 v65, 0
	s_branch .LBB13_30
.LBB13_9:
                                        ; implicit-def: $vgpr1
                                        ; implicit-def: $vgpr56
                                        ; implicit-def: $vgpr61
                                        ; implicit-def: $vgpr60
                                        ; implicit-def: $vgpr59
                                        ; implicit-def: $vgpr58
                                        ; implicit-def: $vgpr57
	s_mov_b32 s29, 0
.LBB13_10:
	v_dual_mov_b32 v65, 0 :: v_dual_add_nc_u32 v4, ttmp9, v52
	s_mul_f32 s15, s24, 0x4f7ffffe
	s_clause 0x1
	s_load_b128 s[24:27], s[0:1], 0x98
	s_load_b64 s[4:5], s[0:1], 0x8c
	v_lshrrev_b32_e32 v1, 1, v40
	v_mul_hi_u32 v2, s20, v4
	s_cvt_u32_f32 s15, s15
	v_dual_mov_b32 v76, 0xfeffffff :: v_dual_lshlrev_b32 v5, 2, v40
	s_sub_co_i32 s38, 0, s31
	v_lshl_add_u32 v1, v0, 4, v1
	s_mul_i32 s38, s38, s15
	s_delay_alu instid0(VALU_DEP_2) | instskip(NEXT) | instid1(VALU_DEP_4)
	v_dual_mov_b32 v56, 32 :: v_dual_and_b32 v9, 4, v5
	v_dual_mov_b32 v73, 0 :: v_dual_add_nc_u32 v2, v4, v2
	s_mul_hi_u32 s38, s15, s38
	s_abs_i32 s36, s11
	s_mov_b32 s39, s37
	s_delay_alu instid0(VALU_DEP_1)
	v_lshrrev_b32_e32 v2, s21, v2
	s_add_co_i32 s38, s15, s38
	s_ashr_i32 s42, s11, 31
	s_ashr_i32 s33, s33, 31
	s_mul_u64 s[38:39], s[36:37], s[38:39]
	v_mul_lo_u32 v11, v2, s22
	v_lshrrev_b32_e32 v3, 2, v40
	v_mul_u32_u24_e32 v7, 0x70, v1
	v_lshlrev_b32_e32 v8, 2, v9
	s_load_b64 s[40:41], s[0:1], 0xa8
	s_ashr_i32 s15, s3, 1
	s_xor_b32 s3, s42, s33
	s_mul_i32 s33, s39, s31
	s_add_co_i32 s37, s39, 1
	s_sub_co_i32 s33, s36, s33
	s_wait_kmcnt 0x0
	s_ashr_i32 s26, s26, 2
	s_ashr_i32 s36, s4, 2
	s_sub_co_i32 s4, s33, s31
	v_lshl_add_u32 v6, v0, 3, v3
	v_and_b32_e32 v10, 12, v5
	v_add3_u32 v63, v7, v8, 64
	v_sub_nc_u32_e32 v7, v4, v11
	v_lshrrev_b32_e32 v8, 3, v40
	s_cmp_ge_u32 s33, s31
	v_lshlrev_b32_e32 v12, 2, v10
	s_cselect_b32 s20, s37, s39
	s_wait_alu 0xfffe
	s_cselect_b32 s4, s4, s33
	s_add_co_i32 s33, s20, 1
	v_mad_co_u64_u32 v[41:42], null, v7, s15, v[40:41]
	v_mul_u32_u24_e32 v7, 0xc0, v6
	v_lshl_add_u32 v8, v0, 2, v8
	s_wait_alu 0xfffe
	s_cmp_ge_u32 s4, s31
	v_dual_mov_b32 v74, 0 :: v_dual_and_b32 v67, 28, v5
	s_cselect_b32 s4, s33, s20
	v_cmp_gt_u32_e32 vcc_lo, 32, v1
	s_wait_alu 0xfffe
	s_xor_b32 s4, s4, s3
	v_mul_lo_u32 v1, s36, v1
	v_mul_lo_u32 v3, s36, v6
	v_lshl_add_u32 v66, v0, 6, 0x1480
	v_mul_lo_u32 v5, s26, v6
	v_or_b32_e32 v0, v7, v12
	v_mul_lo_u32 v7, s26, v8
	s_wait_alu 0xfffe
	s_sub_co_i32 s3, s4, s3
	v_lshlrev_b32_e32 v11, 2, v67
	s_mul_u64 s[24:25], s[24:25], s[28:29]
	s_wait_alu 0xfffe
	s_mul_i32 s4, s3, s5
	s_mul_u64 s[38:39], s[40:41], s[28:29]
	s_add_nc_u64 s[6:7], s[6:7], s[24:25]
	s_wait_alu 0xfffe
	s_ashr_i32 s5, s4, 31
	s_add_nc_u64 s[8:9], s[8:9], s[38:39]
	s_mul_i32 s38, s3, s27
	s_wait_alu 0xfffe
	s_add_nc_u64 s[24:25], s[6:7], s[4:5]
	v_cmp_gt_u32_e64 s3, 32, v6
	v_ashrrev_i32_e32 v2, 31, v1
	v_mad_u32_u24 v64, 0x70, v6, v12
	v_ashrrev_i32_e32 v4, 31, v3
	v_cmp_gt_u32_e64 s4, 16, v6
	v_cmp_gt_u32_e64 s5, 16, v8
	v_ashrrev_i32_e32 v6, 31, v5
	v_mad_u32_u24 v70, 0xc0, v8, v11
	v_ashrrev_i32_e32 v8, 31, v7
	v_lshlrev_b64_e32 v[42:43], 2, v[1:2]
	v_lshlrev_b64_e32 v[44:45], 2, v[3:4]
	;; [unrolled: 1-line block ×3, first 2 shown]
	v_mul_u32_u24_e32 v62, 0x70, v40
	v_lshlrev_b64_e32 v[48:49], 2, v[7:8]
	v_lshl_add_u32 v68, v40, 1, v66
	v_add_nc_u32_e32 v69, 0x80, v0
	v_xor_b32_e32 v61, 16, v55
	v_xor_b32_e32 v60, 8, v55
	v_xor_b32_e32 v59, 4, v55
	v_xor_b32_e32 v58, 2, v55
	v_xor_b32_e32 v57, 1, v55
	v_lshlrev_b32_e32 v71, 2, v9
	v_lshlrev_b32_e32 v72, 2, v10
	s_ashr_i32 s39, s38, 31
	s_ashr_i32 s37, s36, 31
	s_add_nc_u64 s[38:39], s[8:9], s[38:39]
	s_ashr_i32 s27, s26, 31
	s_add_nc_u64 s[20:21], s[0:1], 0xd0
.LBB13_11:                              ; =>This Inner Loop Header: Depth=1
	s_ashr_i32 s15, s14, 31
	s_wait_alu 0xfffe
	s_mul_u64 s[6:7], s[14:15], s[36:37]
	s_wait_alu 0xfffe
	s_lshl_b64 s[6:7], s[6:7], 2
	s_wait_alu 0xfffe
	s_add_nc_u64 s[8:9], s[24:25], s[6:7]
	s_and_saveexec_b32 s7, vcc_lo
	s_cbranch_execz .LBB13_13
; %bb.12:                               ;   in Loop: Header=BB13_11 Depth=1
	s_wait_alu 0xfffe
	v_add_co_u32 v0, s6, s8, v42
	s_wait_alu 0xf1ff
	v_add_co_ci_u32_e64 v1, null, s9, v43, s6
	s_delay_alu instid0(VALU_DEP_2) | instskip(SKIP_1) | instid1(VALU_DEP_2)
	v_add_co_u32 v0, s6, v0, v71
	s_wait_alu 0xf1ff
	v_add_co_ci_u32_e64 v1, null, 0, v1, s6
	global_load_b128 v[0:3], v[0:1], off offset:64
	s_wait_loadcnt 0x0
	ds_store_b128 v63, v[0:3]
.LBB13_13:                              ;   in Loop: Header=BB13_11 Depth=1
	s_wait_alu 0xfffe
	s_or_b32 exec_lo, exec_lo, s7
	s_and_saveexec_b32 s7, s3
	s_cbranch_execz .LBB13_15
; %bb.14:                               ;   in Loop: Header=BB13_11 Depth=1
	v_add_co_u32 v0, s6, s8, v44
	s_wait_alu 0xf1ff
	v_add_co_ci_u32_e64 v1, null, s9, v45, s6
	s_delay_alu instid0(VALU_DEP_2) | instskip(SKIP_1) | instid1(VALU_DEP_2)
	v_add_co_u32 v0, s6, v0, v72
	s_wait_alu 0xf1ff
	v_add_co_ci_u32_e64 v1, null, 0, v1, s6
	global_load_b128 v[0:3], v[0:1], off
	s_wait_loadcnt 0x0
	ds_store_b128 v64, v[0:3]
.LBB13_15:                              ;   in Loop: Header=BB13_11 Depth=1
	s_wait_alu 0xfffe
	s_or_b32 exec_lo, exec_lo, s7
	s_wait_loadcnt_dscnt 0x0
	s_barrier_signal -1
	s_barrier_wait -1
	global_inv scope:SCOPE_SE
	ds_load_b128 v[1:4], v62
	ds_load_b128 v[5:8], v53
	v_mov_b32_e32 v0, 0
	s_wait_dscnt 0x0
	;;#ASMSTART
	v_dot2_f32_f16 v0, v1, v5, v0
	;;#ASMEND
	;;#ASMSTART
	v_dot2_f32_f16 v0, v2, v6, v0
	;;#ASMEND
	;;#ASMSTART
	v_dot2_f32_f16 v0, v3, v7, v0
	;;#ASMEND
	;;#ASMSTART
	v_dot2_f32_f16 v0, v4, v8, v0
	;;#ASMEND
	ds_load_b128 v[1:4], v62 offset:16
	ds_load_b128 v[5:8], v53 offset:16
	s_wait_dscnt 0x0
	;;#ASMSTART
	v_dot2_f32_f16 v0, v1, v5, v0
	;;#ASMEND
	;;#ASMSTART
	v_dot2_f32_f16 v0, v2, v6, v0
	;;#ASMEND
	;;#ASMSTART
	v_dot2_f32_f16 v0, v3, v7, v0
	;;#ASMEND
	;;#ASMSTART
	v_dot2_f32_f16 v0, v4, v8, v0
	;;#ASMEND
	ds_load_b128 v[1:4], v62 offset:32
	ds_load_b128 v[5:8], v53 offset:32
	;; [unrolled: 15-line block ×5, first 2 shown]
	s_wait_dscnt 0x0
	;;#ASMSTART
	v_dot2_f32_f16 v0, v1, v5, v0
	;;#ASMEND
	;;#ASMSTART
	v_dot2_f32_f16 v0, v2, v6, v0
	;;#ASMEND
	;; [unrolled: 3-line block ×4, first 2 shown]
	s_wait_loadcnt 0x0
	s_barrier_signal -1
	s_barrier_wait -1
	global_inv scope:SCOPE_SE
	s_and_saveexec_b32 s7, vcc_lo
	s_cbranch_execz .LBB13_17
; %bb.16:                               ;   in Loop: Header=BB13_11 Depth=1
	v_add_co_u32 v1, s6, s8, v42
	s_wait_alu 0xf1ff
	v_add_co_ci_u32_e64 v2, null, s9, v43, s6
	s_delay_alu instid0(VALU_DEP_2) | instskip(SKIP_1) | instid1(VALU_DEP_2)
	v_add_co_u32 v1, s6, v1, v71
	s_wait_alu 0xf1ff
	v_add_co_ci_u32_e64 v2, null, 0, v2, s6
	global_load_b128 v[1:4], v[1:2], off offset:160
	s_wait_loadcnt 0x0
	ds_store_b128 v63, v[1:4]
.LBB13_17:                              ;   in Loop: Header=BB13_11 Depth=1
	s_wait_alu 0xfffe
	s_or_b32 exec_lo, exec_lo, s7
	s_and_saveexec_b32 s7, s3
	s_cbranch_execz .LBB13_19
; %bb.18:                               ;   in Loop: Header=BB13_11 Depth=1
	v_add_co_u32 v1, s6, s8, v44
	s_wait_alu 0xf1ff
	v_add_co_ci_u32_e64 v2, null, s9, v45, s6
	s_delay_alu instid0(VALU_DEP_2) | instskip(SKIP_1) | instid1(VALU_DEP_2)
	v_add_co_u32 v1, s6, v1, v72
	s_wait_alu 0xf1ff
	v_add_co_ci_u32_e64 v2, null, 0, v2, s6
	global_load_b128 v[1:4], v[1:2], off offset:96
	s_wait_loadcnt 0x0
	ds_store_b128 v64, v[1:4]
.LBB13_19:                              ;   in Loop: Header=BB13_11 Depth=1
	s_wait_alu 0xfffe
	s_or_b32 exec_lo, exec_lo, s7
	s_wait_loadcnt_dscnt 0x0
	s_barrier_signal -1
	s_barrier_wait -1
	global_inv scope:SCOPE_SE
	ds_load_b128 v[1:4], v62
	ds_load_b128 v[5:8], v53 offset:96
	v_add_nc_u32_e32 v9, s14, v41
	s_wait_dscnt 0x0
	;;#ASMSTART
	v_dot2_f32_f16 v0, v1, v5, v0
	;;#ASMEND
	;;#ASMSTART
	v_dot2_f32_f16 v0, v2, v6, v0
	;;#ASMEND
	;;#ASMSTART
	v_dot2_f32_f16 v0, v3, v7, v0
	;;#ASMEND
	;;#ASMSTART
	v_dot2_f32_f16 v0, v4, v8, v0
	;;#ASMEND
	ds_load_b128 v[1:4], v62 offset:16
	ds_load_b128 v[5:8], v53 offset:112
	s_wait_dscnt 0x0
	;;#ASMSTART
	v_dot2_f32_f16 v0, v1, v5, v0
	;;#ASMEND
	;;#ASMSTART
	v_dot2_f32_f16 v0, v2, v6, v0
	;;#ASMEND
	;;#ASMSTART
	v_dot2_f32_f16 v0, v3, v7, v0
	;;#ASMEND
	;;#ASMSTART
	v_dot2_f32_f16 v0, v4, v8, v0
	;;#ASMEND
	ds_load_b128 v[1:4], v62 offset:32
	ds_load_b128 v[5:8], v53 offset:128
	;; [unrolled: 15-line block ×5, first 2 shown]
	s_wait_dscnt 0x0
	;;#ASMSTART
	v_dot2_f32_f16 v0, v1, v5, v0
	;;#ASMEND
	;;#ASMSTART
	v_dot2_f32_f16 v0, v2, v6, v0
	;;#ASMEND
	v_max_num_f32_e32 v2, v76, v76
	v_ashrrev_i32_e32 v10, 31, v9
	;;#ASMSTART
	v_dot2_f32_f16 v0, v3, v7, v0
	;;#ASMEND
	;;#ASMSTART
	v_dot2_f32_f16 v0, v4, v8, v0
	;;#ASMEND
	s_delay_alu instid0(VALU_DEP_1) | instskip(NEXT) | instid1(VALU_DEP_1)
	v_lshlrev_b64_e32 v[9:10], 1, v[9:10]
	v_add_co_u32 v9, s6, s34, v9
	s_wait_alu 0xf1ff
	s_delay_alu instid0(VALU_DEP_2)
	v_add_co_ci_u32_e64 v10, null, s35, v10, s6
	v_cmp_gt_i32_e64 s6, 32, v61
	global_load_u16 v1, v[9:10], off
	s_wait_loadcnt 0x0
	s_barrier_signal -1
	s_barrier_wait -1
	global_inv scope:SCOPE_SE
	v_cvt_f32_f16_e32 v1, v1
	s_delay_alu instid0(VALU_DEP_1) | instskip(SKIP_3) | instid1(VALU_DEP_3)
	v_add_f32_e32 v0, v0, v1
	s_wait_alu 0xf1ff
	v_cndmask_b32_e64 v1, v55, v61, s6
	v_cmp_gt_i32_e64 s6, 32, v60
	v_add_f32_e32 v3, 0x40051340, v0
	s_delay_alu instid0(VALU_DEP_1) | instskip(SKIP_1) | instid1(VALU_DEP_3)
	v_dual_max_num_f32 v2, v2, v3 :: v_dual_lshlrev_b32 v1, 2, v1
	s_wait_alu 0xf1ff
	v_cndmask_b32_e64 v3, v55, v60, s6
	v_cmp_gt_i32_e64 s6, 32, v59
	ds_bpermute_b32 v1, v1, v2
	v_lshlrev_b32_e32 v3, 2, v3
	s_wait_dscnt 0x0
	v_max_num_f32_e32 v1, v1, v1
	s_delay_alu instid0(VALU_DEP_1)
	v_max_num_f32_e32 v1, v2, v1
	ds_bpermute_b32 v2, v3, v1
	s_wait_alu 0xf1ff
	v_cndmask_b32_e64 v3, v55, v59, s6
	v_cmp_gt_i32_e64 s6, 32, v58
	s_wait_dscnt 0x0
	s_delay_alu instid0(VALU_DEP_2) | instskip(NEXT) | instid1(VALU_DEP_1)
	v_dual_max_num_f32 v2, v2, v2 :: v_dual_lshlrev_b32 v3, 2, v3
	v_max_num_f32_e32 v1, v1, v2
	ds_bpermute_b32 v2, v3, v1
	s_wait_alu 0xf1ff
	v_cndmask_b32_e64 v3, v55, v58, s6
	v_cmp_gt_i32_e64 s6, 32, v57
	s_wait_dscnt 0x0
	s_delay_alu instid0(VALU_DEP_2) | instskip(NEXT) | instid1(VALU_DEP_1)
	v_dual_max_num_f32 v2, v2, v2 :: v_dual_lshlrev_b32 v3, 2, v3
	v_max_num_f32_e32 v1, v1, v2
	ds_bpermute_b32 v2, v3, v1
	s_wait_alu 0xf1ff
	v_cndmask_b32_e64 v3, v55, v57, s6
	s_wait_dscnt 0x0
	v_max_num_f32_e32 v2, v2, v2
	s_delay_alu instid0(VALU_DEP_1) | instskip(NEXT) | instid1(VALU_DEP_3)
	v_max_num_f32_e32 v1, v1, v2
	v_lshlrev_b32_e32 v3, 2, v3
	ds_bpermute_b32 v2, v3, v1
	s_wait_dscnt 0x0
	v_max_num_f32_e32 v2, v2, v2
	s_delay_alu instid0(VALU_DEP_1) | instskip(NEXT) | instid1(VALU_DEP_1)
	v_max_num_f32_e32 v50, v1, v2
	v_sub_f32_e32 v0, v0, v50
	s_delay_alu instid0(VALU_DEP_1) | instskip(SKIP_1) | instid1(VALU_DEP_2)
	v_mul_f32_e32 v1, 0x3fb8aa3b, v0
	v_cmp_ngt_f32_e64 s6, 0xc2ce8ed0, v0
	v_fma_f32 v2, 0x3fb8aa3b, v0, -v1
	v_rndne_f32_e32 v3, v1
	s_delay_alu instid0(VALU_DEP_1) | instskip(NEXT) | instid1(VALU_DEP_1)
	v_dual_fmac_f32 v2, 0x32a5705f, v0 :: v_dual_sub_f32 v1, v1, v3
	v_add_f32_e32 v1, v1, v2
	v_cvt_i32_f32_e32 v2, v3
	s_delay_alu instid0(VALU_DEP_2) | instskip(NEXT) | instid1(TRANS32_DEP_1)
	v_exp_f32_e32 v1, v1
	v_ldexp_f32 v1, v1, v2
	s_wait_alu 0xf1ff
	s_delay_alu instid0(VALU_DEP_1) | instskip(SKIP_2) | instid1(VALU_DEP_1)
	v_cndmask_b32_e64 v1, 0, v1, s6
	v_cmp_nlt_f32_e64 s6, 0x42b17218, v0
	s_wait_alu 0xf1ff
	v_cndmask_b32_e64 v75, 0x7f800000, v1, s6
	s_mul_u64 s[6:7], s[14:15], s[26:27]
	s_wait_alu 0xfffe
	s_lshl_b64 s[6:7], s[6:7], 2
	s_delay_alu instid0(VALU_DEP_1)
	v_cvt_f16_f32_e32 v0, v75
	s_wait_alu 0xfffe
	s_add_nc_u64 s[8:9], s[38:39], s[6:7]
	ds_store_b16 v68, v0
	s_and_saveexec_b32 s7, s4
	s_cbranch_execz .LBB13_21
; %bb.20:                               ;   in Loop: Header=BB13_11 Depth=1
	s_wait_alu 0xfffe
	v_add_co_u32 v0, s6, s8, v46
	s_wait_alu 0xf1ff
	v_add_co_ci_u32_e64 v1, null, s9, v47, s6
	s_delay_alu instid0(VALU_DEP_2) | instskip(SKIP_1) | instid1(VALU_DEP_2)
	v_add_co_u32 v0, s6, v0, v72
	s_wait_alu 0xf1ff
	v_add_co_ci_u32_e64 v1, null, 0, v1, s6
	global_load_b128 v[0:3], v[0:1], off offset:128
	s_wait_loadcnt 0x0
	ds_store_b128 v69, v[0:3]
.LBB13_21:                              ;   in Loop: Header=BB13_11 Depth=1
	s_wait_alu 0xfffe
	s_or_b32 exec_lo, exec_lo, s7
	v_lshlrev_b32_e32 v79, 2, v67
	s_and_saveexec_b32 s7, s5
	s_cbranch_execz .LBB13_23
; %bb.22:                               ;   in Loop: Header=BB13_11 Depth=1
	v_add_co_u32 v0, s6, s8, v48
	s_wait_alu 0xf1ff
	v_add_co_ci_u32_e64 v1, null, s9, v49, s6
	s_delay_alu instid0(VALU_DEP_2) | instskip(SKIP_1) | instid1(VALU_DEP_2)
	v_add_co_u32 v0, s6, v0, v79
	s_wait_alu 0xf1ff
	v_add_co_ci_u32_e64 v1, null, 0, v1, s6
	global_load_b128 v[0:3], v[0:1], off
	s_wait_loadcnt 0x0
	ds_store_b128 v70, v[0:3]
.LBB13_23:                              ;   in Loop: Header=BB13_11 Depth=1
	s_wait_alu 0xfffe
	s_or_b32 exec_lo, exec_lo, s7
	v_add_nc_u32_e32 v78, 0x400, v54
	v_add_nc_u32_e32 v77, 0x800, v54
	s_wait_loadcnt_dscnt 0x0
	s_barrier_signal -1
	s_barrier_wait -1
	global_inv scope:SCOPE_SE
	ds_load_2addr_b64 v[32:35], v54 offset1:24
	ds_load_b128 v[20:23], v66
	ds_load_b128 v[0:3], v66 offset:16
	ds_load_2addr_b64 v[24:27], v54 offset0:48 offset1:72
	ds_load_2addr_b64 v[36:39], v54 offset0:96 offset1:120
	;; [unrolled: 1-line block ×7, first 2 shown]
	v_sub_f32_e32 v76, v76, v50
	s_or_b32 s6, s14, 16
	s_wait_loadcnt_dscnt 0x0
	s_wait_alu 0xfffe
	s_ashr_i32 s7, s6, 31
	s_barrier_signal -1
	s_wait_alu 0xfffe
	s_mul_u64 s[8:9], s[6:7], s[26:27]
	v_cmp_ngt_f32_e64 s6, 0xc2ce8ed0, v76
	v_cmp_nlt_f32_e64 s7, 0x42b17218, v76
	s_wait_alu 0xfffe
	s_lshl_b64 s[8:9], s[8:9], 2
	s_barrier_wait -1
	s_wait_alu 0xfffe
	s_add_nc_u64 s[40:41], s[38:39], s[8:9]
	global_inv scope:SCOPE_SE
	s_and_saveexec_b32 s9, s4
	s_cbranch_execz .LBB13_25
; %bb.24:                               ;   in Loop: Header=BB13_11 Depth=1
	s_wait_alu 0xfffe
	v_add_co_u32 v80, s8, s40, v46
	s_wait_alu 0xf1ff
	v_add_co_ci_u32_e64 v81, null, s41, v47, s8
	s_delay_alu instid0(VALU_DEP_2) | instskip(SKIP_1) | instid1(VALU_DEP_2)
	v_add_co_u32 v80, s8, v80, v72
	s_wait_alu 0xf1ff
	v_add_co_ci_u32_e64 v81, null, 0, v81, s8
	global_load_b128 v[80:83], v[80:81], off offset:128
	s_wait_loadcnt 0x0
	ds_store_b128 v69, v[80:83]
.LBB13_25:                              ;   in Loop: Header=BB13_11 Depth=1
	s_wait_alu 0xfffe
	s_or_b32 exec_lo, exec_lo, s9
	s_and_saveexec_b32 s9, s5
	s_cbranch_execz .LBB13_27
; %bb.26:                               ;   in Loop: Header=BB13_11 Depth=1
	v_add_co_u32 v80, s8, s40, v48
	s_wait_alu 0xf1ff
	v_add_co_ci_u32_e64 v81, null, s41, v49, s8
	s_delay_alu instid0(VALU_DEP_2) | instskip(SKIP_1) | instid1(VALU_DEP_2)
	v_add_co_u32 v79, s8, v80, v79
	s_wait_alu 0xf1ff
	v_add_co_ci_u32_e64 v80, null, 0, v81, s8
	global_load_b128 v[79:82], v[79:80], off
	s_wait_loadcnt 0x0
	ds_store_b128 v70, v[79:82]
.LBB13_27:                              ;   in Loop: Header=BB13_11 Depth=1
	s_wait_alu 0xfffe
	s_or_b32 exec_lo, exec_lo, s9
	v_mul_f32_e32 v79, 0x3fb8aa3b, v76
	s_wait_loadcnt_dscnt 0x0
	s_barrier_signal -1
	s_barrier_wait -1
	global_inv scope:SCOPE_SE
	v_fma_f32 v80, 0x3fb8aa3b, v76, -v79
	v_rndne_f32_e32 v81, v79
	s_delay_alu instid0(VALU_DEP_2) | instskip(NEXT) | instid1(VALU_DEP_2)
	v_fmac_f32_e32 v80, 0x32a5705f, v76
	v_sub_f32_e32 v76, v79, v81
	v_cvt_i32_f32_e32 v79, v81
	s_delay_alu instid0(VALU_DEP_2) | instskip(NEXT) | instid1(VALU_DEP_1)
	v_add_f32_e32 v76, v76, v80
	v_exp_f32_e32 v76, v76
	s_delay_alu instid0(TRANS32_DEP_1) | instskip(SKIP_2) | instid1(VALU_DEP_3)
	v_ldexp_f32 v76, v76, v79
	v_and_b32_e32 v79, 0xffff, v20
	v_lshrrev_b32_e32 v20, 16, v20
	v_cndmask_b32_e64 v76, 0, v76, s6
	s_delay_alu instid0(VALU_DEP_3) | instskip(NEXT) | instid1(VALU_DEP_3)
	v_mul_u32_u24_e32 v79, 0x10001, v79
	v_mul_u32_u24_e32 v20, 0x10001, v20
	s_delay_alu instid0(VALU_DEP_3) | instskip(NEXT) | instid1(VALU_DEP_3)
	v_cndmask_b32_e64 v76, 0x7f800000, v76, s7
	v_pk_mul_f16 v32, v32, v79
	v_pk_mul_f16 v33, v33, v79
	v_and_b32_e32 v79, 0xffff, v21
	v_lshrrev_b32_e32 v21, 16, v21
	v_cvt_f16_f32_e32 v80, v76
	v_fmac_f32_e32 v75, v73, v76
	s_delay_alu instid0(VALU_DEP_3) | instskip(NEXT) | instid1(VALU_DEP_3)
	v_mul_u32_u24_e32 v21, 0x10001, v21
	v_and_b32_e32 v80, 0xffff, v80
	s_delay_alu instid0(VALU_DEP_1) | instskip(NEXT) | instid1(VALU_DEP_1)
	v_mul_u32_u24_e32 v80, 0x10001, v80
	v_pk_fma_f16 v32, v65, v80, v32
	v_pk_fma_f16 v33, v74, v80, v33
	v_mul_u32_u24_e32 v65, 0x10001, v79
	s_delay_alu instid0(VALU_DEP_3) | instskip(NEXT) | instid1(VALU_DEP_3)
	v_pk_fma_f16 v32, v34, v20, v32
	v_pk_fma_f16 v20, v35, v20, v33
	v_and_b32_e32 v33, 0xffff, v22
	v_lshrrev_b32_e32 v22, 16, v22
	s_delay_alu instid0(VALU_DEP_4) | instskip(NEXT) | instid1(VALU_DEP_4)
	v_pk_fma_f16 v24, v24, v65, v32
	v_pk_fma_f16 v20, v25, v65, v20
	s_delay_alu instid0(VALU_DEP_4) | instskip(NEXT) | instid1(VALU_DEP_4)
	v_mul_u32_u24_e32 v25, 0x10001, v33
	v_mul_u32_u24_e32 v22, 0x10001, v22
	s_delay_alu instid0(VALU_DEP_4) | instskip(NEXT) | instid1(VALU_DEP_4)
	v_pk_fma_f16 v24, v26, v21, v24
	v_pk_fma_f16 v20, v27, v21, v20
	v_and_b32_e32 v21, 0xffff, v23
	v_lshrrev_b32_e32 v23, 16, v23
	s_delay_alu instid0(VALU_DEP_4) | instskip(NEXT) | instid1(VALU_DEP_4)
	v_pk_fma_f16 v24, v36, v25, v24
	v_pk_fma_f16 v20, v37, v25, v20
	s_delay_alu instid0(VALU_DEP_4) | instskip(NEXT) | instid1(VALU_DEP_4)
	v_mul_u32_u24_e32 v21, 0x10001, v21
	v_mul_u32_u24_e32 v23, 0x10001, v23
	s_delay_alu instid0(VALU_DEP_4) | instskip(NEXT) | instid1(VALU_DEP_4)
	v_pk_fma_f16 v24, v38, v22, v24
	v_pk_fma_f16 v20, v39, v22, v20
	v_lshrrev_b32_e32 v22, 16, v0
	v_and_b32_e32 v0, 0xffff, v0
	s_delay_alu instid0(VALU_DEP_4) | instskip(NEXT) | instid1(VALU_DEP_4)
	v_pk_fma_f16 v24, v28, v21, v24
	v_pk_fma_f16 v20, v29, v21, v20
	v_lshrrev_b32_e32 v21, 16, v1
	s_delay_alu instid0(VALU_DEP_4)
	v_mul_u32_u24_e32 v0, 0x10001, v0
	v_and_b32_e32 v1, 0xffff, v1
	v_pk_fma_f16 v24, v30, v23, v24
	v_pk_fma_f16 v20, v31, v23, v20
	v_mul_u32_u24_e32 v22, 0x10001, v22
	v_and_b32_e32 v23, 0xffff, v2
	v_mul_u32_u24_e32 v1, 0x10001, v1
	v_pk_fma_f16 v16, v16, v0, v24
	v_pk_fma_f16 v0, v17, v0, v20
	v_mul_u32_u24_e32 v21, 0x10001, v21
	s_delay_alu instid0(VALU_DEP_3) | instskip(NEXT) | instid1(VALU_DEP_3)
	v_pk_fma_f16 v20, v18, v22, v16
	v_pk_fma_f16 v0, v19, v22, v0
	ds_load_b128 v[16:19], v66 offset:32
	v_pk_fma_f16 v12, v12, v1, v20
	v_pk_fma_f16 v0, v13, v1, v0
	v_lshrrev_b32_e32 v1, 16, v2
	v_mul_u32_u24_e32 v2, 0x10001, v23
	s_delay_alu instid0(VALU_DEP_4) | instskip(NEXT) | instid1(VALU_DEP_4)
	v_pk_fma_f16 v20, v14, v21, v12
	v_pk_fma_f16 v0, v15, v21, v0
	v_and_b32_e32 v21, 0xffff, v3
	ds_load_2addr_b64 v[12:15], v54 offset1:24
	v_mul_u32_u24_e32 v22, 0x10001, v1
	v_pk_fma_f16 v8, v8, v2, v20
	v_pk_fma_f16 v9, v9, v2, v0
	v_lshrrev_b32_e32 v20, 16, v3
	v_mul_u32_u24_e32 v21, 0x10001, v21
	ds_load_b128 v[0:3], v66 offset:48
	v_pk_fma_f16 v23, v10, v22, v8
	v_pk_fma_f16 v22, v11, v22, v9
	ds_load_2addr_b64 v[8:11], v54 offset0:48 offset1:72
	v_mul_u32_u24_e32 v20, 0x10001, v20
	s_wait_dscnt 0x3
	v_and_b32_e32 v24, 0xffff, v16
	v_pk_fma_f16 v4, v4, v21, v23
	v_pk_fma_f16 v5, v5, v21, v22
	v_lshrrev_b32_e32 v16, 16, v16
	v_and_b32_e32 v23, 0xffff, v17
	v_mul_u32_u24_e32 v21, 0x10001, v24
	v_pk_fma_f16 v22, v6, v20, v4
	v_pk_fma_f16 v20, v7, v20, v5
	ds_load_2addr_b64 v[4:7], v54 offset0:96 offset1:120
	v_mul_u32_u24_e32 v16, 0x10001, v16
	v_lshrrev_b32_e32 v17, 16, v17
	s_wait_dscnt 0x3
	v_pk_fma_f16 v12, v12, v21, v22
	v_pk_fma_f16 v13, v13, v21, v20
	v_mul_u32_u24_e32 v20, 0x10001, v23
	v_and_b32_e32 v24, 0xffff, v18
	v_mul_u32_u24_e32 v17, 0x10001, v17
	v_pk_fma_f16 v21, v14, v16, v12
	v_pk_fma_f16 v16, v15, v16, v13
	ds_load_2addr_b64 v[12:15], v54 offset0:144 offset1:168
	v_and_b32_e32 v28, 0xffff, v19
	s_wait_dscnt 0x2
	v_pk_fma_f16 v8, v8, v20, v21
	v_pk_fma_f16 v9, v9, v20, v16
	v_lshrrev_b32_e32 v16, 16, v18
	v_mul_u32_u24_e32 v18, 0x10001, v24
	ds_load_2addr_b64 v[20:23], v54 offset0:192 offset1:216
	v_pk_fma_f16 v24, v10, v17, v8
	v_pk_fma_f16 v17, v11, v17, v9
	v_mul_u32_u24_e32 v16, 0x10001, v16
	ds_load_2addr_b64 v[8:11], v78 offset0:112 offset1:136
	s_wait_dscnt 0x3
	v_pk_fma_f16 v4, v4, v18, v24
	v_pk_fma_f16 v5, v5, v18, v17
	v_lshrrev_b32_e32 v17, 16, v19
	v_mul_u32_u24_e32 v18, 0x10001, v28
	v_and_b32_e32 v28, 0xffff, v0
	v_pk_fma_f16 v19, v6, v16, v4
	v_pk_fma_f16 v16, v7, v16, v5
	v_mul_u32_u24_e32 v17, 0x10001, v17
	v_lshrrev_b32_e32 v0, 16, v0
	ds_load_2addr_b64 v[24:27], v77 offset0:32 offset1:56
	s_wait_dscnt 0x3
	v_pk_fma_f16 v12, v12, v18, v19
	v_pk_fma_f16 v13, v13, v18, v16
	v_mul_u32_u24_e32 v16, 0x10001, v28
	v_mul_u32_u24_e32 v0, 0x10001, v0
	ds_load_2addr_b64 v[4:7], v77 offset0:80 offset1:104
	v_pk_fma_f16 v12, v14, v17, v12
	v_pk_fma_f16 v13, v15, v17, v13
	v_and_b32_e32 v14, 0xffff, v1
	v_lshrrev_b32_e32 v1, 16, v1
	s_wait_loadcnt_dscnt 0x0
	v_pk_fma_f16 v12, v20, v16, v12
	v_pk_fma_f16 v13, v21, v16, v13
	v_mul_u32_u24_e32 v14, 0x10001, v14
	v_mul_u32_u24_e32 v1, 0x10001, v1
	s_barrier_signal -1
	v_pk_fma_f16 v12, v22, v0, v12
	v_pk_fma_f16 v0, v23, v0, v13
	v_and_b32_e32 v13, 0xffff, v2
	s_barrier_wait -1
	global_inv scope:SCOPE_SE
	v_pk_fma_f16 v8, v8, v14, v12
	v_pk_fma_f16 v0, v9, v14, v0
	s_load_b32 s6, s[20:21], 0x4
	v_lshrrev_b32_e32 v2, 16, v2
	v_mul_u32_u24_e32 v9, 0x10001, v13
	v_pk_fma_f16 v8, v10, v1, v8
	v_pk_fma_f16 v0, v11, v1, v0
	v_and_b32_e32 v1, 0xffff, v3
	v_mul_u32_u24_e32 v2, 0x10001, v2
	v_lshrrev_b32_e32 v3, 16, v3
	v_pk_fma_f16 v8, v24, v9, v8
	v_pk_fma_f16 v0, v25, v9, v0
	v_mul_u32_u24_e32 v1, 0x10001, v1
	s_delay_alu instid0(VALU_DEP_3) | instskip(NEXT) | instid1(VALU_DEP_3)
	v_pk_fma_f16 v8, v26, v2, v8
	v_pk_fma_f16 v0, v27, v2, v0
	v_mul_u32_u24_e32 v2, 0x10001, v3
	s_delay_alu instid0(VALU_DEP_3) | instskip(NEXT) | instid1(VALU_DEP_3)
	v_pk_fma_f16 v3, v4, v1, v8
	v_pk_fma_f16 v0, v5, v1, v0
	s_wait_kmcnt 0x0
	s_lshl_b32 s6, s6, 5
	s_wait_alu 0xfffe
	s_add_co_i32 s14, s6, s14
	v_pk_fma_f16 v65, v6, v2, v3
	v_pk_fma_f16 v74, v7, v2, v0
	s_wait_alu 0xfffe
	s_cmp_ge_i32 s14, s30
	s_cbranch_scc1 .LBB13_29
; %bb.28:                               ;   in Loop: Header=BB13_11 Depth=1
	v_dual_mov_b32 v76, v50 :: v_dual_mov_b32 v73, v75
	s_branch .LBB13_11
.LBB13_29:
	v_mov_b32_e32 v1, v55
.LBB13_30:
	v_cmp_lt_i32_e32 vcc_lo, v61, v56
	s_cmp_lg_u64 s[12:13], 0
	s_cselect_b32 s3, -1, 0
	s_cmp_eq_u32 s10, 0
	s_wait_alu 0xfffd
	v_cndmask_b32_e32 v0, v1, v61, vcc_lo
	v_cmp_lt_i32_e32 vcc_lo, v60, v56
	s_cselect_b32 s4, -1, 0
	s_wait_alu 0xfffe
	s_and_b32 s3, s4, s3
	s_wait_alu 0xfffd
	v_cndmask_b32_e32 v2, v1, v60, vcc_lo
	v_cmp_lt_i32_e32 vcc_lo, v59, v56
	s_wait_alu 0xfffd
	s_delay_alu instid0(VALU_DEP_2) | instskip(SKIP_1) | instid1(VALU_DEP_2)
	v_dual_cndmask_b32 v3, v1, v59 :: v_dual_lshlrev_b32 v2, 2, v2
	v_cmp_lt_i32_e32 vcc_lo, v58, v56
	v_lshlrev_b32_e32 v3, 2, v3
	v_lshlrev_b32_e32 v0, 2, v0
	ds_bpermute_b32 v0, v0, v75
	s_wait_dscnt 0x0
	v_add_f32_e32 v0, v75, v0
	ds_bpermute_b32 v2, v2, v0
	s_wait_dscnt 0x0
	v_add_f32_e32 v0, v0, v2
	ds_bpermute_b32 v2, v3, v0
	s_wait_alu 0xfffd
	v_cndmask_b32_e32 v3, v1, v58, vcc_lo
	v_cmp_lt_i32_e32 vcc_lo, v57, v56
	s_delay_alu instid0(VALU_DEP_2)
	v_lshlrev_b32_e32 v3, 2, v3
	s_wait_alu 0xfffd
	v_cndmask_b32_e32 v1, v1, v57, vcc_lo
	s_wait_alu 0xfffe
	s_and_b32 vcc_lo, exec_lo, s3
	s_wait_dscnt 0x0
	s_delay_alu instid0(VALU_DEP_1)
	v_dual_add_f32 v0, v0, v2 :: v_dual_lshlrev_b32 v1, 2, v1
	ds_bpermute_b32 v2, v3, v0
	s_wait_dscnt 0x0
	v_add_f32_e32 v2, v0, v2
	v_add_nc_u32_e32 v0, s11, v51
	ds_bpermute_b32 v1, v1, v2
	s_wait_dscnt 0x0
	v_add_f32_e32 v51, v2, v1
	s_wait_alu 0xfffe
	s_cbranch_vccz .LBB13_32
; %bb.31:
	v_ashrrev_i32_e32 v1, 31, v0
	s_delay_alu instid0(VALU_DEP_1) | instskip(NEXT) | instid1(VALU_DEP_1)
	v_lshlrev_b64_e32 v[1:2], 2, v[0:1]
	v_add_co_u32 v1, vcc_lo, s12, v1
	s_wait_alu 0xfffd
	s_delay_alu instid0(VALU_DEP_2) | instskip(SKIP_3) | instid1(VALU_DEP_1)
	v_add_co_ci_u32_e64 v2, null, s13, v2, vcc_lo
	global_load_b32 v1, v[1:2], off
	s_wait_loadcnt 0x0
	v_dual_max_num_f32 v2, v50, v50 :: v_dual_max_num_f32 v3, v1, v1
	v_max_num_f32_e32 v2, v2, v3
	s_delay_alu instid0(VALU_DEP_1) | instskip(NEXT) | instid1(VALU_DEP_1)
	v_sub_f32_e32 v1, v1, v2
	v_mul_f32_e32 v7, 0x3fb8aa3b, v1
	v_sub_f32_e32 v3, v50, v2
	v_mov_b32_e32 v50, v2
	s_delay_alu instid0(VALU_DEP_3) | instskip(NEXT) | instid1(VALU_DEP_3)
	v_rndne_f32_e32 v9, v7
	v_mul_f32_e32 v4, 0x3fb8aa3b, v3
	s_delay_alu instid0(VALU_DEP_1) | instskip(SKIP_1) | instid1(VALU_DEP_1)
	v_fma_f32 v5, 0x3fb8aa3b, v3, -v4
	v_rndne_f32_e32 v6, v4
	v_dual_fmac_f32 v5, 0x32a5705f, v3 :: v_dual_sub_f32 v4, v4, v6
	v_cvt_i32_f32_e32 v6, v6
	s_delay_alu instid0(VALU_DEP_2) | instskip(SKIP_2) | instid1(VALU_DEP_3)
	v_add_f32_e32 v4, v4, v5
	v_cmp_ngt_f32_e32 vcc_lo, 0xc2ce8ed0, v3
	v_sub_f32_e32 v5, v7, v9
	v_exp_f32_e32 v4, v4
	s_delay_alu instid0(TRANS32_DEP_1) | instskip(SKIP_2) | instid1(VALU_DEP_2)
	v_ldexp_f32 v4, v4, v6
	v_cvt_i32_f32_e32 v6, v9
	s_wait_alu 0xfffd
	v_cndmask_b32_e32 v4, 0, v4, vcc_lo
	v_fma_f32 v8, 0x3fb8aa3b, v1, -v7
	v_cmp_nlt_f32_e32 vcc_lo, 0x42b17218, v3
	s_wait_alu 0xfffd
	s_delay_alu instid0(VALU_DEP_3) | instskip(NEXT) | instid1(VALU_DEP_3)
	v_cndmask_b32_e32 v3, 0x7f800000, v4, vcc_lo
	v_fmac_f32_e32 v8, 0x32a5705f, v1
	v_cmp_ngt_f32_e32 vcc_lo, 0xc2ce8ed0, v1
	s_delay_alu instid0(VALU_DEP_2) | instskip(NEXT) | instid1(VALU_DEP_1)
	v_add_f32_e32 v5, v5, v8
	v_exp_f32_e32 v5, v5
	s_delay_alu instid0(TRANS32_DEP_1) | instskip(SKIP_1) | instid1(VALU_DEP_1)
	v_ldexp_f32 v5, v5, v6
	s_wait_alu 0xfffd
	v_cndmask_b32_e32 v4, 0, v5, vcc_lo
	v_cvt_f16_f32_e32 v5, v3
	v_cmp_nlt_f32_e32 vcc_lo, 0x42b17218, v1
	s_wait_alu 0xfffd
	s_delay_alu instid0(VALU_DEP_3) | instskip(NEXT) | instid1(VALU_DEP_1)
	v_cndmask_b32_e32 v1, 0x7f800000, v4, vcc_lo
	v_dual_fmac_f32 v1, v51, v3 :: v_dual_and_b32 v4, 0xffff, v5
	s_delay_alu instid0(VALU_DEP_1) | instskip(NEXT) | instid1(VALU_DEP_2)
	v_mul_u32_u24_e32 v3, 0x10001, v4
	v_mov_b32_e32 v51, v1
	s_delay_alu instid0(VALU_DEP_2)
	v_pk_mul_f16 v65, v65, v3
	v_pk_mul_f16 v74, v74, v3
.LBB13_32:
	s_load_b32 s0, s[0:1], 0xd4
	s_mul_i32 s1, s28, s22
	s_wait_alu 0xfffe
	v_add3_u32 v1, s1, ttmp9, v52
	s_delay_alu instid0(VALU_DEP_1) | instskip(SKIP_1) | instid1(VALU_DEP_1)
	v_mad_co_u64_u32 v[0:1], null, v1, s23, v[0:1]
	s_wait_kmcnt 0x0
	v_mad_co_u64_u32 v[0:1], null, s0, v0, s[10:11]
	s_cmp_lg_u32 s0, 1
	s_cselect_b32 s0, -1, 0
	s_and_saveexec_b32 s1, s2
	s_cbranch_execz .LBB13_34
; %bb.33:
	v_div_scale_f32 v1, null, v51, v51, 1.0
	v_div_scale_f32 v4, vcc_lo, 1.0, v51, 1.0
	v_mul_lo_u32 v6, 0x60, v0
	s_delay_alu instid0(VALU_DEP_3) | instskip(SKIP_2) | instid1(TRANS32_DEP_1)
	v_rcp_f32_e32 v3, v1
	v_cvt_f32_f16_e32 v7, v74
	v_cvt_f32_f16_e32 v8, v65
	v_fma_f32 v2, -v1, v3, 1.0
	s_delay_alu instid0(VALU_DEP_1) | instskip(NEXT) | instid1(VALU_DEP_1)
	v_fmac_f32_e32 v3, v2, v3
	v_mul_f32_e32 v5, v4, v3
	s_delay_alu instid0(VALU_DEP_1) | instskip(NEXT) | instid1(VALU_DEP_1)
	v_fma_f32 v2, -v1, v5, v4
	v_dual_fmac_f32 v5, v2, v3 :: v_dual_mov_b32 v2, 0
	s_delay_alu instid0(VALU_DEP_1) | instskip(SKIP_2) | instid1(VALU_DEP_2)
	v_fma_f32 v1, -v1, v5, v4
	v_lshrrev_b32_e32 v4, 16, v74
	s_wait_alu 0xfffd
	v_div_fmas_f32 v3, v1, v3, v5
	v_lshl_add_u32 v1, v40, 2, v6
	v_lshrrev_b32_e32 v5, 16, v65
	v_cvt_f32_f16_e32 v4, v4
	s_delay_alu instid0(VALU_DEP_4) | instskip(NEXT) | instid1(VALU_DEP_4)
	v_div_fixup_f32 v3, v3, v51, 1.0
	v_lshlrev_b64_e32 v[1:2], 2, v[1:2]
	s_delay_alu instid0(VALU_DEP_4) | instskip(SKIP_1) | instid1(VALU_DEP_3)
	v_cvt_f32_f16_e32 v9, v5
	s_wait_alu 0xfffe
	v_cndmask_b32_e64 v10, v3, 1.0, s0
	s_delay_alu instid0(VALU_DEP_3) | instskip(SKIP_2) | instid1(VALU_DEP_3)
	v_add_co_u32 v5, vcc_lo, s16, v1
	s_wait_alu 0xfffd
	v_add_co_ci_u32_e64 v6, null, s17, v2, vcc_lo
	v_mul_f32_e32 v4, v10, v4
	v_mul_f32_e32 v3, v10, v7
	;; [unrolled: 1-line block ×4, first 2 shown]
	global_store_b128 v[5:6], v[1:4], off
.LBB13_34:
	s_wait_alu 0xfffe
	s_or_b32 exec_lo, exec_lo, s1
	v_cmp_eq_u32_e32 vcc_lo, 0, v40
	s_and_b32 s0, vcc_lo, s0
	s_wait_alu 0xfffe
	s_and_saveexec_b32 s1, s0
	s_cbranch_execz .LBB13_36
; %bb.35:
	v_ashrrev_i32_e32 v1, 31, v0
	s_delay_alu instid0(VALU_DEP_1) | instskip(NEXT) | instid1(VALU_DEP_1)
	v_lshlrev_b64_e32 v[0:1], 3, v[0:1]
	v_add_co_u32 v0, vcc_lo, s18, v0
	s_wait_alu 0xfffd
	s_delay_alu instid0(VALU_DEP_2)
	v_add_co_ci_u32_e64 v1, null, s19, v1, vcc_lo
	global_store_b64 v[0:1], v[50:51], off
.LBB13_36:
	s_endpgm
	.section	.rodata,"a",@progbits
	.p2align	6, 0x0
	.amdhsa_kernel _ZL15flash_attn_tileILi96ELi96ELi1ELi8ELb0EEvPKcS1_S1_S1_S1_PKiPfP15HIP_vector_typeIfLj2EEffffjfiS5_IjLj3EEiiiiiiiiiiiliiliiiiil
		.amdhsa_group_segment_fixed_size 5760
		.amdhsa_private_segment_fixed_size 0
		.amdhsa_kernarg_size 464
		.amdhsa_user_sgpr_count 2
		.amdhsa_user_sgpr_dispatch_ptr 0
		.amdhsa_user_sgpr_queue_ptr 0
		.amdhsa_user_sgpr_kernarg_segment_ptr 1
		.amdhsa_user_sgpr_dispatch_id 0
		.amdhsa_user_sgpr_private_segment_size 0
		.amdhsa_wavefront_size32 1
		.amdhsa_uses_dynamic_stack 0
		.amdhsa_enable_private_segment 0
		.amdhsa_system_sgpr_workgroup_id_x 1
		.amdhsa_system_sgpr_workgroup_id_y 1
		.amdhsa_system_sgpr_workgroup_id_z 1
		.amdhsa_system_sgpr_workgroup_info 0
		.amdhsa_system_vgpr_workitem_id 1
		.amdhsa_next_free_vgpr 84
		.amdhsa_next_free_sgpr 46
		.amdhsa_reserve_vcc 1
		.amdhsa_float_round_mode_32 0
		.amdhsa_float_round_mode_16_64 0
		.amdhsa_float_denorm_mode_32 3
		.amdhsa_float_denorm_mode_16_64 3
		.amdhsa_fp16_overflow 0
		.amdhsa_workgroup_processor_mode 1
		.amdhsa_memory_ordered 1
		.amdhsa_forward_progress 1
		.amdhsa_inst_pref_size 46
		.amdhsa_round_robin_scheduling 0
		.amdhsa_exception_fp_ieee_invalid_op 0
		.amdhsa_exception_fp_denorm_src 0
		.amdhsa_exception_fp_ieee_div_zero 0
		.amdhsa_exception_fp_ieee_overflow 0
		.amdhsa_exception_fp_ieee_underflow 0
		.amdhsa_exception_fp_ieee_inexact 0
		.amdhsa_exception_int_div_zero 0
	.end_amdhsa_kernel
	.section	.text._ZL15flash_attn_tileILi96ELi96ELi1ELi8ELb0EEvPKcS1_S1_S1_S1_PKiPfP15HIP_vector_typeIfLj2EEffffjfiS5_IjLj3EEiiiiiiiiiiiliiliiiiil,"axG",@progbits,_ZL15flash_attn_tileILi96ELi96ELi1ELi8ELb0EEvPKcS1_S1_S1_S1_PKiPfP15HIP_vector_typeIfLj2EEffffjfiS5_IjLj3EEiiiiiiiiiiiliiliiiiil,comdat
.Lfunc_end13:
	.size	_ZL15flash_attn_tileILi96ELi96ELi1ELi8ELb0EEvPKcS1_S1_S1_S1_PKiPfP15HIP_vector_typeIfLj2EEffffjfiS5_IjLj3EEiiiiiiiiiiiliiliiiiil, .Lfunc_end13-_ZL15flash_attn_tileILi96ELi96ELi1ELi8ELb0EEvPKcS1_S1_S1_S1_PKiPfP15HIP_vector_typeIfLj2EEffffjfiS5_IjLj3EEiiiiiiiiiiiliiliiiiil
                                        ; -- End function
	.set _ZL15flash_attn_tileILi96ELi96ELi1ELi8ELb0EEvPKcS1_S1_S1_S1_PKiPfP15HIP_vector_typeIfLj2EEffffjfiS5_IjLj3EEiiiiiiiiiiiliiliiiiil.num_vgpr, 84
	.set _ZL15flash_attn_tileILi96ELi96ELi1ELi8ELb0EEvPKcS1_S1_S1_S1_PKiPfP15HIP_vector_typeIfLj2EEffffjfiS5_IjLj3EEiiiiiiiiiiiliiliiiiil.num_agpr, 0
	.set _ZL15flash_attn_tileILi96ELi96ELi1ELi8ELb0EEvPKcS1_S1_S1_S1_PKiPfP15HIP_vector_typeIfLj2EEffffjfiS5_IjLj3EEiiiiiiiiiiiliiliiiiil.numbered_sgpr, 46
	.set _ZL15flash_attn_tileILi96ELi96ELi1ELi8ELb0EEvPKcS1_S1_S1_S1_PKiPfP15HIP_vector_typeIfLj2EEffffjfiS5_IjLj3EEiiiiiiiiiiiliiliiiiil.num_named_barrier, 0
	.set _ZL15flash_attn_tileILi96ELi96ELi1ELi8ELb0EEvPKcS1_S1_S1_S1_PKiPfP15HIP_vector_typeIfLj2EEffffjfiS5_IjLj3EEiiiiiiiiiiiliiliiiiil.private_seg_size, 0
	.set _ZL15flash_attn_tileILi96ELi96ELi1ELi8ELb0EEvPKcS1_S1_S1_S1_PKiPfP15HIP_vector_typeIfLj2EEffffjfiS5_IjLj3EEiiiiiiiiiiiliiliiiiil.uses_vcc, 1
	.set _ZL15flash_attn_tileILi96ELi96ELi1ELi8ELb0EEvPKcS1_S1_S1_S1_PKiPfP15HIP_vector_typeIfLj2EEffffjfiS5_IjLj3EEiiiiiiiiiiiliiliiiiil.uses_flat_scratch, 0
	.set _ZL15flash_attn_tileILi96ELi96ELi1ELi8ELb0EEvPKcS1_S1_S1_S1_PKiPfP15HIP_vector_typeIfLj2EEffffjfiS5_IjLj3EEiiiiiiiiiiiliiliiiiil.has_dyn_sized_stack, 0
	.set _ZL15flash_attn_tileILi96ELi96ELi1ELi8ELb0EEvPKcS1_S1_S1_S1_PKiPfP15HIP_vector_typeIfLj2EEffffjfiS5_IjLj3EEiiiiiiiiiiiliiliiiiil.has_recursion, 0
	.set _ZL15flash_attn_tileILi96ELi96ELi1ELi8ELb0EEvPKcS1_S1_S1_S1_PKiPfP15HIP_vector_typeIfLj2EEffffjfiS5_IjLj3EEiiiiiiiiiiiliiliiiiil.has_indirect_call, 0
	.section	.AMDGPU.csdata,"",@progbits
; Kernel info:
; codeLenInByte = 5792
; TotalNumSgprs: 48
; NumVgprs: 84
; ScratchSize: 0
; MemoryBound: 0
; FloatMode: 240
; IeeeMode: 1
; LDSByteSize: 5760 bytes/workgroup (compile time only)
; SGPRBlocks: 0
; VGPRBlocks: 10
; NumSGPRsForWavesPerEU: 48
; NumVGPRsForWavesPerEU: 84
; Occupancy: 16
; WaveLimiterHint : 1
; COMPUTE_PGM_RSRC2:SCRATCH_EN: 0
; COMPUTE_PGM_RSRC2:USER_SGPR: 2
; COMPUTE_PGM_RSRC2:TRAP_HANDLER: 0
; COMPUTE_PGM_RSRC2:TGID_X_EN: 1
; COMPUTE_PGM_RSRC2:TGID_Y_EN: 1
; COMPUTE_PGM_RSRC2:TGID_Z_EN: 1
; COMPUTE_PGM_RSRC2:TIDIG_COMP_CNT: 1
	.section	.text._ZL25flash_attn_mask_to_KV_maxILi1EEvPK7__half2Piiii,"axG",@progbits,_ZL25flash_attn_mask_to_KV_maxILi1EEvPK7__half2Piiii,comdat
	.globl	_ZL25flash_attn_mask_to_KV_maxILi1EEvPK7__half2Piiii ; -- Begin function _ZL25flash_attn_mask_to_KV_maxILi1EEvPK7__half2Piiii
	.p2align	8
	.type	_ZL25flash_attn_mask_to_KV_maxILi1EEvPK7__half2Piiii,@function
_ZL25flash_attn_mask_to_KV_maxILi1EEvPK7__half2Piiii: ; @_ZL25flash_attn_mask_to_KV_maxILi1EEvPK7__half2Piiii
; %bb.0:
	s_load_b64 s[4:5], s[0:1], 0x0
	s_mov_b32 s2, exec_lo
	v_cmpx_gt_u32_e32 32, v0
; %bb.1:
	v_dual_mov_b32 v2, 1 :: v_dual_lshlrev_b32 v1, 2, v0
	ds_store_b32 v1, v2
; %bb.2:
	s_or_b32 exec_lo, exec_lo, s2
	s_clause 0x2
	s_load_b96 s[8:10], s[0:1], 0x10
	s_load_b64 s[2:3], s[0:1], 0x8
	s_load_b32 s1, s[0:1], 0x20
	v_dual_mov_b32 v2, 0 :: v_dual_and_b32 v1, 31, v0
	v_lshrrev_b32_e32 v3, 3, v0
	s_wait_dscnt 0x0
	s_barrier_signal -1
	s_delay_alu instid0(VALU_DEP_2)
	v_lshlrev_b32_e32 v4, 2, v1
	s_barrier_wait -1
	global_inv scope:SCOPE_SE
	s_wait_kmcnt 0x0
	s_mul_i32 s0, s10, ttmp7
	s_mul_i32 s6, s9, ttmp9
	s_delay_alu instid0(SALU_CYCLE_1) | instskip(SKIP_2) | instid1(SALU_CYCLE_1)
	s_add_co_i32 s6, s0, s6
	v_cmp_eq_u32_e64 s0, 0, v1
	s_ashr_i32 s7, s6, 31
	s_lshl_b64 s[6:7], s[6:7], 2
	s_delay_alu instid0(SALU_CYCLE_1)
	s_add_nc_u64 s[4:5], s[4:5], s[6:7]
	s_lshl_b32 s7, s8, 8
	s_branch .LBB14_4
.LBB14_3:                               ;   in Loop: Header=BB14_4 Depth=1
	s_wait_alu 0xfffe
	s_or_b32 exec_lo, exec_lo, s9
	s_wait_dscnt 0x0
	s_barrier_signal -1
	s_barrier_wait -1
	global_inv scope:SCOPE_SE
	ds_load_b32 v1, v4
	s_wait_loadcnt_dscnt 0x0
	s_barrier_signal -1
	s_barrier_wait -1
	global_inv scope:SCOPE_SE
	v_cmp_ne_u32_e32 vcc_lo, 0, v1
	s_cmp_lg_u32 vcc_lo, exec_lo
	s_cselect_b32 s8, -1, 0
	s_wait_alu 0xfffe
	s_and_b32 vcc_lo, exec_lo, s8
	s_wait_alu 0xfffe
	s_cbranch_vccnz .LBB14_8
.LBB14_4:                               ; =>This Inner Loop Header: Depth=1
	s_mov_b32 s6, s7
	s_addk_co_i32 s7, 0xff00
	s_delay_alu instid0(SALU_CYCLE_1)
	s_cmp_lt_i32 s7, 0
	s_cbranch_scc1 .LBB14_7
; %bb.5:                                ;   in Loop: Header=BB14_4 Depth=1
	s_lshr_b32 s9, s7, 1
	s_mov_b32 s8, exec_lo
	s_wait_alu 0xfffe
	v_add_nc_u32_e32 v1, s9, v0
	s_delay_alu instid0(VALU_DEP_1) | instskip(NEXT) | instid1(VALU_DEP_1)
	v_lshlrev_b64_e32 v[5:6], 2, v[1:2]
	v_add_co_u32 v5, vcc_lo, s4, v5
	s_wait_alu 0xfffd
	s_delay_alu instid0(VALU_DEP_2) | instskip(SKIP_4) | instid1(VALU_DEP_2)
	v_add_co_ci_u32_e64 v6, null, s5, v6, vcc_lo
	global_load_b32 v1, v[5:6], off
	s_wait_loadcnt 0x0
	v_lshrrev_b32_e32 v5, 16, v1
	v_cmp_class_f16_e64 s9, v1, 0x204
	v_cmp_class_f16_e64 s10, v5, 0x204
	s_and_b32 s9, s9, s10
	s_wait_alu 0xfffe
	v_cndmask_b32_e64 v1, 0, 1, s9
	s_delay_alu instid0(VALU_DEP_1)
	v_cmp_ne_u32_e32 vcc_lo, 0, v1
	s_and_saveexec_b32 s9, s0
	s_cbranch_execz .LBB14_3
; %bb.6:                                ;   in Loop: Header=BB14_4 Depth=1
	s_cmp_eq_u32 vcc_lo, s8
	s_cselect_b32 s8, -1, 0
	s_wait_alu 0xfffe
	v_cndmask_b32_e64 v1, 0, 1, s8
	ds_store_b32 v3, v1
	s_branch .LBB14_3
.LBB14_7:                               ;   in Loop: Header=BB14_4 Depth=1
	s_cbranch_execz .LBB14_4
.LBB14_8:
	s_mov_b32 s0, exec_lo
	v_cmpx_eq_u32_e32 0, v0
	s_cbranch_execz .LBB14_10
; %bb.9:
	s_mul_i32 s0, s1, ttmp7
	v_dual_mov_b32 v0, 0 :: v_dual_mov_b32 v1, s6
	s_add_co_i32 s0, s0, ttmp9
	s_delay_alu instid0(SALU_CYCLE_1) | instskip(NEXT) | instid1(SALU_CYCLE_1)
	s_ashr_i32 s1, s0, 31
	s_lshl_b64 s[0:1], s[0:1], 2
	s_delay_alu instid0(SALU_CYCLE_1)
	s_add_nc_u64 s[0:1], s[2:3], s[0:1]
	global_store_b32 v0, v1, s[0:1]
.LBB14_10:
	s_endpgm
	.section	.rodata,"a",@progbits
	.p2align	6, 0x0
	.amdhsa_kernel _ZL25flash_attn_mask_to_KV_maxILi1EEvPK7__half2Piiii
		.amdhsa_group_segment_fixed_size 128
		.amdhsa_private_segment_fixed_size 0
		.amdhsa_kernarg_size 288
		.amdhsa_user_sgpr_count 2
		.amdhsa_user_sgpr_dispatch_ptr 0
		.amdhsa_user_sgpr_queue_ptr 0
		.amdhsa_user_sgpr_kernarg_segment_ptr 1
		.amdhsa_user_sgpr_dispatch_id 0
		.amdhsa_user_sgpr_private_segment_size 0
		.amdhsa_wavefront_size32 1
		.amdhsa_uses_dynamic_stack 0
		.amdhsa_enable_private_segment 0
		.amdhsa_system_sgpr_workgroup_id_x 1
		.amdhsa_system_sgpr_workgroup_id_y 1
		.amdhsa_system_sgpr_workgroup_id_z 0
		.amdhsa_system_sgpr_workgroup_info 0
		.amdhsa_system_vgpr_workitem_id 0
		.amdhsa_next_free_vgpr 7
		.amdhsa_next_free_sgpr 11
		.amdhsa_reserve_vcc 1
		.amdhsa_float_round_mode_32 0
		.amdhsa_float_round_mode_16_64 0
		.amdhsa_float_denorm_mode_32 3
		.amdhsa_float_denorm_mode_16_64 3
		.amdhsa_fp16_overflow 0
		.amdhsa_workgroup_processor_mode 1
		.amdhsa_memory_ordered 1
		.amdhsa_forward_progress 1
		.amdhsa_inst_pref_size 4
		.amdhsa_round_robin_scheduling 0
		.amdhsa_exception_fp_ieee_invalid_op 0
		.amdhsa_exception_fp_denorm_src 0
		.amdhsa_exception_fp_ieee_div_zero 0
		.amdhsa_exception_fp_ieee_overflow 0
		.amdhsa_exception_fp_ieee_underflow 0
		.amdhsa_exception_fp_ieee_inexact 0
		.amdhsa_exception_int_div_zero 0
	.end_amdhsa_kernel
	.section	.text._ZL25flash_attn_mask_to_KV_maxILi1EEvPK7__half2Piiii,"axG",@progbits,_ZL25flash_attn_mask_to_KV_maxILi1EEvPK7__half2Piiii,comdat
.Lfunc_end14:
	.size	_ZL25flash_attn_mask_to_KV_maxILi1EEvPK7__half2Piiii, .Lfunc_end14-_ZL25flash_attn_mask_to_KV_maxILi1EEvPK7__half2Piiii
                                        ; -- End function
	.set _ZL25flash_attn_mask_to_KV_maxILi1EEvPK7__half2Piiii.num_vgpr, 7
	.set _ZL25flash_attn_mask_to_KV_maxILi1EEvPK7__half2Piiii.num_agpr, 0
	.set _ZL25flash_attn_mask_to_KV_maxILi1EEvPK7__half2Piiii.numbered_sgpr, 11
	.set _ZL25flash_attn_mask_to_KV_maxILi1EEvPK7__half2Piiii.num_named_barrier, 0
	.set _ZL25flash_attn_mask_to_KV_maxILi1EEvPK7__half2Piiii.private_seg_size, 0
	.set _ZL25flash_attn_mask_to_KV_maxILi1EEvPK7__half2Piiii.uses_vcc, 1
	.set _ZL25flash_attn_mask_to_KV_maxILi1EEvPK7__half2Piiii.uses_flat_scratch, 0
	.set _ZL25flash_attn_mask_to_KV_maxILi1EEvPK7__half2Piiii.has_dyn_sized_stack, 0
	.set _ZL25flash_attn_mask_to_KV_maxILi1EEvPK7__half2Piiii.has_recursion, 0
	.set _ZL25flash_attn_mask_to_KV_maxILi1EEvPK7__half2Piiii.has_indirect_call, 0
	.section	.AMDGPU.csdata,"",@progbits
; Kernel info:
; codeLenInByte = 496
; TotalNumSgprs: 13
; NumVgprs: 7
; ScratchSize: 0
; MemoryBound: 0
; FloatMode: 240
; IeeeMode: 1
; LDSByteSize: 128 bytes/workgroup (compile time only)
; SGPRBlocks: 0
; VGPRBlocks: 0
; NumSGPRsForWavesPerEU: 13
; NumVGPRsForWavesPerEU: 7
; Occupancy: 16
; WaveLimiterHint : 0
; COMPUTE_PGM_RSRC2:SCRATCH_EN: 0
; COMPUTE_PGM_RSRC2:USER_SGPR: 2
; COMPUTE_PGM_RSRC2:TRAP_HANDLER: 0
; COMPUTE_PGM_RSRC2:TGID_X_EN: 1
; COMPUTE_PGM_RSRC2:TGID_Y_EN: 1
; COMPUTE_PGM_RSRC2:TGID_Z_EN: 0
; COMPUTE_PGM_RSRC2:TIDIG_COMP_CNT: 0
	.section	.text._ZL33flash_attn_stream_k_fixup_uniformILi96ELi1ELi8EEvPfPK15HIP_vector_typeIfLj2EEiiiiiiS1_IjLj3EES5_S5_,"axG",@progbits,_ZL33flash_attn_stream_k_fixup_uniformILi96ELi1ELi8EEvPfPK15HIP_vector_typeIfLj2EEiiiiiiS1_IjLj3EES5_S5_,comdat
	.globl	_ZL33flash_attn_stream_k_fixup_uniformILi96ELi1ELi8EEvPfPK15HIP_vector_typeIfLj2EEiiiiiiS1_IjLj3EES5_S5_ ; -- Begin function _ZL33flash_attn_stream_k_fixup_uniformILi96ELi1ELi8EEvPfPK15HIP_vector_typeIfLj2EEiiiiiiS1_IjLj3EES5_S5_
	.p2align	8
	.type	_ZL33flash_attn_stream_k_fixup_uniformILi96ELi1ELi8EEvPfPK15HIP_vector_typeIfLj2EEiiiiiiS1_IjLj3EES5_S5_,@function
_ZL33flash_attn_stream_k_fixup_uniformILi96ELi1ELi8EEvPfPK15HIP_vector_typeIfLj2EEiiiiiiS1_IjLj3EES5_S5_: ; @_ZL33flash_attn_stream_k_fixup_uniformILi96ELi1ELi8EEvPfPK15HIP_vector_typeIfLj2EEiiiiiiS1_IjLj3EES5_S5_
; %bb.0:
	s_clause 0x1
	s_load_b256 s[4:11], s[0:1], 0x1c
	s_load_b128 s[12:15], s[0:1], 0x3c
	s_wait_kmcnt 0x0
	s_mul_hi_u32 s2, s7, ttmp9
	s_delay_alu instid0(SALU_CYCLE_1) | instskip(NEXT) | instid1(SALU_CYCLE_1)
	s_add_co_i32 s2, ttmp9, s2
	s_lshr_b32 s7, s2, s8
	s_delay_alu instid0(SALU_CYCLE_1) | instskip(NEXT) | instid1(SALU_CYCLE_1)
	s_mul_i32 s2, s7, s9
	s_sub_co_i32 s9, ttmp9, s2
	s_load_b64 s[2:3], s[0:1], 0x10
	s_mul_hi_u32 s8, s9, s10
	s_delay_alu instid0(SALU_CYCLE_1) | instskip(NEXT) | instid1(SALU_CYCLE_1)
	s_add_co_i32 s8, s9, s8
	s_lshr_b32 s8, s8, s11
	s_delay_alu instid0(SALU_CYCLE_1) | instskip(NEXT) | instid1(SALU_CYCLE_1)
	s_mul_i32 s10, s8, s12
	s_sub_co_i32 s9, s9, s10
	s_delay_alu instid0(SALU_CYCLE_1) | instskip(NEXT) | instid1(SALU_CYCLE_1)
	s_mul_hi_u32 s10, s9, s13
	s_add_co_i32 s10, s9, s10
	s_delay_alu instid0(SALU_CYCLE_1)
	s_lshr_b32 s12, s10, s14
	s_and_b32 s10, ttmp7, 0xffff
	s_mul_i32 s11, s12, s15
	s_lshl_b32 s12, s12, 3
	s_sub_co_i32 s11, s9, s11
	s_lshr_b32 s9, ttmp7, 16
	s_add_co_i32 s11, s11, s10
	s_wait_kmcnt 0x0
	s_cmp_lt_i32 s11, s2
	s_cselect_b32 s13, -1, 0
	s_add_co_i32 s12, s12, s9
	s_delay_alu instid0(SALU_CYCLE_1) | instskip(SKIP_1) | instid1(SALU_CYCLE_1)
	s_cmp_lt_i32 s12, s5
	s_cselect_b32 s14, -1, 0
	s_and_b32 s13, s13, s14
	s_delay_alu instid0(SALU_CYCLE_1)
	s_and_not1_b32 vcc_lo, exec_lo, s13
	s_cbranch_vccnz .LBB15_6
; %bb.1:
	s_mul_i32 s7, s7, s2
	s_mul_i32 s8, s8, s5
	s_add_co_i32 s2, s11, s7
	s_add_co_i32 s5, s12, s8
	s_mul_i32 s7, s2, s3
	s_load_b128 s[0:3], s[0:1], 0x0
	s_add_co_i32 s5, s5, s7
	s_mul_i32 s8, s6, ttmp9
	v_mad_co_u64_u32 v[1:2], null, 0x60, s5, v[0:1]
	s_add_co_i32 s5, s8, s6
	s_wait_alu 0xfffe
	s_add_co_i32 s7, s5, -2
	v_ashrrev_i32_e32 v2, 31, v1
	s_delay_alu instid0(VALU_DEP_1) | instskip(SKIP_1) | instid1(VALU_DEP_1)
	v_lshlrev_b64_e32 v[1:2], 2, v[1:2]
	s_wait_kmcnt 0x0
	v_add_co_u32 v1, vcc_lo, s0, v1
	s_delay_alu instid0(VALU_DEP_1)
	v_add_co_ci_u32_e64 v2, null, s1, v2, vcc_lo
	s_add_co_i32 s0, s10, s5
	s_wait_alu 0xfffe
	s_lshl_b32 s0, s0, 3
	global_load_b32 v5, v[1:2], off
	s_wait_alu 0xfffe
	s_add_co_i32 s0, s0, s9
	s_wait_alu 0xfffe
	s_add_co_i32 s0, s0, -8
	s_wait_alu 0xfffe
	s_ashr_i32 s1, s0, 31
	s_wait_alu 0xfffe
	s_lshl_b64 s[0:1], s[0:1], 3
	s_cmp_lt_i32 s7, s8
	s_wait_alu 0xfffe
	s_add_nc_u64 s[0:1], s[2:3], s[0:1]
	s_load_b32 s11, s[0:1], 0x4
	s_cbranch_scc1 .LBB15_4
; %bb.2:
	s_load_b32 s0, s[0:1], 0x0
	s_lshl_b32 s12, s4, 5
	s_add_co_i32 s1, ttmp9, 1
	s_ashr_i32 s13, s12, 31
	s_wait_alu 0xfffe
	s_mul_i32 s1, s6, s1
	s_lshl_b64 s[12:13], s[12:13], 2
	s_add_co_i32 s4, s10, s4
	s_add_nc_u64 s[6:7], s[2:3], s[12:13]
	s_mul_i32 s12, s10, 0x300
	s_mul_i32 s13, s9, 0x60
	s_wait_alu 0xfffe
	s_mulk_i32 s1, 0x300
	s_add_co_i32 s12, s13, s12
	s_add_co_i32 s4, s4, s5
	s_wait_alu 0xfffe
	s_add_co_i32 s12, s12, s1
	s_lshl_b32 s1, s4, 3
	v_add3_u32 v3, s12, v0, 0xfffffa00
	s_wait_kmcnt 0x0
	v_mov_b32_e32 v6, s11
	s_wait_alu 0xfffe
	s_add_co_i32 s4, s9, s1
	s_add_co_i32 s1, s5, -1
	s_wait_alu 0xfffe
	s_add_co_i32 s4, s4, -16
.LBB15_3:                               ; =>This Inner Loop Header: Depth=1
	v_ashrrev_i32_e32 v4, 31, v3
	s_wait_alu 0xfffe
	s_ashr_i32 s5, s4, 31
	v_mov_b32_e32 v10, v6
	s_wait_alu 0xfffe
	s_lshl_b64 s[10:11], s[4:5], 3
	s_wait_loadcnt 0x0
	v_mov_b32_e32 v9, v5
	v_lshlrev_b64_e32 v[7:8], 2, v[3:4]
	s_wait_alu 0xfffe
	s_add_nc_u64 s[10:11], s[2:3], s[10:11]
	v_max_num_f32_e64 v4, s0, s0
	s_load_b64 s[10:11], s[10:11], 0x0
	v_add_nc_u32_e32 v3, 0xfffffd00, v3
	v_add_co_u32 v7, vcc_lo, s6, v7
	s_wait_alu 0xfffd
	v_add_co_ci_u32_e64 v8, null, s7, v8, vcc_lo
	v_readfirstlane_b32 s5, v4
	global_load_b32 v0, v[7:8], off
	s_wait_kmcnt 0x0
	v_max_num_f32_e64 v4, s10, s10
	s_delay_alu instid0(VALU_DEP_1) | instskip(SKIP_2) | instid1(SALU_CYCLE_2)
	v_readfirstlane_b32 s9, v4
	s_max_num_f32 s5, s5, s9
	s_wait_alu 0xfffe
	s_sub_f32 s0, s0, s5
	s_sub_f32 s9, s10, s5
	s_wait_alu 0xfffe
	s_delay_alu instid0(SALU_CYCLE_1) | instskip(NEXT) | instid1(SALU_CYCLE_1)
	s_mul_f32 s10, s0, 0x3fb8aa3b
	s_mul_f32 s12, s9, 0x3fb8aa3b
	s_wait_alu 0xfffe
	s_delay_alu instid0(SALU_CYCLE_1)
	s_xor_b32 s13, s10, 0x80000000
	s_rndne_f32 s14, s10
	s_wait_alu 0xfffe
	s_fmamk_f32 s13, s0, 0x3fb8aa3b, s13
	s_cmp_nlt_f32 s0, 0xc2ce8ed0
	s_rndne_f32 s15, s12
	s_sub_f32 s10, s10, s14
	s_wait_alu 0xfffe
	s_fmamk_f32 s13, s0, 0x32a5705f, s13
	s_cvt_i32_f32 s14, s14
	s_cselect_b32 vcc_lo, -1, 0
	s_cmp_ngt_f32 s0, 0x42b17218
	s_wait_alu 0xfffe
	s_add_f32 s10, s10, s13
	s_sub_f32 s13, s12, s15
	s_wait_alu 0xfffe
	s_delay_alu instid0(SALU_CYCLE_1) | instskip(SKIP_1) | instid1(TRANS32_DEP_1)
	v_s_exp_f32 s10, s10
	s_wait_alu 0xf1ff
	v_ldexp_f32 v4, s10, s14
	s_cvt_i32_f32 s10, s15
	s_delay_alu instid0(VALU_DEP_1) | instskip(SKIP_3) | instid1(VALU_DEP_1)
	v_cndmask_b32_e32 v4, 0, v4, vcc_lo
	s_cselect_b32 vcc_lo, -1, 0
	s_cmp_ge_f32 s0, 0xc1a00000
	s_wait_alu 0xfffe
	v_cndmask_b32_e32 v4, 0x7f800000, v4, vcc_lo
	s_cselect_b32 vcc_lo, -1, 0
	s_xor_b32 s0, s12, 0x80000000
	s_cmp_nlt_f32 s9, 0xc2ce8ed0
	s_wait_alu 0xfffe
	s_fmamk_f32 s0, s9, 0x3fb8aa3b, s0
	s_wait_alu 0xfffe
	s_delay_alu instid0(SALU_CYCLE_2) | instskip(SKIP_1) | instid1(SALU_CYCLE_2)
	s_fmamk_f32 s0, s9, 0x32a5705f, s0
	s_wait_alu 0xfffe
	s_add_f32 s0, s13, s0
	s_wait_alu 0xfffe
	s_delay_alu instid0(SALU_CYCLE_2) | instskip(SKIP_1) | instid1(TRANS32_DEP_1)
	v_s_exp_f32 s0, s0
	s_wait_alu 0xf1ff
	v_ldexp_f32 v7, s0, s10
	s_cselect_b32 s0, -1, 0
	s_cmp_ngt_f32 s9, 0x42b17218
	s_wait_alu 0xfffe
	s_delay_alu instid0(VALU_DEP_1) | instskip(SKIP_3) | instid1(VALU_DEP_1)
	v_cndmask_b32_e64 v7, 0, v7, s0
	s_cselect_b32 s0, -1, 0
	s_cmp_ge_f32 s9, 0xc1a00000
	s_wait_alu 0xfffe
	v_cndmask_b32_e64 v7, 0x7f800000, v7, s0
	s_cselect_b32 s0, -1, 0
	s_add_co_i32 s1, s1, -1
	s_add_co_i32 s4, s4, -8
	s_wait_alu 0xfffe
	s_cmp_le_i32 s1, s8
	v_cndmask_b32_e64 v7, 0, v7, s0
	s_mov_b32 s0, s5
	s_wait_loadcnt 0x0
	s_delay_alu instid0(VALU_DEP_1) | instskip(NEXT) | instid1(VALU_DEP_1)
	v_dual_mul_f32 v5, v0, v7 :: v_dual_cndmask_b32 v4, 0, v4
	v_dual_mul_f32 v8, s11, v7 :: v_dual_fmac_f32 v5, v9, v4
	s_delay_alu instid0(VALU_DEP_1) | instskip(NEXT) | instid1(VALU_DEP_1)
	v_mov_b32_e32 v6, v8
	v_fmac_f32_e32 v6, v10, v4
	s_cbranch_scc0 .LBB15_3
	s_branch .LBB15_5
.LBB15_4:
	s_wait_kmcnt 0x0
	v_mov_b32_e32 v6, s11
.LBB15_5:
	s_wait_loadcnt 0x0
	s_delay_alu instid0(VALU_DEP_1) | instskip(NEXT) | instid1(VALU_DEP_1)
	v_div_scale_f32 v0, null, v6, v6, v5
	v_rcp_f32_e32 v3, v0
	s_delay_alu instid0(TRANS32_DEP_1) | instskip(NEXT) | instid1(VALU_DEP_1)
	v_fma_f32 v4, -v0, v3, 1.0
	v_fmac_f32_e32 v3, v4, v3
	v_div_scale_f32 v4, vcc_lo, v5, v6, v5
	s_delay_alu instid0(VALU_DEP_1) | instskip(NEXT) | instid1(VALU_DEP_1)
	v_mul_f32_e32 v7, v4, v3
	v_fma_f32 v8, -v0, v7, v4
	s_delay_alu instid0(VALU_DEP_1) | instskip(NEXT) | instid1(VALU_DEP_1)
	v_fmac_f32_e32 v7, v8, v3
	v_fma_f32 v0, -v0, v7, v4
	s_wait_alu 0xfffd
	s_delay_alu instid0(VALU_DEP_1) | instskip(NEXT) | instid1(VALU_DEP_1)
	v_div_fmas_f32 v0, v0, v3, v7
	v_div_fixup_f32 v0, v0, v6, v5
	global_store_b32 v[1:2], v0, off
.LBB15_6:
	s_endpgm
	.section	.rodata,"a",@progbits
	.p2align	6, 0x0
	.amdhsa_kernel _ZL33flash_attn_stream_k_fixup_uniformILi96ELi1ELi8EEvPfPK15HIP_vector_typeIfLj2EEiiiiiiS1_IjLj3EES5_S5_
		.amdhsa_group_segment_fixed_size 0
		.amdhsa_private_segment_fixed_size 0
		.amdhsa_kernarg_size 76
		.amdhsa_user_sgpr_count 2
		.amdhsa_user_sgpr_dispatch_ptr 0
		.amdhsa_user_sgpr_queue_ptr 0
		.amdhsa_user_sgpr_kernarg_segment_ptr 1
		.amdhsa_user_sgpr_dispatch_id 0
		.amdhsa_user_sgpr_private_segment_size 0
		.amdhsa_wavefront_size32 1
		.amdhsa_uses_dynamic_stack 0
		.amdhsa_enable_private_segment 0
		.amdhsa_system_sgpr_workgroup_id_x 1
		.amdhsa_system_sgpr_workgroup_id_y 1
		.amdhsa_system_sgpr_workgroup_id_z 1
		.amdhsa_system_sgpr_workgroup_info 0
		.amdhsa_system_vgpr_workitem_id 0
		.amdhsa_next_free_vgpr 11
		.amdhsa_next_free_sgpr 16
		.amdhsa_reserve_vcc 1
		.amdhsa_float_round_mode_32 0
		.amdhsa_float_round_mode_16_64 0
		.amdhsa_float_denorm_mode_32 3
		.amdhsa_float_denorm_mode_16_64 3
		.amdhsa_fp16_overflow 0
		.amdhsa_workgroup_processor_mode 1
		.amdhsa_memory_ordered 1
		.amdhsa_forward_progress 1
		.amdhsa_inst_pref_size 9
		.amdhsa_round_robin_scheduling 0
		.amdhsa_exception_fp_ieee_invalid_op 0
		.amdhsa_exception_fp_denorm_src 0
		.amdhsa_exception_fp_ieee_div_zero 0
		.amdhsa_exception_fp_ieee_overflow 0
		.amdhsa_exception_fp_ieee_underflow 0
		.amdhsa_exception_fp_ieee_inexact 0
		.amdhsa_exception_int_div_zero 0
	.end_amdhsa_kernel
	.section	.text._ZL33flash_attn_stream_k_fixup_uniformILi96ELi1ELi8EEvPfPK15HIP_vector_typeIfLj2EEiiiiiiS1_IjLj3EES5_S5_,"axG",@progbits,_ZL33flash_attn_stream_k_fixup_uniformILi96ELi1ELi8EEvPfPK15HIP_vector_typeIfLj2EEiiiiiiS1_IjLj3EES5_S5_,comdat
.Lfunc_end15:
	.size	_ZL33flash_attn_stream_k_fixup_uniformILi96ELi1ELi8EEvPfPK15HIP_vector_typeIfLj2EEiiiiiiS1_IjLj3EES5_S5_, .Lfunc_end15-_ZL33flash_attn_stream_k_fixup_uniformILi96ELi1ELi8EEvPfPK15HIP_vector_typeIfLj2EEiiiiiiS1_IjLj3EES5_S5_
                                        ; -- End function
	.set _ZL33flash_attn_stream_k_fixup_uniformILi96ELi1ELi8EEvPfPK15HIP_vector_typeIfLj2EEiiiiiiS1_IjLj3EES5_S5_.num_vgpr, 11
	.set _ZL33flash_attn_stream_k_fixup_uniformILi96ELi1ELi8EEvPfPK15HIP_vector_typeIfLj2EEiiiiiiS1_IjLj3EES5_S5_.num_agpr, 0
	.set _ZL33flash_attn_stream_k_fixup_uniformILi96ELi1ELi8EEvPfPK15HIP_vector_typeIfLj2EEiiiiiiS1_IjLj3EES5_S5_.numbered_sgpr, 16
	.set _ZL33flash_attn_stream_k_fixup_uniformILi96ELi1ELi8EEvPfPK15HIP_vector_typeIfLj2EEiiiiiiS1_IjLj3EES5_S5_.num_named_barrier, 0
	.set _ZL33flash_attn_stream_k_fixup_uniformILi96ELi1ELi8EEvPfPK15HIP_vector_typeIfLj2EEiiiiiiS1_IjLj3EES5_S5_.private_seg_size, 0
	.set _ZL33flash_attn_stream_k_fixup_uniformILi96ELi1ELi8EEvPfPK15HIP_vector_typeIfLj2EEiiiiiiS1_IjLj3EES5_S5_.uses_vcc, 1
	.set _ZL33flash_attn_stream_k_fixup_uniformILi96ELi1ELi8EEvPfPK15HIP_vector_typeIfLj2EEiiiiiiS1_IjLj3EES5_S5_.uses_flat_scratch, 0
	.set _ZL33flash_attn_stream_k_fixup_uniformILi96ELi1ELi8EEvPfPK15HIP_vector_typeIfLj2EEiiiiiiS1_IjLj3EES5_S5_.has_dyn_sized_stack, 0
	.set _ZL33flash_attn_stream_k_fixup_uniformILi96ELi1ELi8EEvPfPK15HIP_vector_typeIfLj2EEiiiiiiS1_IjLj3EES5_S5_.has_recursion, 0
	.set _ZL33flash_attn_stream_k_fixup_uniformILi96ELi1ELi8EEvPfPK15HIP_vector_typeIfLj2EEiiiiiiS1_IjLj3EES5_S5_.has_indirect_call, 0
	.section	.AMDGPU.csdata,"",@progbits
; Kernel info:
; codeLenInByte = 1136
; TotalNumSgprs: 18
; NumVgprs: 11
; ScratchSize: 0
; MemoryBound: 0
; FloatMode: 240
; IeeeMode: 1
; LDSByteSize: 0 bytes/workgroup (compile time only)
; SGPRBlocks: 0
; VGPRBlocks: 1
; NumSGPRsForWavesPerEU: 18
; NumVGPRsForWavesPerEU: 11
; Occupancy: 16
; WaveLimiterHint : 0
; COMPUTE_PGM_RSRC2:SCRATCH_EN: 0
; COMPUTE_PGM_RSRC2:USER_SGPR: 2
; COMPUTE_PGM_RSRC2:TRAP_HANDLER: 0
; COMPUTE_PGM_RSRC2:TGID_X_EN: 1
; COMPUTE_PGM_RSRC2:TGID_Y_EN: 1
; COMPUTE_PGM_RSRC2:TGID_Z_EN: 1
; COMPUTE_PGM_RSRC2:TIDIG_COMP_CNT: 0
	.section	.text._ZL33flash_attn_stream_k_fixup_generalILi96ELi1ELi8EEvPfPK15HIP_vector_typeIfLj2EEiiiiS1_IjLj3EES5_S5_S5_,"axG",@progbits,_ZL33flash_attn_stream_k_fixup_generalILi96ELi1ELi8EEvPfPK15HIP_vector_typeIfLj2EEiiiiS1_IjLj3EES5_S5_S5_,comdat
	.globl	_ZL33flash_attn_stream_k_fixup_generalILi96ELi1ELi8EEvPfPK15HIP_vector_typeIfLj2EEiiiiS1_IjLj3EES5_S5_S5_ ; -- Begin function _ZL33flash_attn_stream_k_fixup_generalILi96ELi1ELi8EEvPfPK15HIP_vector_typeIfLj2EEiiiiS1_IjLj3EES5_S5_S5_
	.p2align	8
	.type	_ZL33flash_attn_stream_k_fixup_generalILi96ELi1ELi8EEvPfPK15HIP_vector_typeIfLj2EEiiiiS1_IjLj3EES5_S5_S5_,@function
_ZL33flash_attn_stream_k_fixup_generalILi96ELi1ELi8EEvPfPK15HIP_vector_typeIfLj2EEiiiiS1_IjLj3EES5_S5_S5_: ; @_ZL33flash_attn_stream_k_fixup_generalILi96ELi1ELi8EEvPfPK15HIP_vector_typeIfLj2EEiiiiS1_IjLj3EES5_S5_S5_
; %bb.0:
	s_clause 0x1
	s_load_b128 s[4:7], s[0:1], 0x10
	s_load_b32 s12, s[0:1], 0x50
	s_mov_b32 s2, ttmp9
	s_ashr_i32 s3, ttmp9, 31
	s_mov_b32 s13, 0
	s_delay_alu instid0(SALU_CYCLE_1) | instskip(SKIP_3) | instid1(SALU_CYCLE_1)
	s_mov_b32 s8, s13
	s_wait_kmcnt 0x0
	s_ashr_i32 s15, s7, 31
	s_mov_b32 s14, s7
	s_mul_u64 s[2:3], s[14:15], s[2:3]
	s_delay_alu instid0(SALU_CYCLE_1) | instskip(NEXT) | instid1(SALU_CYCLE_1)
	s_mov_b32 s9, s3
	s_cmp_lg_u64 s[8:9], 0
	s_cbranch_scc0 .LBB16_21
; %bb.1:
	s_add_nc_u64 s[8:9], s[12:13], 0
	s_mov_b32 s19, s13
	s_xor_b64 s[8:9], s[8:9], 0
	s_mov_b32 s23, s13
	s_cvt_f32_u32 s7, s8
	s_cvt_f32_u32 s10, s9
	s_sub_nc_u64 s[16:17], 0, s[8:9]
	s_delay_alu instid0(SALU_CYCLE_2) | instskip(NEXT) | instid1(SALU_CYCLE_3)
	s_fmamk_f32 s7, s10, 0x4f800000, s7
	v_s_rcp_f32 s7, s7
	s_delay_alu instid0(TRANS32_DEP_1) | instskip(SKIP_1) | instid1(SALU_CYCLE_2)
	s_mul_f32 s7, s7, 0x5f7ffffc
	s_wait_alu 0xfffe
	s_mul_f32 s10, s7, 0x2f800000
	s_delay_alu instid0(SALU_CYCLE_3) | instskip(NEXT) | instid1(SALU_CYCLE_3)
	s_trunc_f32 s10, s10
	s_fmamk_f32 s7, s10, 0xcf800000, s7
	s_cvt_u32_f32 s11, s10
	s_wait_alu 0xfffe
	s_delay_alu instid0(SALU_CYCLE_1) | instskip(NEXT) | instid1(SALU_CYCLE_3)
	s_cvt_u32_f32 s10, s7
	s_mul_u64 s[20:21], s[16:17], s[10:11]
	s_delay_alu instid0(SALU_CYCLE_1)
	s_mul_hi_u32 s25, s10, s21
	s_mul_i32 s24, s10, s21
	s_mul_hi_u32 s18, s10, s20
	s_mul_i32 s22, s11, s20
	s_add_nc_u64 s[18:19], s[18:19], s[24:25]
	s_mul_hi_u32 s7, s11, s20
	s_mul_hi_u32 s26, s11, s21
	s_add_co_u32 s18, s18, s22
	s_wait_alu 0xfffe
	s_add_co_ci_u32 s22, s19, s7
	s_mul_i32 s20, s11, s21
	s_add_co_ci_u32 s21, s26, 0
	s_delay_alu instid0(SALU_CYCLE_1)
	s_add_nc_u64 s[18:19], s[22:23], s[20:21]
	s_mov_b32 s21, s13
	s_add_co_u32 s10, s10, s18
	s_cselect_b32 s7, -1, 0
	s_wait_alu 0xfffe
	s_cmp_lg_u32 s7, 0
	s_add_co_ci_u32 s11, s11, s19
	s_mov_b32 s19, s13
	s_mul_u64 s[16:17], s[16:17], s[10:11]
	s_delay_alu instid0(SALU_CYCLE_1)
	s_mul_hi_u32 s23, s10, s17
	s_mul_i32 s22, s10, s17
	s_mul_hi_u32 s18, s10, s16
	s_mul_i32 s20, s11, s16
	s_add_nc_u64 s[18:19], s[18:19], s[22:23]
	s_mul_hi_u32 s7, s11, s16
	s_mul_hi_u32 s24, s11, s17
	s_mul_i32 s16, s11, s17
	s_add_co_u32 s17, s18, s20
	s_wait_alu 0xfffe
	s_add_co_ci_u32 s20, s19, s7
	s_add_co_ci_u32 s17, s24, 0
	s_mov_b32 s19, s13
	s_add_nc_u64 s[16:17], s[20:21], s[16:17]
	s_delay_alu instid0(SALU_CYCLE_1) | instskip(SKIP_1) | instid1(SALU_CYCLE_1)
	s_add_co_u32 s7, s10, s16
	s_cselect_b32 s10, -1, 0
	s_cmp_lg_u32 s10, 0
	s_add_co_ci_u32 s20, s11, s17
	s_ashr_i32 s10, s3, 31
	s_delay_alu instid0(SALU_CYCLE_1) | instskip(NEXT) | instid1(SALU_CYCLE_1)
	s_mov_b32 s11, s10
	s_add_nc_u64 s[16:17], s[2:3], s[10:11]
	s_delay_alu instid0(SALU_CYCLE_1) | instskip(NEXT) | instid1(SALU_CYCLE_1)
	s_xor_b64 s[16:17], s[16:17], s[10:11]
	s_mul_hi_u32 s23, s16, s20
	s_mul_i32 s22, s16, s20
	s_wait_alu 0xfffe
	s_mul_hi_u32 s18, s16, s7
	s_mul_hi_u32 s24, s17, s7
	s_mul_i32 s7, s17, s7
	s_add_nc_u64 s[18:19], s[18:19], s[22:23]
	s_mul_hi_u32 s3, s17, s20
	s_wait_alu 0xfffe
	s_add_co_u32 s7, s18, s7
	s_mul_i32 s22, s17, s20
	s_add_co_ci_u32 s20, s19, s24
	s_add_co_ci_u32 s23, s3, 0
	s_delay_alu instid0(SALU_CYCLE_1) | instskip(NEXT) | instid1(SALU_CYCLE_1)
	s_add_nc_u64 s[18:19], s[20:21], s[22:23]
	s_mul_u64 s[20:21], s[8:9], s[18:19]
	s_delay_alu instid0(SALU_CYCLE_1)
	s_sub_co_u32 s3, s16, s20
	s_cselect_b32 s7, -1, 0
	s_sub_co_i32 s16, s17, s21
	s_wait_alu 0xfffe
	s_cmp_lg_u32 s7, 0
	s_sub_co_ci_u32 s16, s16, s9
	s_sub_co_u32 s20, s3, s8
	s_cselect_b32 s22, -1, 0
	s_delay_alu instid0(SALU_CYCLE_1) | instskip(SKIP_2) | instid1(SALU_CYCLE_1)
	s_cmp_lg_u32 s22, 0
	s_add_nc_u64 s[22:23], s[18:19], 1
	s_sub_co_ci_u32 s16, s16, 0
	s_cmp_ge_u32 s16, s9
	s_cselect_b32 s24, -1, 0
	s_cmp_ge_u32 s20, s8
	s_cselect_b32 s20, -1, 0
	s_cmp_eq_u32 s16, s9
	s_cselect_b32 s16, s20, s24
	s_add_nc_u64 s[24:25], s[18:19], 2
	s_cmp_lg_u32 s16, 0
	s_cselect_b32 s16, s24, s22
	s_cselect_b32 s20, s25, s23
	s_cmp_lg_u32 s7, 0
	s_sub_co_ci_u32 s7, s17, s21
	s_wait_alu 0xfffe
	s_cmp_ge_u32 s7, s9
	s_cselect_b32 s17, -1, 0
	s_cmp_ge_u32 s3, s8
	s_cselect_b32 s3, -1, 0
	s_cmp_eq_u32 s7, s9
	s_cselect_b32 s3, s3, s17
	s_delay_alu instid0(SALU_CYCLE_1) | instskip(SKIP_4) | instid1(SALU_CYCLE_1)
	s_cmp_lg_u32 s3, 0
	s_mov_b32 s3, s13
	s_cselect_b32 s9, s20, s19
	s_cselect_b32 s8, s16, s18
	s_xor_b64 s[10:11], s[10:11], 0
	s_xor_b64 s[8:9], s[8:9], s[10:11]
	s_delay_alu instid0(SALU_CYCLE_1)
	s_sub_nc_u64 s[16:17], s[8:9], s[10:11]
	s_and_not1_b32 vcc_lo, exec_lo, s3
	s_cbranch_vccnz .LBB16_3
.LBB16_2:
	v_cvt_f32_u32_e32 v1, s12
	s_sub_co_i32 s7, 0, s12
	s_delay_alu instid0(VALU_DEP_1) | instskip(NEXT) | instid1(TRANS32_DEP_1)
	v_rcp_iflag_f32_e32 v1, v1
	v_mul_f32_e32 v1, 0x4f7ffffe, v1
	s_delay_alu instid0(VALU_DEP_1) | instskip(NEXT) | instid1(VALU_DEP_1)
	v_cvt_u32_f32_e32 v1, v1
	v_readfirstlane_b32 s3, v1
	s_wait_alu 0xfffe
	s_mul_i32 s7, s7, s3
	s_wait_alu 0xfffe
	s_mul_hi_u32 s7, s3, s7
	s_wait_alu 0xfffe
	s_add_co_i32 s3, s3, s7
	s_delay_alu instid0(SALU_CYCLE_1) | instskip(NEXT) | instid1(SALU_CYCLE_1)
	s_mul_hi_u32 s3, s2, s3
	s_mul_i32 s7, s3, s12
	s_wait_alu 0xfffe
	s_sub_co_i32 s2, s2, s7
	s_add_co_i32 s7, s3, 1
	s_sub_co_i32 s8, s2, s12
	s_cmp_ge_u32 s2, s12
	s_wait_alu 0xfffe
	s_cselect_b32 s3, s7, s3
	s_cselect_b32 s2, s8, s2
	s_add_co_i32 s7, s3, 1
	s_cmp_ge_u32 s2, s12
	s_wait_alu 0xfffe
	s_cselect_b32 s16, s7, s3
.LBB16_3:
	s_add_co_i32 s2, ttmp9, 1
	s_mov_b32 s18, 0
	s_ashr_i32 s3, s2, 31
	s_delay_alu instid0(SALU_CYCLE_1) | instskip(NEXT) | instid1(SALU_CYCLE_1)
	s_mul_u64 s[2:3], s[14:15], s[2:3]
	s_mov_b32 s19, s3
	s_delay_alu instid0(SALU_CYCLE_1)
	s_cmp_lg_u64 s[18:19], 0
	s_cbranch_scc0 .LBB16_22
; %bb.4:
	s_add_nc_u64 s[8:9], s[12:13], 0
	s_mov_b32 s23, s18
	s_xor_b64 s[8:9], s[8:9], 0
	s_mov_b32 s27, s18
	s_cvt_f32_u32 s7, s8
	s_cvt_f32_u32 s10, s9
	s_sub_nc_u64 s[20:21], 0, s[8:9]
	s_wait_alu 0xfffe
	s_delay_alu instid0(SALU_CYCLE_1) | instskip(SKIP_1) | instid1(SALU_CYCLE_2)
	s_fmamk_f32 s7, s10, 0x4f800000, s7
	s_wait_alu 0xfffe
	v_s_rcp_f32 s7, s7
	s_delay_alu instid0(TRANS32_DEP_1) | instskip(SKIP_1) | instid1(SALU_CYCLE_2)
	s_mul_f32 s7, s7, 0x5f7ffffc
	s_wait_alu 0xfffe
	s_mul_f32 s10, s7, 0x2f800000
	s_delay_alu instid0(SALU_CYCLE_3) | instskip(NEXT) | instid1(SALU_CYCLE_3)
	s_trunc_f32 s10, s10
	s_fmamk_f32 s7, s10, 0xcf800000, s7
	s_cvt_u32_f32 s11, s10
	s_wait_alu 0xfffe
	s_delay_alu instid0(SALU_CYCLE_1) | instskip(NEXT) | instid1(SALU_CYCLE_3)
	s_cvt_u32_f32 s10, s7
	s_mul_u64 s[24:25], s[20:21], s[10:11]
	s_delay_alu instid0(SALU_CYCLE_1)
	s_mul_hi_u32 s29, s10, s25
	s_mul_i32 s28, s10, s25
	s_mul_hi_u32 s22, s10, s24
	s_mul_i32 s17, s11, s24
	s_add_nc_u64 s[22:23], s[22:23], s[28:29]
	s_mul_hi_u32 s7, s11, s24
	s_mul_hi_u32 s19, s11, s25
	s_add_co_u32 s17, s22, s17
	s_wait_alu 0xfffe
	s_add_co_ci_u32 s26, s23, s7
	s_mul_i32 s24, s11, s25
	s_add_co_ci_u32 s25, s19, 0
	s_delay_alu instid0(SALU_CYCLE_1)
	s_add_nc_u64 s[22:23], s[26:27], s[24:25]
	s_mov_b32 s25, s18
	s_add_co_u32 s10, s10, s22
	s_cselect_b32 s7, -1, 0
	s_wait_alu 0xfffe
	s_cmp_lg_u32 s7, 0
	s_add_co_ci_u32 s11, s11, s23
	s_mov_b32 s23, s18
	s_mul_u64 s[20:21], s[20:21], s[10:11]
	s_delay_alu instid0(SALU_CYCLE_1)
	s_mul_hi_u32 s27, s10, s21
	s_mul_i32 s26, s10, s21
	s_mul_hi_u32 s22, s10, s20
	s_mul_i32 s17, s11, s20
	s_add_nc_u64 s[22:23], s[22:23], s[26:27]
	s_mul_hi_u32 s7, s11, s20
	s_mul_hi_u32 s19, s11, s21
	s_add_co_u32 s17, s22, s17
	s_wait_alu 0xfffe
	s_add_co_ci_u32 s24, s23, s7
	s_mul_i32 s20, s11, s21
	s_add_co_ci_u32 s21, s19, 0
	s_mov_b32 s23, s18
	s_add_nc_u64 s[20:21], s[24:25], s[20:21]
	s_delay_alu instid0(SALU_CYCLE_1) | instskip(SKIP_1) | instid1(SALU_CYCLE_1)
	s_add_co_u32 s7, s10, s20
	s_cselect_b32 s10, -1, 0
	s_cmp_lg_u32 s10, 0
	s_add_co_ci_u32 s17, s11, s21
	s_ashr_i32 s10, s3, 31
	s_delay_alu instid0(SALU_CYCLE_1) | instskip(NEXT) | instid1(SALU_CYCLE_1)
	s_mov_b32 s11, s10
	s_add_nc_u64 s[20:21], s[2:3], s[10:11]
	s_delay_alu instid0(SALU_CYCLE_1) | instskip(NEXT) | instid1(SALU_CYCLE_1)
	s_xor_b64 s[20:21], s[20:21], s[10:11]
	s_mul_hi_u32 s27, s20, s17
	s_mul_i32 s26, s20, s17
	s_wait_alu 0xfffe
	s_mul_hi_u32 s22, s20, s7
	s_mul_hi_u32 s19, s21, s7
	s_mul_i32 s7, s21, s7
	s_add_nc_u64 s[22:23], s[22:23], s[26:27]
	s_mul_hi_u32 s3, s21, s17
	s_wait_alu 0xfffe
	s_add_co_u32 s7, s22, s7
	s_add_co_ci_u32 s24, s23, s19
	s_mul_i32 s26, s21, s17
	s_add_co_ci_u32 s27, s3, 0
	s_delay_alu instid0(SALU_CYCLE_1) | instskip(NEXT) | instid1(SALU_CYCLE_1)
	s_add_nc_u64 s[22:23], s[24:25], s[26:27]
	s_mul_u64 s[24:25], s[8:9], s[22:23]
	s_add_nc_u64 s[26:27], s[22:23], 1
	s_sub_co_u32 s3, s20, s24
	s_cselect_b32 s7, -1, 0
	s_sub_co_i32 s17, s21, s25
	s_wait_alu 0xfffe
	s_cmp_lg_u32 s7, 0
	s_add_nc_u64 s[28:29], s[22:23], 2
	s_sub_co_ci_u32 s17, s17, s9
	s_sub_co_u32 s19, s3, s8
	s_cselect_b32 s20, -1, 0
	s_delay_alu instid0(SALU_CYCLE_1) | instskip(SKIP_1) | instid1(SALU_CYCLE_1)
	s_cmp_lg_u32 s20, 0
	s_sub_co_ci_u32 s17, s17, 0
	s_cmp_ge_u32 s17, s9
	s_cselect_b32 s20, -1, 0
	s_cmp_ge_u32 s19, s8
	s_cselect_b32 s19, -1, 0
	s_cmp_eq_u32 s17, s9
	s_cselect_b32 s17, s19, s20
	s_delay_alu instid0(SALU_CYCLE_1)
	s_cmp_lg_u32 s17, 0
	s_cselect_b32 s17, s28, s26
	s_cselect_b32 s19, s29, s27
	s_cmp_lg_u32 s7, 0
	s_sub_co_ci_u32 s7, s21, s25
	s_wait_alu 0xfffe
	s_cmp_ge_u32 s7, s9
	s_cselect_b32 s20, -1, 0
	s_cmp_ge_u32 s3, s8
	s_cselect_b32 s3, -1, 0
	s_cmp_eq_u32 s7, s9
	s_cselect_b32 s3, s3, s20
	s_delay_alu instid0(SALU_CYCLE_1) | instskip(SKIP_3) | instid1(SALU_CYCLE_1)
	s_cmp_lg_u32 s3, 0
	s_cselect_b32 s9, s19, s23
	s_cselect_b32 s8, s17, s22
	s_xor_b64 s[10:11], s[10:11], 0
	s_xor_b64 s[8:9], s[8:9], s[10:11]
	s_delay_alu instid0(SALU_CYCLE_1)
	s_sub_nc_u64 s[20:21], s[8:9], s[10:11]
	s_load_b96 s[8:10], s[0:1], 0x44
	s_and_not1_b32 vcc_lo, exec_lo, s18
	s_cbranch_vccnz .LBB16_6
.LBB16_5:
	v_cvt_f32_u32_e32 v1, s12
	s_sub_co_i32 s7, 0, s12
	s_delay_alu instid0(VALU_DEP_1) | instskip(NEXT) | instid1(TRANS32_DEP_1)
	v_rcp_iflag_f32_e32 v1, v1
	v_mul_f32_e32 v1, 0x4f7ffffe, v1
	s_delay_alu instid0(VALU_DEP_1) | instskip(NEXT) | instid1(VALU_DEP_1)
	v_cvt_u32_f32_e32 v1, v1
	v_readfirstlane_b32 s3, v1
	s_wait_alu 0xfffe
	s_mul_i32 s7, s7, s3
	s_wait_alu 0xfffe
	s_mul_hi_u32 s7, s3, s7
	s_wait_alu 0xfffe
	s_add_co_i32 s3, s3, s7
	s_delay_alu instid0(SALU_CYCLE_1) | instskip(NEXT) | instid1(SALU_CYCLE_1)
	s_mul_hi_u32 s3, s2, s3
	s_mul_i32 s7, s3, s12
	s_wait_alu 0xfffe
	s_sub_co_i32 s2, s2, s7
	s_add_co_i32 s7, s3, 1
	s_sub_co_i32 s11, s2, s12
	s_cmp_ge_u32 s2, s12
	s_wait_alu 0xfffe
	s_cselect_b32 s3, s7, s3
	s_cselect_b32 s2, s11, s2
	s_add_co_i32 s7, s3, 1
	s_cmp_ge_u32 s2, s12
	s_wait_alu 0xfffe
	s_cselect_b32 s20, s7, s3
.LBB16_6:
	s_mov_b32 s17, 0
	s_wait_kmcnt 0x0
	s_mov_b32 s18, s8
	s_mov_b32 s19, s17
	s_cmp_eq_u32 s16, s20
	s_mul_u64 s[2:3], s[16:17], s[18:19]
	s_cselect_b32 s7, -1, 0
	s_add_co_i32 s2, s3, s16
	s_mov_b32 s21, s17
	s_lshr_b32 s8, s2, s9
	s_mul_u64 s[2:3], s[20:21], s[18:19]
	s_mul_i32 s2, s8, s10
	s_delay_alu instid0(SALU_CYCLE_1) | instskip(SKIP_2) | instid1(SALU_CYCLE_1)
	s_cmp_eq_u32 s2, s16
	s_cselect_b32 s2, -1, 0
	s_add_co_i32 s3, s3, s20
	s_lshr_b32 s3, s3, s9
	s_delay_alu instid0(SALU_CYCLE_1)
	s_cmp_eq_u32 s8, s3
	s_mul_i32 s3, s3, s10
	s_cselect_b32 s11, -1, 0
	s_cmp_lg_u32 s3, s20
	s_cselect_b32 s3, -1, 0
	s_wait_alu 0xfffe
	s_or_b32 s2, s7, s2
	s_and_b32 s3, s11, s3
	s_delay_alu instid0(SALU_CYCLE_1) | instskip(NEXT) | instid1(SALU_CYCLE_1)
	s_or_b32 s2, s2, s3
	s_and_b32 vcc_lo, exec_lo, s2
	s_cbranch_vccnz .LBB16_24
; %bb.7:
	s_load_b256 s[20:27], s[0:1], 0x20
	s_mov_b32 s3, s17
	s_wait_kmcnt 0x0
	s_mov_b32 s2, s20
	s_delay_alu instid0(SALU_CYCLE_1) | instskip(NEXT) | instid1(SALU_CYCLE_1)
	s_mul_u64 s[2:3], s[16:17], s[2:3]
	s_add_co_i32 s2, s3, s16
	s_delay_alu instid0(SALU_CYCLE_1)
	s_lshr_b32 s3, s2, s21
	s_load_b32 s2, s[0:1], 0x40
	s_mul_i32 s7, s3, s22
	s_mov_b32 s21, s17
	s_wait_alu 0xfffe
	s_sub_co_i32 s11, s16, s7
	s_delay_alu instid0(SALU_CYCLE_1)
	s_mul_hi_u32 s7, s11, s23
	s_wait_alu 0xfffe
	s_add_co_i32 s7, s11, s7
	s_wait_alu 0xfffe
	s_lshr_b32 s7, s7, s24
	s_wait_alu 0xfffe
	s_mul_i32 s20, s7, s25
	s_delay_alu instid0(SALU_CYCLE_1) | instskip(NEXT) | instid1(SALU_CYCLE_1)
	s_sub_co_i32 s11, s11, s20
	s_mul_hi_u32 s20, s11, s26
	s_delay_alu instid0(SALU_CYCLE_1) | instskip(NEXT) | instid1(SALU_CYCLE_1)
	s_add_co_i32 s20, s11, s20
	s_lshr_b32 s24, s20, s27
	s_wait_kmcnt 0x0
	s_mul_i32 s2, s24, s2
	s_delay_alu instid0(SALU_CYCLE_1) | instskip(SKIP_2) | instid1(SALU_CYCLE_1)
	s_sub_co_i32 s20, s11, s2
	s_and_b32 s2, ttmp7, 0xffff
	s_mul_u64 s[22:23], s[20:21], s[18:19]
	s_add_co_i32 s11, s20, s23
	s_lshl_b32 s20, s24, 3
	s_lshr_b32 s17, s11, s9
	s_lshr_b32 s11, ttmp7, 16
	s_add_co_i32 s17, s17, s2
	s_delay_alu instid0(SALU_CYCLE_1) | instskip(SKIP_2) | instid1(SALU_CYCLE_1)
	s_cmp_lt_i32 s17, s4
	s_cselect_b32 s21, -1, 0
	s_add_co_i32 s20, s20, s11
	s_cmp_lt_i32 s20, s6
	s_cselect_b32 s22, -1, 0
	s_delay_alu instid0(SALU_CYCLE_1) | instskip(NEXT) | instid1(SALU_CYCLE_1)
	s_and_b32 s21, s21, s22
	s_and_not1_b32 vcc_lo, exec_lo, s21
	s_cbranch_vccnz .LBB16_24
; %bb.8:
	s_mul_i32 s3, s3, s4
	s_mul_i32 s7, s7, s6
	s_add_co_i32 s3, s17, s3
	s_wait_alu 0xfffe
	s_add_co_i32 s17, s20, s7
	s_mul_i32 s3, s3, s5
	s_load_b128 s[4:7], s[0:1], 0x0
	s_add_co_i32 s17, s17, s3
	s_add_nc_u64 s[0:1], s[12:13], 0
	v_mad_co_u64_u32 v[1:2], null, 0x60, s17, v[0:1]
	s_add_co_i32 s3, s2, ttmp9
	s_xor_b64 s[20:21], s[0:1], 0
	s_lshl_b32 s0, s3, 3
	s_cvt_f32_u32 s3, s20
	s_add_co_i32 s0, s0, s11
	v_cvt_f32_u32_e32 v3, s12
	v_ashrrev_i32_e32 v2, 31, v1
	s_ashr_i32 s1, s0, 31
	s_mov_b32 s22, 0
	s_lshl_b64 s[0:1], s[0:1], 3
	v_rcp_iflag_f32_e32 v3, v3
	v_lshlrev_b64_e32 v[1:2], 2, v[1:2]
	s_add_co_i32 s34, ttmp9, -1
	s_add_co_i32 s13, s12, s2
	s_sub_nc_u64 s[30:31], 0, s[20:21]
	s_wait_kmcnt 0x0
	s_add_nc_u64 s[0:1], s[6:7], s[0:1]
	s_load_b64 s[28:29], s[0:1], 0x0
	v_add_co_u32 v1, vcc_lo, s4, v1
	s_delay_alu instid0(VALU_DEP_1)
	v_add_co_ci_u32_e64 v2, null, s5, v2, vcc_lo
	s_cvt_f32_u32 s4, s21
	s_lshl_b32 s0, s12, 5
	s_mov_b32 s1, s22
	global_load_b32 v5, v[1:2], off
	s_wait_alu 0xfffe
	s_fmamk_f32 s3, s4, 0x4f800000, s3
	s_lshl_b32 s4, s2, 3
	s_lshl_b64 s[0:1], s[0:1], 2
	s_wait_alu 0xfffe
	s_add_co_i32 s4, s4, s11
	v_s_rcp_f32 s3, s3
	v_mul_f32_e32 v6, 0x4f7ffffe, v3
	s_add_nc_u64 s[24:25], s[6:7], s[0:1]
	s_wait_alu 0xfffe
	v_mad_co_u64_u32 v[3:4], null, 0x60, s4, v[0:1]
	s_delay_alu instid0(VALU_DEP_2) | instskip(NEXT) | instid1(TRANS32_DEP_1)
	v_cvt_u32_f32_e32 v0, v6
	s_mul_f32 s3, s3, 0x5f7ffffc
	s_wait_kmcnt 0x0
	v_mov_b32_e32 v4, s29
	s_wait_alu 0xfffe
	s_mul_f32 s5, s3, 0x2f800000
	s_wait_alu 0xfffe
	s_delay_alu instid0(SALU_CYCLE_2) | instskip(SKIP_1) | instid1(SALU_CYCLE_2)
	s_trunc_f32 s5, s5
	s_wait_alu 0xfffe
	s_fmamk_f32 s0, s5, 0xcf800000, s3
	s_cvt_u32_f32 s27, s5
	s_delay_alu instid0(SALU_CYCLE_2)
	s_cvt_u32_f32 s26, s0
.LBB16_9:                               ; =>This Inner Loop Header: Depth=1
	s_ashr_i32 s35, s34, 31
	s_mov_b32 s2, -1
	s_wait_alu 0xfffe
	s_mul_u64 s[0:1], s[34:35], s[14:15]
                                        ; implicit-def: $sgpr38_sgpr39
	s_wait_alu 0xfffe
	s_mov_b32 s23, s1
	s_delay_alu instid0(SALU_CYCLE_1)
	s_cmp_lg_u64 s[22:23], 0
	s_cbranch_scc0 .LBB16_11
; %bb.10:                               ;   in Loop: Header=BB16_9 Depth=1
	s_mul_u64 s[2:3], s[30:31], s[26:27]
	s_mov_b32 s37, s22
	s_wait_alu 0xfffe
	s_mul_hi_u32 s5, s26, s3
	s_mul_i32 s4, s26, s3
	s_mul_hi_u32 s36, s26, s2
	s_mul_hi_u32 s17, s27, s2
	s_wait_alu 0xfffe
	s_add_nc_u64 s[4:5], s[36:37], s[4:5]
	s_mul_i32 s2, s27, s2
	s_mul_hi_u32 s23, s27, s3
	s_wait_alu 0xfffe
	s_add_co_u32 s2, s4, s2
	s_add_co_ci_u32 s2, s5, s17
	s_add_co_ci_u32 s5, s23, 0
	s_mul_i32 s4, s27, s3
	s_mov_b32 s3, s22
	s_mov_b32 s39, s22
	s_wait_alu 0xfffe
	s_add_nc_u64 s[2:3], s[2:3], s[4:5]
	s_wait_alu 0xfffe
	s_add_co_u32 s2, s26, s2
	s_cselect_b32 s4, -1, 0
	s_wait_alu 0xfffe
	s_cmp_lg_u32 s4, 0
	s_add_co_ci_u32 s3, s27, s3
	s_wait_alu 0xfffe
	s_mul_u64 s[4:5], s[30:31], s[2:3]
	s_wait_alu 0xfffe
	s_mul_hi_u32 s37, s2, s5
	s_mul_i32 s36, s2, s5
	s_mul_hi_u32 s38, s2, s4
	s_mul_hi_u32 s17, s3, s4
	s_mul_i32 s4, s3, s4
	s_wait_alu 0xfffe
	s_add_nc_u64 s[36:37], s[38:39], s[36:37]
	s_mul_hi_u32 s23, s3, s5
	s_wait_alu 0xfffe
	s_add_co_u32 s4, s36, s4
	s_add_co_ci_u32 s4, s37, s17
	s_add_co_ci_u32 s37, s23, 0
	s_mul_i32 s36, s3, s5
	s_mov_b32 s5, s22
	s_wait_alu 0xfffe
	s_add_nc_u64 s[4:5], s[4:5], s[36:37]
	s_mov_b32 s37, s22
	s_wait_alu 0xfffe
	s_add_co_u32 s17, s2, s4
	s_cselect_b32 s2, -1, 0
	s_wait_alu 0xfffe
	s_cmp_lg_u32 s2, 0
	s_add_co_ci_u32 s23, s3, s5
	s_ashr_i32 s2, s1, 31
	s_wait_alu 0xfffe
	s_mov_b32 s3, s2
	s_wait_alu 0xfffe
	s_add_nc_u64 s[4:5], s[0:1], s[2:3]
	s_wait_alu 0xfffe
	s_xor_b64 s[4:5], s[4:5], s[2:3]
	s_wait_alu 0xfffe
	s_mul_hi_u32 s39, s4, s23
	s_mul_i32 s38, s4, s23
	s_mul_hi_u32 s36, s4, s17
	s_mul_i32 s29, s5, s17
	s_wait_alu 0xfffe
	s_add_nc_u64 s[36:37], s[36:37], s[38:39]
	s_mul_hi_u32 s17, s5, s17
	s_mul_hi_u32 s1, s5, s23
	s_wait_alu 0xfffe
	s_add_co_u32 s29, s36, s29
	s_add_co_ci_u32 s36, s37, s17
	s_add_co_ci_u32 s39, s1, 0
	s_mul_i32 s38, s5, s23
	s_mov_b32 s37, s22
	s_wait_alu 0xfffe
	s_add_nc_u64 s[36:37], s[36:37], s[38:39]
	s_wait_alu 0xfffe
	s_mul_u64 s[38:39], s[20:21], s[36:37]
	s_add_nc_u64 s[40:41], s[36:37], 1
	s_wait_alu 0xfffe
	s_sub_co_u32 s1, s4, s38
	s_cselect_b32 s4, -1, 0
	s_sub_co_i32 s17, s5, s39
	s_wait_alu 0xfffe
	s_cmp_lg_u32 s4, 0
	s_add_nc_u64 s[42:43], s[36:37], 2
	s_sub_co_ci_u32 s17, s17, s21
	s_sub_co_u32 s23, s1, s20
	s_cselect_b32 s29, -1, 0
	s_wait_alu 0xfffe
	s_cmp_lg_u32 s29, 0
	s_sub_co_ci_u32 s17, s17, 0
	s_wait_alu 0xfffe
	s_cmp_ge_u32 s17, s21
	s_cselect_b32 s29, -1, 0
	s_cmp_ge_u32 s23, s20
	s_cselect_b32 s23, -1, 0
	s_cmp_eq_u32 s17, s21
	s_wait_alu 0xfffe
	s_cselect_b32 s17, s23, s29
	s_wait_alu 0xfffe
	s_cmp_lg_u32 s17, 0
	s_cselect_b32 s17, s42, s40
	s_cselect_b32 s23, s43, s41
	s_cmp_lg_u32 s4, 0
	s_sub_co_ci_u32 s4, s5, s39
	s_wait_alu 0xfffe
	s_cmp_ge_u32 s4, s21
	s_cselect_b32 s5, -1, 0
	s_cmp_ge_u32 s1, s20
	s_cselect_b32 s1, -1, 0
	s_cmp_eq_u32 s4, s21
	s_wait_alu 0xfffe
	s_cselect_b32 s1, s1, s5
	s_wait_alu 0xfffe
	s_cmp_lg_u32 s1, 0
	s_cselect_b32 s5, s23, s37
	s_cselect_b32 s4, s17, s36
	s_xor_b64 s[2:3], s[2:3], 0
	s_wait_alu 0xfffe
	s_xor_b64 s[4:5], s[4:5], s[2:3]
	s_wait_alu 0xfffe
	s_sub_nc_u64 s[38:39], s[4:5], s[2:3]
	s_mov_b32 s2, 0
.LBB16_11:                              ;   in Loop: Header=BB16_9 Depth=1
	s_wait_alu 0xfffe
	s_and_not1_b32 vcc_lo, exec_lo, s2
	s_wait_alu 0xfffe
	s_cbranch_vccnz .LBB16_13
; %bb.12:                               ;   in Loop: Header=BB16_9 Depth=1
	v_readfirstlane_b32 s1, v0
	s_sub_co_i32 s2, 0, s12
	s_wait_alu 0xfffe
	s_mul_i32 s2, s2, s1
	s_wait_alu 0xfffe
	s_mul_hi_u32 s2, s1, s2
	s_wait_alu 0xfffe
	s_add_co_i32 s1, s1, s2
	s_wait_alu 0xfffe
	s_mul_hi_u32 s1, s0, s1
	s_wait_alu 0xfffe
	s_mul_i32 s2, s1, s12
	s_wait_alu 0xfffe
	s_sub_co_i32 s0, s0, s2
	s_add_co_i32 s2, s1, 1
	s_wait_alu 0xfffe
	s_sub_co_i32 s3, s0, s12
	s_cmp_ge_u32 s0, s12
	s_cselect_b32 s1, s2, s1
	s_wait_alu 0xfffe
	s_cselect_b32 s0, s3, s0
	s_add_co_i32 s2, s1, 1
	s_wait_alu 0xfffe
	s_cmp_ge_u32 s0, s12
	s_cselect_b32 s38, s2, s1
.LBB16_13:                              ;   in Loop: Header=BB16_9 Depth=1
	v_readfirstlane_b32 s17, v0
	s_wait_alu 0xfffe
	s_cmp_lg_u32 s16, s38
	s_mov_b32 s0, -1
                                        ; implicit-def: $sgpr29
                                        ; implicit-def: $vgpr6
                                        ; implicit-def: $vgpr7
                                        ; implicit-def: $sgpr23
                                        ; implicit-def: $sgpr33
	s_cbranch_scc1 .LBB16_16
; %bb.14:                               ;   in Loop: Header=BB16_9 Depth=1
	s_wait_alu 0xfffe
	s_and_not1_b32 vcc_lo, exec_lo, s0
	s_wait_alu 0xfffe
	s_cbranch_vccz .LBB16_19
.LBB16_15:                              ;   in Loop: Header=BB16_9 Depth=1
	s_and_not1_b32 vcc_lo, exec_lo, s29
	s_wait_alu 0xfffe
	s_cbranch_vccnz .LBB16_20
	s_branch .LBB16_23
.LBB16_16:                              ;   in Loop: Header=BB16_9 Depth=1
	s_add_co_i32 s0, s13, s34
	s_mov_b32 s1, s22
	s_wait_alu 0xfffe
	s_lshl_b32 s0, s0, 3
	v_max_num_f32_e64 v6, s28, s28
	s_wait_alu 0xfffe
	s_add_co_i32 s0, s0, s11
	s_mov_b32 s39, s22
	s_wait_alu 0xfffe
	s_lshl_b64 s[0:1], s[0:1], 3
	s_mul_u64 s[40:41], s[38:39], s[18:19]
	s_wait_alu 0xfffe
	s_add_nc_u64 s[0:1], s[6:7], s[0:1]
	s_mov_b32 s33, s16
	s_load_b64 s[36:37], s[0:1], 0x0
	v_readfirstlane_b32 s0, v6
	s_wait_kmcnt 0x0
	v_max_num_f32_e64 v7, s36, s36
	s_delay_alu instid0(VALU_DEP_1) | instskip(SKIP_2) | instid1(SALU_CYCLE_2)
	v_readfirstlane_b32 s1, v7
	s_max_num_f32 s17, s0, s1
	s_wait_alu 0xfffe
	s_sub_f32 s35, s28, s17
	s_sub_f32 s36, s36, s17
	s_wait_alu 0xfffe
	s_delay_alu instid0(SALU_CYCLE_1)
	s_cmp_nlt_f32 s35, 0xc2ce8ed0
	s_cselect_b32 s0, -1, 0
	s_cmp_ngt_f32 s35, 0x42b17218
	s_cselect_b32 s1, -1, 0
	s_cmp_ge_f32 s35, 0xc1a00000
	s_cselect_b32 s2, -1, 0
	s_cmp_nlt_f32 s36, 0xc2ce8ed0
	s_cselect_b32 s3, -1, 0
	s_cmp_ngt_f32 s36, 0x42b17218
	s_cselect_b32 s4, -1, 0
	s_cmp_ge_f32 s36, 0xc1a00000
	s_cselect_b32 s5, -1, 0
	s_add_co_i32 s23, s41, s38
	s_delay_alu instid0(SALU_CYCLE_1) | instskip(NEXT) | instid1(SALU_CYCLE_1)
	s_lshr_b32 s23, s23, s9
	s_mul_i32 s29, s23, s10
	s_wait_alu 0xfffe
	s_cmp_eq_u32 s29, s38
	s_cselect_b32 s29, -1, 0
	s_cmp_lt_u32 s23, s8
	s_cselect_b32 s23, -1, 0
	s_wait_alu 0xfffe
	s_or_b32 s23, s23, s29
	s_mov_b32 s29, -1
	s_and_b32 vcc_lo, exec_lo, s23
	s_mov_b32 s23, s34
	s_wait_alu 0xfffe
	s_cbranch_vccnz .LBB16_18
; %bb.17:                               ;   in Loop: Header=BB16_9 Depth=1
	s_add_co_i32 s23, s34, -1
	s_mov_b32 s29, 0
	s_mov_b32 s33, s38
.LBB16_18:                              ;   in Loop: Header=BB16_9 Depth=1
	v_mad_co_u64_u32 v[6:7], null, 0x300, s34, v[3:4]
	s_mul_f32 s38, s36, 0x3fb8aa3b
	s_mul_f32 s39, s35, 0x3fb8aa3b
	s_wait_alu 0xfffe
	s_delay_alu instid0(SALU_CYCLE_1)
	s_xor_b32 s40, s38, 0x80000000
	s_rndne_f32 s41, s38
	v_ashrrev_i32_e32 v7, 31, v6
	s_fmamk_f32 s40, s36, 0x3fb8aa3b, s40
	s_xor_b32 s42, s39, 0x80000000
	s_sub_f32 s38, s38, s41
	s_rndne_f32 s43, s39
	v_lshlrev_b64_e32 v[6:7], 2, v[6:7]
	s_fmamk_f32 s36, s36, 0x32a5705f, s40
	s_fmamk_f32 s40, s35, 0x3fb8aa3b, s42
	s_sub_f32 s39, s39, s43
	s_wait_alu 0xfffe
	s_add_f32 s36, s38, s36
	v_add_co_u32 v6, vcc_lo, s24, v6
	s_wait_alu 0xfffd
	v_add_co_ci_u32_e64 v7, null, s25, v7, vcc_lo
	s_fmamk_f32 s35, s35, 0x32a5705f, s40
	s_wait_alu 0xfffe
	v_s_exp_f32 s36, s36
	s_cvt_i32_f32 s38, s41
	global_load_b32 v6, v[6:7], off
	s_add_f32 s35, s39, s35
	s_wait_alu 0xfffe
	s_delay_alu instid0(SALU_CYCLE_2) | instskip(SKIP_2) | instid1(VALU_DEP_1)
	v_s_exp_f32 s35, s35
	v_ldexp_f32 v7, s36, s38
	s_cvt_i32_f32 s36, s43
	v_cndmask_b32_e64 v7, 0, v7, s3
	s_wait_alu 0xf1fe
	s_delay_alu instid0(TRANS32_DEP_1) | instid1(SALU_CYCLE_1)
	v_ldexp_f32 v8, s35, s36
	s_delay_alu instid0(VALU_DEP_2) | instskip(NEXT) | instid1(VALU_DEP_2)
	v_cndmask_b32_e64 v7, 0x7f800000, v7, s4
	v_cndmask_b32_e64 v8, 0, v8, s0
	s_delay_alu instid0(VALU_DEP_2) | instskip(NEXT) | instid1(VALU_DEP_2)
	v_cndmask_b32_e64 v7, 0, v7, s5
	v_cndmask_b32_e64 v8, 0x7f800000, v8, s1
	s_delay_alu instid0(VALU_DEP_1) | instskip(SKIP_1) | instid1(VALU_DEP_3)
	v_cndmask_b32_e64 v8, 0, v8, s2
	s_wait_loadcnt 0x0
	v_mul_f32_e32 v6, v6, v7
	v_mul_f32_e32 v7, s37, v7
	s_delay_alu instid0(VALU_DEP_1) | instskip(NEXT) | instid1(VALU_DEP_3)
	v_fmac_f32_e32 v7, v4, v8
	v_fmac_f32_e32 v6, v5, v8
	s_cbranch_execnz .LBB16_15
.LBB16_19:                              ;   in Loop: Header=BB16_9 Depth=1
	s_wait_loadcnt 0x0
	v_dual_mov_b32 v7, v4 :: v_dual_mov_b32 v6, v5
	s_add_co_i32 s23, s34, -1
	s_mov_b32 s33, s16
	s_mov_b32 s17, s28
	s_cbranch_execz .LBB16_23
.LBB16_20:                              ;   in Loop: Header=BB16_9 Depth=1
	s_wait_loadcnt 0x0
	v_dual_mov_b32 v4, v7 :: v_dual_mov_b32 v5, v6
	s_mov_b32 s16, s33
	s_mov_b32 s34, s23
	s_wait_alu 0xfffe
	s_mov_b32 s28, s17
	s_branch .LBB16_9
.LBB16_21:
                                        ; implicit-def: $sgpr16_sgpr17
	s_branch .LBB16_2
.LBB16_22:
                                        ; implicit-def: $sgpr20_sgpr21
	s_load_b96 s[8:10], s[0:1], 0x44
	s_branch .LBB16_5
.LBB16_23:
	v_div_scale_f32 v0, null, v7, v7, v6
	s_delay_alu instid0(VALU_DEP_1) | instskip(NEXT) | instid1(TRANS32_DEP_1)
	v_rcp_f32_e32 v3, v0
	v_fma_f32 v4, -v0, v3, 1.0
	s_delay_alu instid0(VALU_DEP_1) | instskip(SKIP_2) | instid1(VALU_DEP_1)
	v_fmac_f32_e32 v3, v4, v3
	v_div_scale_f32 v4, vcc_lo, v6, v7, v6
	s_wait_loadcnt 0x0
	v_mul_f32_e32 v5, v4, v3
	s_delay_alu instid0(VALU_DEP_1) | instskip(NEXT) | instid1(VALU_DEP_1)
	v_fma_f32 v8, -v0, v5, v4
	v_fmac_f32_e32 v5, v8, v3
	s_delay_alu instid0(VALU_DEP_1) | instskip(SKIP_1) | instid1(VALU_DEP_1)
	v_fma_f32 v0, -v0, v5, v4
	s_wait_alu 0xfffd
	v_div_fmas_f32 v0, v0, v3, v5
	s_delay_alu instid0(VALU_DEP_1)
	v_div_fixup_f32 v0, v0, v7, v6
	global_store_b32 v[1:2], v0, off
.LBB16_24:
	s_endpgm
	.section	.rodata,"a",@progbits
	.p2align	6, 0x0
	.amdhsa_kernel _ZL33flash_attn_stream_k_fixup_generalILi96ELi1ELi8EEvPfPK15HIP_vector_typeIfLj2EEiiiiS1_IjLj3EES5_S5_S5_
		.amdhsa_group_segment_fixed_size 0
		.amdhsa_private_segment_fixed_size 0
		.amdhsa_kernarg_size 336
		.amdhsa_user_sgpr_count 2
		.amdhsa_user_sgpr_dispatch_ptr 0
		.amdhsa_user_sgpr_queue_ptr 0
		.amdhsa_user_sgpr_kernarg_segment_ptr 1
		.amdhsa_user_sgpr_dispatch_id 0
		.amdhsa_user_sgpr_private_segment_size 0
		.amdhsa_wavefront_size32 1
		.amdhsa_uses_dynamic_stack 0
		.amdhsa_enable_private_segment 0
		.amdhsa_system_sgpr_workgroup_id_x 1
		.amdhsa_system_sgpr_workgroup_id_y 1
		.amdhsa_system_sgpr_workgroup_id_z 1
		.amdhsa_system_sgpr_workgroup_info 0
		.amdhsa_system_vgpr_workitem_id 0
		.amdhsa_next_free_vgpr 9
		.amdhsa_next_free_sgpr 44
		.amdhsa_reserve_vcc 1
		.amdhsa_float_round_mode_32 0
		.amdhsa_float_round_mode_16_64 0
		.amdhsa_float_denorm_mode_32 3
		.amdhsa_float_denorm_mode_16_64 3
		.amdhsa_fp16_overflow 0
		.amdhsa_workgroup_processor_mode 1
		.amdhsa_memory_ordered 1
		.amdhsa_forward_progress 1
		.amdhsa_inst_pref_size 28
		.amdhsa_round_robin_scheduling 0
		.amdhsa_exception_fp_ieee_invalid_op 0
		.amdhsa_exception_fp_denorm_src 0
		.amdhsa_exception_fp_ieee_div_zero 0
		.amdhsa_exception_fp_ieee_overflow 0
		.amdhsa_exception_fp_ieee_underflow 0
		.amdhsa_exception_fp_ieee_inexact 0
		.amdhsa_exception_int_div_zero 0
	.end_amdhsa_kernel
	.section	.text._ZL33flash_attn_stream_k_fixup_generalILi96ELi1ELi8EEvPfPK15HIP_vector_typeIfLj2EEiiiiS1_IjLj3EES5_S5_S5_,"axG",@progbits,_ZL33flash_attn_stream_k_fixup_generalILi96ELi1ELi8EEvPfPK15HIP_vector_typeIfLj2EEiiiiS1_IjLj3EES5_S5_S5_,comdat
.Lfunc_end16:
	.size	_ZL33flash_attn_stream_k_fixup_generalILi96ELi1ELi8EEvPfPK15HIP_vector_typeIfLj2EEiiiiS1_IjLj3EES5_S5_S5_, .Lfunc_end16-_ZL33flash_attn_stream_k_fixup_generalILi96ELi1ELi8EEvPfPK15HIP_vector_typeIfLj2EEiiiiS1_IjLj3EES5_S5_S5_
                                        ; -- End function
	.set _ZL33flash_attn_stream_k_fixup_generalILi96ELi1ELi8EEvPfPK15HIP_vector_typeIfLj2EEiiiiS1_IjLj3EES5_S5_S5_.num_vgpr, 9
	.set _ZL33flash_attn_stream_k_fixup_generalILi96ELi1ELi8EEvPfPK15HIP_vector_typeIfLj2EEiiiiS1_IjLj3EES5_S5_S5_.num_agpr, 0
	.set _ZL33flash_attn_stream_k_fixup_generalILi96ELi1ELi8EEvPfPK15HIP_vector_typeIfLj2EEiiiiS1_IjLj3EES5_S5_S5_.numbered_sgpr, 44
	.set _ZL33flash_attn_stream_k_fixup_generalILi96ELi1ELi8EEvPfPK15HIP_vector_typeIfLj2EEiiiiS1_IjLj3EES5_S5_S5_.num_named_barrier, 0
	.set _ZL33flash_attn_stream_k_fixup_generalILi96ELi1ELi8EEvPfPK15HIP_vector_typeIfLj2EEiiiiS1_IjLj3EES5_S5_S5_.private_seg_size, 0
	.set _ZL33flash_attn_stream_k_fixup_generalILi96ELi1ELi8EEvPfPK15HIP_vector_typeIfLj2EEiiiiS1_IjLj3EES5_S5_S5_.uses_vcc, 1
	.set _ZL33flash_attn_stream_k_fixup_generalILi96ELi1ELi8EEvPfPK15HIP_vector_typeIfLj2EEiiiiS1_IjLj3EES5_S5_S5_.uses_flat_scratch, 0
	.set _ZL33flash_attn_stream_k_fixup_generalILi96ELi1ELi8EEvPfPK15HIP_vector_typeIfLj2EEiiiiS1_IjLj3EES5_S5_S5_.has_dyn_sized_stack, 0
	.set _ZL33flash_attn_stream_k_fixup_generalILi96ELi1ELi8EEvPfPK15HIP_vector_typeIfLj2EEiiiiS1_IjLj3EES5_S5_S5_.has_recursion, 0
	.set _ZL33flash_attn_stream_k_fixup_generalILi96ELi1ELi8EEvPfPK15HIP_vector_typeIfLj2EEiiiiS1_IjLj3EES5_S5_S5_.has_indirect_call, 0
	.section	.AMDGPU.csdata,"",@progbits
; Kernel info:
; codeLenInByte = 3540
; TotalNumSgprs: 46
; NumVgprs: 9
; ScratchSize: 0
; MemoryBound: 0
; FloatMode: 240
; IeeeMode: 1
; LDSByteSize: 0 bytes/workgroup (compile time only)
; SGPRBlocks: 0
; VGPRBlocks: 1
; NumSGPRsForWavesPerEU: 46
; NumVGPRsForWavesPerEU: 9
; Occupancy: 16
; WaveLimiterHint : 0
; COMPUTE_PGM_RSRC2:SCRATCH_EN: 0
; COMPUTE_PGM_RSRC2:USER_SGPR: 2
; COMPUTE_PGM_RSRC2:TRAP_HANDLER: 0
; COMPUTE_PGM_RSRC2:TGID_X_EN: 1
; COMPUTE_PGM_RSRC2:TGID_Y_EN: 1
; COMPUTE_PGM_RSRC2:TGID_Z_EN: 1
; COMPUTE_PGM_RSRC2:TIDIG_COMP_CNT: 0
	.section	.text._ZL15flash_attn_tileILi96ELi96ELi16ELi4ELb0EEvPKcS1_S1_S1_S1_PKiPfP15HIP_vector_typeIfLj2EEffffjfiS5_IjLj3EEiiiiiiiiiiiliiliiiiil,"axG",@progbits,_ZL15flash_attn_tileILi96ELi96ELi16ELi4ELb0EEvPKcS1_S1_S1_S1_PKiPfP15HIP_vector_typeIfLj2EEffffjfiS5_IjLj3EEiiiiiiiiiiiliiliiiiil,comdat
	.globl	_ZL15flash_attn_tileILi96ELi96ELi16ELi4ELb0EEvPKcS1_S1_S1_S1_PKiPfP15HIP_vector_typeIfLj2EEffffjfiS5_IjLj3EEiiiiiiiiiiiliiliiiiil ; -- Begin function _ZL15flash_attn_tileILi96ELi96ELi16ELi4ELb0EEvPKcS1_S1_S1_S1_PKiPfP15HIP_vector_typeIfLj2EEffffjfiS5_IjLj3EEiiiiiiiiiiiliiliiiiil
	.p2align	8
	.type	_ZL15flash_attn_tileILi96ELi96ELi16ELi4ELb0EEvPKcS1_S1_S1_S1_PKiPfP15HIP_vector_typeIfLj2EEffffjfiS5_IjLj3EEiiiiiiiiiiiliiliiiiil,@function
_ZL15flash_attn_tileILi96ELi96ELi16ELi4ELb0EEvPKcS1_S1_S1_S1_PKiPfP15HIP_vector_typeIfLj2EEffffjfiS5_IjLj3EEiiiiiiiiiiiliiliiiiil: ; @_ZL15flash_attn_tileILi96ELi96ELi16ELi4ELb0EEvPKcS1_S1_S1_S1_PKiPfP15HIP_vector_typeIfLj2EEffffjfiS5_IjLj3EEiiiiiiiiiiiliiliiiiil
; %bb.0:
	s_clause 0x1
	s_load_b128 s[36:39], s[0:1], 0x5c
	s_load_b64 s[42:43], s[0:1], 0x80
	s_lshr_b32 s5, ttmp7, 16
	s_load_b512 s[16:31], s[0:1], 0x0
	s_mov_b32 s9, 0
	s_mov_b64 s[44:45], 0
	s_wait_kmcnt 0x0
	s_ashr_i32 s2, s39, 31
	s_delay_alu instid0(SALU_CYCLE_1) | instskip(NEXT) | instid1(SALU_CYCLE_1)
	s_lshr_b32 s2, s2, 30
	s_add_co_i32 s2, s39, s2
	s_delay_alu instid0(SALU_CYCLE_1) | instskip(NEXT) | instid1(SALU_CYCLE_1)
	s_ashr_i32 s2, s2, 2
	s_cvt_f32_u32 s3, s2
	s_sub_co_i32 s4, 0, s2
	s_delay_alu instid0(SALU_CYCLE_2) | instskip(NEXT) | instid1(TRANS32_DEP_1)
	v_rcp_iflag_f32_e32 v1, s3
	v_readfirstlane_b32 s3, v1
	s_mul_f32 s3, s3, 0x4f7ffffe
	s_wait_alu 0xfffe
	s_delay_alu instid0(SALU_CYCLE_2) | instskip(SKIP_1) | instid1(SALU_CYCLE_2)
	s_cvt_u32_f32 s3, s3
	s_wait_alu 0xfffe
	s_mul_i32 s4, s4, s3
	s_delay_alu instid0(SALU_CYCLE_1) | instskip(NEXT) | instid1(SALU_CYCLE_1)
	s_mul_hi_u32 s4, s3, s4
	s_add_co_i32 s3, s3, s4
	s_wait_alu 0xfffe
	s_mul_hi_u32 s3, s5, s3
	s_wait_alu 0xfffe
	s_mul_i32 s4, s3, s2
	s_add_co_i32 s6, s3, 1
	s_sub_co_i32 s4, s5, s4
	s_delay_alu instid0(SALU_CYCLE_1)
	s_sub_co_i32 s7, s4, s2
	s_cmp_ge_u32 s4, s2
	s_cselect_b32 s3, s6, s3
	s_cselect_b32 s4, s7, s4
	s_wait_alu 0xfffe
	s_add_co_i32 s6, s3, 1
	s_cmp_ge_u32 s4, s2
	s_cselect_b32 s40, s6, s3
	s_abs_i32 s2, s43
	s_abs_i32 s7, s39
	s_wait_alu 0xfffe
	s_cvt_f32_u32 s3, s2
	s_sub_co_i32 s4, 0, s2
	s_lshl_b32 s5, s5, 2
	s_mul_i32 s6, s40, s39
	s_wait_alu 0xfffe
	v_rcp_iflag_f32_e32 v1, s3
	s_sub_co_i32 s34, s5, s6
	s_delay_alu instid0(TRANS32_DEP_1) | instskip(SKIP_2) | instid1(SALU_CYCLE_2)
	v_readfirstlane_b32 s3, v1
	s_mul_f32 s3, s3, 0x4f7ffffe
	s_wait_alu 0xfffe
	s_cvt_u32_f32 s3, s3
	s_wait_alu 0xfffe
	s_delay_alu instid0(SALU_CYCLE_2) | instskip(NEXT) | instid1(SALU_CYCLE_1)
	s_mul_i32 s4, s4, s3
	s_mul_hi_u32 s4, s3, s4
	s_delay_alu instid0(SALU_CYCLE_1)
	s_add_co_i32 s3, s3, s4
	s_xor_b32 s4, s39, s43
	s_wait_alu 0xfffe
	s_mul_hi_u32 s3, s7, s3
	s_ashr_i32 s4, s4, 31
	s_wait_alu 0xfffe
	s_mul_i32 s5, s3, s2
	s_add_co_i32 s6, s3, 1
	s_sub_co_i32 s5, s7, s5
	s_delay_alu instid0(SALU_CYCLE_1)
	s_sub_co_i32 s7, s5, s2
	s_cmp_ge_u32 s5, s2
	s_cselect_b32 s3, s6, s3
	s_cselect_b32 s5, s7, s5
	s_wait_alu 0xfffe
	s_add_co_i32 s6, s3, 1
	s_cmp_ge_u32 s5, s2
	s_cselect_b32 s2, s6, s3
	s_wait_alu 0xfffe
	s_xor_b32 s2, s2, s4
	s_wait_alu 0xfffe
	s_sub_co_i32 s15, s2, s4
	s_load_b64 s[2:3], s[0:1], 0xb8
	s_abs_i32 s14, s15
	s_cmp_eq_u64 s[22:23], 0
	s_cvt_f32_u32 s4, s14
	s_delay_alu instid0(SALU_CYCLE_3) | instskip(NEXT) | instid1(TRANS32_DEP_1)
	v_rcp_iflag_f32_e32 v1, s4
	v_readfirstlane_b32 s8, v1
	s_cbranch_scc1 .LBB17_2
; %bb.1:
	s_wait_kmcnt 0x0
	s_abs_i32 s2, s2
	s_wait_alu 0xfffe
	s_cvt_f32_u32 s4, s2
	s_wait_alu 0xfffe
	s_delay_alu instid0(SALU_CYCLE_2) | instskip(NEXT) | instid1(TRANS32_DEP_1)
	v_rcp_iflag_f32_e32 v1, s4
	v_readfirstlane_b32 s4, v1
	s_mul_f32 s4, s4, 0x4f7ffffe
	s_wait_alu 0xfffe
	s_delay_alu instid0(SALU_CYCLE_2) | instskip(SKIP_2) | instid1(SALU_CYCLE_1)
	s_cvt_u32_f32 s6, s4
	s_sub_co_i32 s4, 0, s2
	s_wait_alu 0xfffe
	s_mul_i32 s4, s4, s6
	s_wait_alu 0xfffe
	s_mul_hi_u32 s7, s6, s4
	s_load_b64 s[4:5], s[0:1], 0xc8
	s_add_co_i32 s6, s6, s7
	s_delay_alu instid0(SALU_CYCLE_1) | instskip(NEXT) | instid1(SALU_CYCLE_1)
	s_mul_hi_u32 s6, s40, s6
	s_mul_i32 s6, s6, s2
	s_delay_alu instid0(SALU_CYCLE_1) | instskip(NEXT) | instid1(SALU_CYCLE_1)
	s_sub_co_i32 s6, s40, s6
	s_sub_co_i32 s7, s6, s2
	s_cmp_ge_u32 s6, s2
	s_cselect_b32 s6, s7, s6
	s_delay_alu instid0(SALU_CYCLE_1) | instskip(SKIP_2) | instid1(SALU_CYCLE_1)
	s_sub_co_i32 s7, s6, s2
	s_cmp_ge_u32 s6, s2
	s_cselect_b32 s6, s7, s6
	s_ashr_i32 s7, s6, 31
	s_wait_kmcnt 0x0
	s_mul_u64 s[4:5], s[4:5], s[6:7]
	s_wait_alu 0xfffe
	s_add_nc_u64 s[44:45], s[22:23], s[4:5]
.LBB17_2:
	s_clause 0x1
	s_load_b96 s[4:6], s[0:1], 0x70
	s_load_b32 s22, s[0:1], 0x40
	v_and_b32_e32 v117, 0x3ff, v0
	v_bfe_u32 v118, v0, 10, 10
	s_lshl_b32 s33, ttmp9, 4
	s_delay_alu instid0(VALU_DEP_2)
	v_lshlrev_b32_e32 v104, 2, v117
	s_wait_kmcnt 0x0
	v_cmp_gt_u32_e64 s2, 24, v117
	v_lshlrev_b32_e32 v119, 3, v117
	v_lshl_add_u32 v0, v118, 1, s33
	v_lshlrev_b32_e32 v2, 2, v104
	s_mul_i32 s6, s40, s6
	s_mul_i32 s46, s34, s5
	s_ashr_i32 s11, s5, 31
	s_mov_b32 s10, s5
	s_ashr_i32 s7, s6, 31
	s_ashr_i32 s5, s4, 31
	;; [unrolled: 1-line block ×3, first 2 shown]
	s_lshr_b64 s[12:13], s[10:11], 2
	s_add_nc_u64 s[6:7], s[16:17], s[6:7]
	s_wait_alu 0xfffe
	s_lshr_b64 s[10:11], s[4:5], 2
	s_add_nc_u64 s[4:5], s[6:7], s[46:47]
	s_mul_u64 s[6:7], s[12:13], 12
	s_and_saveexec_b32 s16, s2
	s_cbranch_execz .LBB17_4
; %bb.3:
	v_mul_hi_u32 v1, v0, s36
	s_lshl_b64 s[46:47], s[12:13], 2
	s_lshl_b64 s[48:49], s[12:13], 3
	s_wait_alu 0xfffe
	s_add_nc_u64 s[46:47], s[4:5], s[46:47]
	s_add_nc_u64 s[48:49], s[4:5], s[48:49]
	;; [unrolled: 1-line block ×3, first 2 shown]
	s_delay_alu instid0(VALU_DEP_1) | instskip(NEXT) | instid1(VALU_DEP_1)
	v_add_nc_u32_e32 v1, v0, v1
	v_lshrrev_b32_e32 v1, s37, v1
	s_delay_alu instid0(VALU_DEP_1) | instskip(NEXT) | instid1(VALU_DEP_1)
	v_mul_lo_u32 v1, v1, s38
	v_sub_nc_u32_e32 v5, v0, v1
	s_delay_alu instid0(VALU_DEP_1) | instskip(NEXT) | instid1(VALU_DEP_1)
	v_mad_co_u64_u32 v[3:4], null, s10, v5, 0
	v_mov_b32_e32 v1, v4
	s_delay_alu instid0(VALU_DEP_1) | instskip(NEXT) | instid1(VALU_DEP_1)
	v_mad_co_u64_u32 v[4:5], null, s11, v5, v[1:2]
	v_lshlrev_b64_e32 v[3:4], 2, v[3:4]
	s_delay_alu instid0(VALU_DEP_1) | instskip(NEXT) | instid1(VALU_DEP_1)
	v_add_co_u32 v1, vcc_lo, s4, v3
	v_add_co_ci_u32_e64 v5, null, s5, v4, vcc_lo
	v_add_co_u32 v6, vcc_lo, s46, v3
	s_wait_alu 0xfffd
	v_add_co_ci_u32_e64 v8, null, s47, v4, vcc_lo
	v_add_co_u32 v9, vcc_lo, s48, v3
	s_wait_alu 0xfffd
	;; [unrolled: 3-line block ×7, first 2 shown]
	v_add_co_ci_u32_e64 v16, null, 0, v14, vcc_lo
	s_clause 0x3
	global_load_b128 v[3:6], v[3:4], off
	global_load_b128 v[7:10], v[7:8], off
	;; [unrolled: 1-line block ×4, first 2 shown]
	v_mad_u32_u24 v1, 0x600, v118, v119
	s_wait_loadcnt 0x3
	v_fma_mixlo_f16 v3, s22, v3, 0
	v_fma_mixlo_f16 v4, s22, v4, 0
	;; [unrolled: 1-line block ×4, first 2 shown]
	s_wait_loadcnt 0x2
	v_fma_mixlo_f16 v7, s22, v7, 0
	v_fma_mixlo_f16 v8, s22, v8, 0
	;; [unrolled: 1-line block ×4, first 2 shown]
	s_wait_loadcnt 0x1
	v_fma_mixlo_f16 v11, s22, v11, 0
	v_fma_mixlo_f16 v12, s22, v12, 0
	s_wait_loadcnt 0x0
	v_fma_mixlo_f16 v15, s22, v15, 0
	v_fma_mixlo_f16 v16, s22, v16, 0
	v_lshlrev_b32_e32 v4, 16, v4
	v_and_b32_e32 v3, 0xffff, v3
	v_lshlrev_b32_e32 v6, 16, v6
	v_and_b32_e32 v5, 0xffff, v5
	;; [unrolled: 2-line block ×3, first 2 shown]
	v_fma_mixlo_f16 v13, s22, v13, 0
	v_fma_mixlo_f16 v14, s22, v14, 0
	;; [unrolled: 1-line block ×4, first 2 shown]
	v_lshlrev_b32_e32 v10, 16, v10
	v_and_b32_e32 v9, 0xffff, v9
	v_lshlrev_b32_e32 v12, 16, v12
	v_and_b32_e32 v11, 0xffff, v11
	;; [unrolled: 2-line block ×3, first 2 shown]
	v_or_b32_e32 v3, v4, v3
	v_or3_b32 v4, v6, v5, 0
	v_or_b32_e32 v5, v8, v7
	v_lshlrev_b32_e32 v14, 16, v14
	v_and_b32_e32 v13, 0xffff, v13
	v_lshlrev_b32_e32 v18, 16, v18
	v_and_b32_e32 v17, 0xffff, v17
	v_or3_b32 v6, v10, v9, 0
	v_or_b32_e32 v7, v12, v11
	v_or_b32_e32 v9, v16, v15
	v_or3_b32 v3, 0, 0, v3
	v_or3_b32 v5, 0, 0, v5
	;; [unrolled: 1-line block ×6, first 2 shown]
	ds_store_2addr_b64 v1, v[3:4], v[5:6] offset1:24
	ds_store_2addr_b64 v1, v[7:8], v[9:10] offset0:48 offset1:72
.LBB17_4:
	s_or_b32 exec_lo, exec_lo, s16
	v_lshlrev_b32_e32 v1, 3, v118
	s_delay_alu instid0(VALU_DEP_1) | instskip(NEXT) | instid1(VALU_DEP_1)
	v_or_b32_e32 v3, 4, v1
	v_lshrrev_b32_e32 v116, 2, v3
	s_and_saveexec_b32 s16, s2
	s_cbranch_execnz .LBB17_14
; %bb.5:
	s_or_b32 exec_lo, exec_lo, s16
	v_or_b32_e32 v115, 5, v1
	s_and_saveexec_b32 s16, s2
	s_cbranch_execnz .LBB17_15
.LBB17_6:
	s_or_b32 exec_lo, exec_lo, s16
	v_or_b32_e32 v114, 6, v1
	s_and_saveexec_b32 s16, s2
	s_cbranch_execnz .LBB17_16
.LBB17_7:
	s_or_b32 exec_lo, exec_lo, s16
	v_or_b32_e32 v113, 7, v1
	s_and_saveexec_b32 s12, s2
	s_cbranch_execz .LBB17_9
.LBB17_8:
	s_delay_alu instid0(VALU_DEP_1) | instskip(SKIP_3) | instid1(VALU_DEP_2)
	v_lshrrev_b32_e32 v3, 2, v113
	s_wait_alu 0xfffe
	s_add_nc_u64 s[4:5], s[4:5], s[6:7]
	v_mad_u32_u24 v6, 0xc0, v113, v119
	v_add_nc_u32_e32 v3, s33, v3
	s_delay_alu instid0(VALU_DEP_1) | instskip(NEXT) | instid1(VALU_DEP_1)
	v_mul_hi_u32 v4, v3, s36
	v_add_nc_u32_e32 v4, v3, v4
	s_delay_alu instid0(VALU_DEP_1) | instskip(NEXT) | instid1(VALU_DEP_1)
	v_lshrrev_b32_e32 v4, s37, v4
	v_mul_lo_u32 v4, v4, s38
	s_delay_alu instid0(VALU_DEP_1) | instskip(NEXT) | instid1(VALU_DEP_1)
	v_sub_nc_u32_e32 v5, v3, v4
	v_mad_co_u64_u32 v[3:4], null, s10, v5, 0
	s_delay_alu instid0(VALU_DEP_1) | instskip(NEXT) | instid1(VALU_DEP_1)
	v_mad_co_u64_u32 v[4:5], null, s11, v5, v[4:5]
	v_lshlrev_b64_e32 v[3:4], 2, v[3:4]
	s_wait_alu 0xfffe
	s_delay_alu instid0(VALU_DEP_1) | instskip(SKIP_1) | instid1(VALU_DEP_2)
	v_add_co_u32 v3, vcc_lo, s4, v3
	s_wait_alu 0xfffd
	v_add_co_ci_u32_e64 v4, null, s5, v4, vcc_lo
	s_delay_alu instid0(VALU_DEP_2) | instskip(SKIP_1) | instid1(VALU_DEP_2)
	v_add_co_u32 v2, vcc_lo, v3, v2
	s_wait_alu 0xfffd
	v_add_co_ci_u32_e64 v3, null, 0, v4, vcc_lo
	global_load_b128 v[2:5], v[2:3], off
	s_wait_loadcnt 0x0
	v_fma_mixlo_f16 v3, s22, v3, 0
	v_fma_mixlo_f16 v2, s22, v2, 0
	;; [unrolled: 1-line block ×4, first 2 shown]
	s_delay_alu instid0(VALU_DEP_4) | instskip(NEXT) | instid1(VALU_DEP_4)
	v_lshlrev_b32_e32 v3, 16, v3
	v_and_b32_e32 v2, 0xffff, v2
	s_delay_alu instid0(VALU_DEP_4) | instskip(NEXT) | instid1(VALU_DEP_4)
	v_and_b32_e32 v4, 0xffff, v4
	v_lshlrev_b32_e32 v5, 16, v5
	s_delay_alu instid0(VALU_DEP_3) | instskip(NEXT) | instid1(VALU_DEP_2)
	v_or_b32_e32 v2, v3, v2
	v_or3_b32 v3, v5, v4, 0
	s_delay_alu instid0(VALU_DEP_2)
	v_or3_b32 v2, 0, 0, v2
	ds_store_b64 v6, v[2:3]
.LBB17_9:
	s_wait_alu 0xfffe
	s_or_b32 exec_lo, exec_lo, s12
	s_cmp_eq_u64 s[26:27], 0
	s_wait_dscnt 0x0
	s_barrier_signal -1
	s_barrier_wait -1
	global_inv scope:SCOPE_SE
	s_cbranch_scc1 .LBB17_11
; %bb.10:
	s_load_b32 s4, s[0:1], 0xd0
	s_mov_b32 s5, 0
	s_wait_kmcnt 0x0
	s_mul_i32 s4, s4, s40
	s_wait_alu 0xfffe
	s_add_co_i32 s4, s4, ttmp9
	s_wait_alu 0xfffe
	s_lshl_b64 s[4:5], s[4:5], 2
	s_wait_alu 0xfffe
	s_add_nc_u64 s[4:5], s[26:27], s[4:5]
	s_load_b32 s42, s[4:5], 0x0
.LBB17_11:
	s_and_b32 s26, ttmp7, 0xffff
	v_mbcnt_lo_u32_b32 v124, -1, 0
	s_lshl_b32 s46, s26, 5
	s_wait_kmcnt 0x0
	s_wait_alu 0xfffe
	s_cmp_lt_i32 s46, s42
	s_cbranch_scc1 .LBB17_17
; %bb.12:
	v_mbcnt_lo_u32_b32 v8, -1, 0
	v_mov_b32_e32 v122, 32
	s_delay_alu instid0(VALU_DEP_2)
	v_xor_b32_e32 v159, 16, v8
	v_xor_b32_e32 v160, 8, v8
	;; [unrolled: 1-line block ×5, first 2 shown]
	s_mov_b32 s41, 0
	s_cbranch_execz .LBB17_18
; %bb.13:
	v_dual_mov_b32 v149, 0 :: v_dual_mov_b32 v164, 0
	v_dual_mov_b32 v7, 0xfeffffff :: v_dual_mov_b32 v6, 0xfeffffff
	;; [unrolled: 1-line block ×16, first 2 shown]
	s_branch .LBB17_38
.LBB17_14:
	s_delay_alu instid0(VALU_DEP_1) | instskip(SKIP_1) | instid1(VALU_DEP_2)
	v_add_nc_u32_e32 v4, s33, v116
	v_mad_u32_u24 v8, 0xc0, v3, v119
	v_mul_hi_u32 v5, v4, s36
	s_delay_alu instid0(VALU_DEP_1) | instskip(NEXT) | instid1(VALU_DEP_1)
	v_add_nc_u32_e32 v5, v4, v5
	v_lshrrev_b32_e32 v5, s37, v5
	s_delay_alu instid0(VALU_DEP_1) | instskip(NEXT) | instid1(VALU_DEP_1)
	v_mul_lo_u32 v5, v5, s38
	v_sub_nc_u32_e32 v6, v4, v5
	s_delay_alu instid0(VALU_DEP_1) | instskip(NEXT) | instid1(VALU_DEP_1)
	v_mad_co_u64_u32 v[4:5], null, s10, v6, 0
	v_mad_co_u64_u32 v[5:6], null, s11, v6, v[5:6]
	s_delay_alu instid0(VALU_DEP_1) | instskip(SKIP_1) | instid1(VALU_DEP_1)
	v_lshlrev_b64_e32 v[4:5], 2, v[4:5]
	s_wait_alu 0xfffe
	v_add_co_u32 v4, vcc_lo, s4, v4
	s_wait_alu 0xfffd
	s_delay_alu instid0(VALU_DEP_2) | instskip(NEXT) | instid1(VALU_DEP_2)
	v_add_co_ci_u32_e64 v5, null, s5, v5, vcc_lo
	v_add_co_u32 v4, vcc_lo, v4, v2
	s_wait_alu 0xfffd
	s_delay_alu instid0(VALU_DEP_2)
	v_add_co_ci_u32_e64 v5, null, 0, v5, vcc_lo
	global_load_b128 v[4:7], v[4:5], off
	s_wait_loadcnt 0x0
	v_fma_mixlo_f16 v5, s22, v5, 0
	v_fma_mixlo_f16 v4, s22, v4, 0
	;; [unrolled: 1-line block ×4, first 2 shown]
	s_delay_alu instid0(VALU_DEP_4) | instskip(NEXT) | instid1(VALU_DEP_4)
	v_lshlrev_b32_e32 v5, 16, v5
	v_and_b32_e32 v4, 0xffff, v4
	s_delay_alu instid0(VALU_DEP_4) | instskip(NEXT) | instid1(VALU_DEP_4)
	v_and_b32_e32 v6, 0xffff, v6
	v_lshlrev_b32_e32 v7, 16, v7
	s_delay_alu instid0(VALU_DEP_3) | instskip(NEXT) | instid1(VALU_DEP_2)
	v_or_b32_e32 v5, v5, v4
	v_or3_b32 v4, v7, v6, 0
	s_delay_alu instid0(VALU_DEP_2)
	v_or3_b32 v3, 0, 0, v5
	ds_store_b64 v8, v[3:4]
	s_or_b32 exec_lo, exec_lo, s16
	v_or_b32_e32 v115, 5, v1
	s_and_saveexec_b32 s16, s2
	s_cbranch_execz .LBB17_6
.LBB17_15:
	s_delay_alu instid0(VALU_DEP_1)
	v_lshrrev_b32_e32 v3, 2, v115
	s_lshl_b64 s[46:47], s[12:13], 2
	v_mad_u32_u24 v7, 0xc0, v115, v119
	s_wait_alu 0xfffe
	s_add_nc_u64 s[46:47], s[4:5], s[46:47]
	v_add_nc_u32_e32 v3, s33, v3
	s_delay_alu instid0(VALU_DEP_1) | instskip(NEXT) | instid1(VALU_DEP_1)
	v_mul_hi_u32 v4, v3, s36
	v_add_nc_u32_e32 v4, v3, v4
	s_delay_alu instid0(VALU_DEP_1) | instskip(NEXT) | instid1(VALU_DEP_1)
	v_lshrrev_b32_e32 v4, s37, v4
	v_mul_lo_u32 v4, v4, s38
	s_delay_alu instid0(VALU_DEP_1) | instskip(NEXT) | instid1(VALU_DEP_1)
	v_sub_nc_u32_e32 v5, v3, v4
	v_mad_co_u64_u32 v[3:4], null, s10, v5, 0
	s_delay_alu instid0(VALU_DEP_1) | instskip(NEXT) | instid1(VALU_DEP_1)
	v_mad_co_u64_u32 v[4:5], null, s11, v5, v[4:5]
	v_lshlrev_b64_e32 v[3:4], 2, v[3:4]
	s_wait_alu 0xfffe
	s_delay_alu instid0(VALU_DEP_1) | instskip(SKIP_1) | instid1(VALU_DEP_2)
	v_add_co_u32 v3, vcc_lo, s46, v3
	s_wait_alu 0xfffd
	v_add_co_ci_u32_e64 v4, null, s47, v4, vcc_lo
	s_delay_alu instid0(VALU_DEP_2) | instskip(SKIP_1) | instid1(VALU_DEP_2)
	v_add_co_u32 v3, vcc_lo, v3, v2
	s_wait_alu 0xfffd
	v_add_co_ci_u32_e64 v4, null, 0, v4, vcc_lo
	global_load_b128 v[3:6], v[3:4], off
	s_wait_loadcnt 0x0
	v_fma_mixlo_f16 v4, s22, v4, 0
	v_fma_mixlo_f16 v3, s22, v3, 0
	;; [unrolled: 1-line block ×4, first 2 shown]
	s_delay_alu instid0(VALU_DEP_4) | instskip(NEXT) | instid1(VALU_DEP_4)
	v_lshlrev_b32_e32 v4, 16, v4
	v_and_b32_e32 v3, 0xffff, v3
	s_delay_alu instid0(VALU_DEP_4) | instskip(NEXT) | instid1(VALU_DEP_4)
	v_and_b32_e32 v5, 0xffff, v5
	v_lshlrev_b32_e32 v6, 16, v6
	s_delay_alu instid0(VALU_DEP_3) | instskip(NEXT) | instid1(VALU_DEP_2)
	v_or_b32_e32 v3, v4, v3
	v_or3_b32 v4, v6, v5, 0
	s_delay_alu instid0(VALU_DEP_2)
	v_or3_b32 v3, 0, 0, v3
	ds_store_b64 v7, v[3:4]
	s_or_b32 exec_lo, exec_lo, s16
	v_or_b32_e32 v114, 6, v1
	s_and_saveexec_b32 s16, s2
	s_cbranch_execz .LBB17_7
.LBB17_16:
	s_delay_alu instid0(VALU_DEP_1)
	v_lshrrev_b32_e32 v3, 2, v114
	s_lshl_b64 s[12:13], s[12:13], 3
	v_mad_u32_u24 v7, 0xc0, v114, v119
	s_wait_alu 0xfffe
	s_add_nc_u64 s[12:13], s[4:5], s[12:13]
	v_add_nc_u32_e32 v3, s33, v3
	s_delay_alu instid0(VALU_DEP_1) | instskip(NEXT) | instid1(VALU_DEP_1)
	v_mul_hi_u32 v4, v3, s36
	v_add_nc_u32_e32 v4, v3, v4
	s_delay_alu instid0(VALU_DEP_1) | instskip(NEXT) | instid1(VALU_DEP_1)
	v_lshrrev_b32_e32 v4, s37, v4
	v_mul_lo_u32 v4, v4, s38
	s_delay_alu instid0(VALU_DEP_1) | instskip(NEXT) | instid1(VALU_DEP_1)
	v_sub_nc_u32_e32 v5, v3, v4
	v_mad_co_u64_u32 v[3:4], null, s10, v5, 0
	s_delay_alu instid0(VALU_DEP_1) | instskip(NEXT) | instid1(VALU_DEP_1)
	v_mad_co_u64_u32 v[4:5], null, s11, v5, v[4:5]
	v_lshlrev_b64_e32 v[3:4], 2, v[3:4]
	s_delay_alu instid0(VALU_DEP_1) | instskip(SKIP_1) | instid1(VALU_DEP_2)
	v_add_co_u32 v3, vcc_lo, s12, v3
	s_wait_alu 0xfffd
	v_add_co_ci_u32_e64 v4, null, s13, v4, vcc_lo
	s_delay_alu instid0(VALU_DEP_2) | instskip(SKIP_1) | instid1(VALU_DEP_2)
	v_add_co_u32 v3, vcc_lo, v3, v2
	s_wait_alu 0xfffd
	v_add_co_ci_u32_e64 v4, null, 0, v4, vcc_lo
	global_load_b128 v[3:6], v[3:4], off
	s_wait_loadcnt 0x0
	v_fma_mixlo_f16 v4, s22, v4, 0
	v_fma_mixlo_f16 v3, s22, v3, 0
	;; [unrolled: 1-line block ×4, first 2 shown]
	s_delay_alu instid0(VALU_DEP_4) | instskip(NEXT) | instid1(VALU_DEP_4)
	v_lshlrev_b32_e32 v4, 16, v4
	v_and_b32_e32 v3, 0xffff, v3
	s_delay_alu instid0(VALU_DEP_4) | instskip(NEXT) | instid1(VALU_DEP_4)
	v_and_b32_e32 v5, 0xffff, v5
	v_lshlrev_b32_e32 v6, 16, v6
	s_delay_alu instid0(VALU_DEP_3) | instskip(NEXT) | instid1(VALU_DEP_2)
	v_or_b32_e32 v3, v4, v3
	v_or3_b32 v4, v6, v5, 0
	s_delay_alu instid0(VALU_DEP_2)
	v_or3_b32 v3, 0, 0, v3
	ds_store_b64 v7, v[3:4]
	s_or_b32 exec_lo, exec_lo, s16
	v_or_b32_e32 v113, 7, v1
	s_and_saveexec_b32 s12, s2
	s_cbranch_execnz .LBB17_8
	s_branch .LBB17_9
.LBB17_17:
                                        ; implicit-def: $vgpr8
                                        ; implicit-def: $vgpr122
                                        ; implicit-def: $vgpr159
                                        ; implicit-def: $vgpr160
                                        ; implicit-def: $vgpr161
                                        ; implicit-def: $vgpr162
                                        ; implicit-def: $vgpr163
	s_mov_b32 s41, 0
.LBB17_18:
	v_lshrrev_b32_e32 v3, 2, v117
	v_dual_mov_b32 v121, 0 :: v_dual_add_nc_u32 v4, 1, v0
	s_clause 0x1
	s_load_b128 s[4:7], s[0:1], 0x98
	s_load_b64 s[10:11], s[0:1], 0x8c
	s_mul_f32 s8, s8, 0x4f7ffffe
	v_dual_mov_b32 v125, 0 :: v_dual_add_nc_u32 v6, v3, v1
	v_mul_hi_u32 v1, s36, v0
	v_mul_hi_u32 v3, s36, v4
	v_lshrrev_b32_e32 v2, 1, v117
	s_cvt_u32_f32 s12, s8
	v_dual_mov_b32 v122, 32 :: v_dual_and_b32 v7, 4, v104
	s_sub_co_i32 s16, 0, s14
	s_delay_alu instid0(VALU_DEP_2)
	v_lshl_add_u32 v2, v118, 4, v2
	v_dual_mov_b32 v120, 0 :: v_dual_add_nc_u32 v1, v0, v1
	v_add_nc_u32_e32 v3, v4, v3
	s_wait_alu 0xfffe
	s_mul_i32 s16, s16, s12
	v_mul_u32_u24_e32 v5, 0x70, v2
	v_lshrrev_b32_e32 v8, s37, v1
	s_mul_hi_u32 s16, s12, s16
	v_lshrrev_b32_e32 v3, s37, v3
	v_dual_mov_b32 v126, 0 :: v_dual_lshlrev_b32 v9, 2, v7
	v_dual_mov_b32 v130, 0 :: v_dual_and_b32 v11, 12, v104
	s_abs_i32 s8, s34
	s_mov_b32 s13, s9
	s_add_co_i32 s12, s12, s16
	v_mul_lo_u32 v8, v8, s38
	v_mul_lo_u32 v10, v3, s38
	s_wait_alu 0xfffe
	s_mul_u64 s[12:13], s[8:9], s[12:13]
	v_add3_u32 v132, v5, v9, 0x4040
	v_mul_u32_u24_e32 v5, 0x70, v6
	v_dual_mov_b32 v128, 0 :: v_dual_lshlrev_b32 v9, 2, v11
	s_wait_alu 0xfffe
	s_mul_i32 s9, s13, s14
	s_ashr_i32 s22, s34, 31
	s_ashr_i32 s15, s15, 31
	s_wait_kmcnt 0x0
	s_ashr_i32 s48, s6, 2
	s_sub_co_i32 s6, s8, s9
	s_ashr_i32 s12, s3, 1
	s_wait_alu 0xfffe
	s_xor_b32 s3, s22, s15
	s_add_co_i32 s15, s13, 1
	s_ashr_i32 s50, s10, 2
	s_sub_co_i32 s8, s6, s14
	v_sub_nc_u32_e32 v0, v0, v8
	v_sub_nc_u32_e32 v8, v4, v10
	v_add3_u32 v133, v5, v9, 0x4000
	v_lshrrev_b32_e32 v5, 3, v117
	s_cmp_ge_u32 s6, s14
	s_load_b64 s[16:17], s[0:1], 0xa8
	s_cselect_b32 s9, s15, s13
	s_cselect_b32 s6, s8, s6
	s_add_co_i32 s8, s9, 1
	v_mul_lo_u32 v135, v8, s12
	v_mul_u32_u24_e32 v8, 0xc0, v6
	v_lshl_add_u32 v10, v118, 2, v5
	s_cmp_ge_u32 s6, s14
	v_mul_lo_u32 v1, s50, v2
	s_cselect_b32 s6, s8, s9
	v_mul_lo_u32 v3, s50, v6
	s_xor_b32 s6, s6, s3
	v_mul_lo_u32 v5, s48, v6
	v_or_b32_e32 v8, v8, v9
	v_mul_lo_u32 v9, s48, v10
	s_sub_co_i32 s3, s6, s3
	s_mul_u64 s[4:5], s[4:5], s[40:41]
	s_wait_alu 0xfffe
	s_mul_i32 s6, s3, s11
	v_dual_mov_b32 v144, 0 :: v_dual_and_b32 v137, 28, v104
	s_add_nc_u64 s[4:5], s[18:19], s[4:5]
	s_mul_i32 s10, s3, s7
	s_ashr_i32 s7, s6, 31
	v_cmp_gt_u32_e32 vcc_lo, 32, v2
	s_wait_alu 0xfffe
	s_add_nc_u64 s[52:53], s[4:5], s[6:7]
	v_cmp_gt_u32_e64 s3, 32, v6
	v_ashrrev_i32_e32 v2, 31, v1
	v_ashrrev_i32_e32 v4, 31, v3
	v_mul_u32_u24_e32 v12, 0xc0, v10
	v_cmp_gt_u32_e64 s4, 16, v6
	v_cmp_gt_u32_e64 s5, 16, v10
	v_ashrrev_i32_e32 v6, 31, v5
	v_ashrrev_i32_e32 v10, 31, v9
	v_mul_lo_u32 v134, v0, s12
	v_dual_mov_b32 v123, 0 :: v_dual_lshlrev_b32 v0, 4, v117
	v_lshl_add_u32 v136, v118, 9, 0x3000
	v_dual_mov_b32 v146, 0 :: v_dual_lshlrev_b32 v13, 2, v137
	s_wait_kmcnt 0x0
	s_mul_u64 s[8:9], s[16:17], s[40:41]
	v_lshlrev_b64_e32 v[105:106], 2, v[1:2]
	v_lshlrev_b64_e32 v[107:108], 2, v[3:4]
	;; [unrolled: 1-line block ×4, first 2 shown]
	v_mul_u32_u24_e32 v129, 0x70, v117
	v_mul_u32_u24_e32 v131, 0x600, v118
	v_dual_mov_b32 v127, 0 :: v_dual_add_nc_u32 v138, 0x4080, v8
	v_add3_u32 v139, v12, v13, 0x4000
	v_mov_b32_e32 v8, 0xfeffffff
	v_dual_mov_b32 v143, 0 :: v_dual_add_nc_u32 v140, v136, v0
	v_dual_mov_b32 v148, 0 :: v_dual_lshlrev_b32 v141, 2, v7
	v_dual_mov_b32 v145, 0 :: v_dual_lshlrev_b32 v142, 2, v11
	v_dual_mov_b32 v147, 0 :: v_dual_mov_b32 v150, 0
	v_dual_mov_b32 v149, 0 :: v_dual_mov_b32 v10, 0xfeffffff
	;; [unrolled: 1-line block ×8, first 2 shown]
	v_mov_b32_e32 v153, 0
	v_mov_b32_e32 v151, 0
	s_add_nc_u64 s[8:9], s[20:21], s[8:9]
	s_ashr_i32 s11, s10, 31
	s_ashr_i32 s51, s50, 31
	s_wait_alu 0xfffe
	s_add_nc_u64 s[54:55], s[8:9], s[10:11]
	s_ashr_i32 s49, s48, 31
	s_add_nc_u64 s[36:37], s[0:1], 0xd0
.LBB17_19:                              ; =>This Inner Loop Header: Depth=1
	s_ashr_i32 s47, s46, 31
	s_wait_alu 0xfffe
	s_mul_u64 s[6:7], s[46:47], s[50:51]
	s_wait_alu 0xfffe
	s_lshl_b64 s[6:7], s[6:7], 2
	s_wait_alu 0xfffe
	s_add_nc_u64 s[8:9], s[52:53], s[6:7]
	s_and_saveexec_b32 s7, vcc_lo
	s_cbranch_execz .LBB17_21
; %bb.20:                               ;   in Loop: Header=BB17_19 Depth=1
	s_wait_alu 0xfffe
	v_add_co_u32 v0, s6, s8, v105
	s_wait_alu 0xf1ff
	v_add_co_ci_u32_e64 v1, null, s9, v106, s6
	s_delay_alu instid0(VALU_DEP_2) | instskip(SKIP_1) | instid1(VALU_DEP_2)
	v_add_co_u32 v0, s6, v0, v141
	s_wait_alu 0xf1ff
	v_add_co_ci_u32_e64 v1, null, 0, v1, s6
	global_load_b128 v[0:3], v[0:1], off offset:64
	s_wait_loadcnt 0x0
	ds_store_b128 v132, v[0:3]
.LBB17_21:                              ;   in Loop: Header=BB17_19 Depth=1
	s_wait_alu 0xfffe
	s_or_b32 exec_lo, exec_lo, s7
	s_and_saveexec_b32 s7, s3
	s_cbranch_execz .LBB17_23
; %bb.22:                               ;   in Loop: Header=BB17_19 Depth=1
	v_add_co_u32 v0, s6, s8, v107
	s_wait_alu 0xf1ff
	v_add_co_ci_u32_e64 v1, null, s9, v108, s6
	s_delay_alu instid0(VALU_DEP_2) | instskip(SKIP_1) | instid1(VALU_DEP_2)
	v_add_co_u32 v0, s6, v0, v142
	s_wait_alu 0xf1ff
	v_add_co_ci_u32_e64 v1, null, 0, v1, s6
	global_load_b128 v[0:3], v[0:1], off
	s_wait_loadcnt 0x0
	ds_store_b128 v133, v[0:3]
.LBB17_23:                              ;   in Loop: Header=BB17_19 Depth=1
	s_wait_alu 0xfffe
	s_or_b32 exec_lo, exec_lo, s7
	s_wait_loadcnt_dscnt 0x0
	s_barrier_signal -1
	s_barrier_wait -1
	global_inv scope:SCOPE_SE
	ds_load_b128 v[16:19], v129 offset:16384
	ds_load_b128 v[4:7], v131
	ds_load_b128 v[20:23], v131 offset:192
	ds_load_b128 v[24:27], v131 offset:384
	;; [unrolled: 1-line block ×6, first 2 shown]
	v_dual_mov_b32 v0, 0 :: v_dual_mov_b32 v1, 0
	ds_load_b128 v[44:47], v131 offset:1344
	v_dual_mov_b32 v2, 0 :: v_dual_mov_b32 v3, 0
	s_wait_dscnt 0x7
	;;#ASMSTART
	v_dot2_f32_f16 v0, v16, v4, v0
	;;#ASMEND
	;;#ASMSTART
	v_dot2_f32_f16 v0, v17, v5, v0
	;;#ASMEND
	;;#ASMSTART
	v_dot2_f32_f16 v0, v18, v6, v0
	;;#ASMEND
	;;#ASMSTART
	v_dot2_f32_f16 v0, v19, v7, v0
	;;#ASMEND
	s_wait_dscnt 0x6
	;;#ASMSTART
	v_dot2_f32_f16 v1, v16, v20, v1
	;;#ASMEND
	;;#ASMSTART
	v_dot2_f32_f16 v1, v17, v21, v1
	;;#ASMEND
	;;#ASMSTART
	v_dot2_f32_f16 v1, v18, v22, v1
	;;#ASMEND
	;;#ASMSTART
	v_dot2_f32_f16 v1, v19, v23, v1
	;;#ASMEND
	;; [unrolled: 13-line block ×3, first 2 shown]
	s_wait_dscnt 0x4
	;;#ASMSTART
	v_dot2_f32_f16 v3, v16, v28, v3
	;;#ASMEND
	;;#ASMSTART
	v_dot2_f32_f16 v3, v17, v29, v3
	;;#ASMEND
	v_dual_mov_b32 v4, 0 :: v_dual_mov_b32 v5, 0
	;;#ASMSTART
	v_dot2_f32_f16 v3, v18, v30, v3
	;;#ASMEND
	;;#ASMSTART
	v_dot2_f32_f16 v3, v19, v31, v3
	;;#ASMEND
	s_wait_dscnt 0x3
	;;#ASMSTART
	v_dot2_f32_f16 v4, v16, v32, v4
	;;#ASMEND
	;;#ASMSTART
	v_dot2_f32_f16 v4, v17, v33, v4
	;;#ASMEND
	;; [unrolled: 3-line block ×4, first 2 shown]
	s_wait_dscnt 0x2
	;;#ASMSTART
	v_dot2_f32_f16 v5, v16, v36, v5
	;;#ASMEND
	;;#ASMSTART
	v_dot2_f32_f16 v5, v17, v37, v5
	;;#ASMEND
	v_dual_mov_b32 v6, 0 :: v_dual_mov_b32 v7, 0
	;;#ASMSTART
	v_dot2_f32_f16 v5, v18, v38, v5
	;;#ASMEND
	;;#ASMSTART
	v_dot2_f32_f16 v5, v19, v39, v5
	;;#ASMEND
	s_wait_dscnt 0x1
	;;#ASMSTART
	v_dot2_f32_f16 v6, v16, v40, v6
	;;#ASMEND
	;;#ASMSTART
	v_dot2_f32_f16 v6, v17, v41, v6
	;;#ASMEND
	;; [unrolled: 3-line block ×4, first 2 shown]
	s_wait_dscnt 0x0
	;;#ASMSTART
	v_dot2_f32_f16 v7, v16, v44, v7
	;;#ASMEND
	;;#ASMSTART
	v_dot2_f32_f16 v7, v17, v45, v7
	;;#ASMEND
	;; [unrolled: 3-line block ×4, first 2 shown]
	ds_load_b128 v[16:19], v129 offset:16400
	ds_load_b128 v[20:23], v131 offset:16
	;; [unrolled: 1-line block ×9, first 2 shown]
	s_wait_dscnt 0x7
	;;#ASMSTART
	v_dot2_f32_f16 v0, v16, v20, v0
	;;#ASMEND
	;;#ASMSTART
	v_dot2_f32_f16 v0, v17, v21, v0
	;;#ASMEND
	;;#ASMSTART
	v_dot2_f32_f16 v0, v18, v22, v0
	;;#ASMEND
	;;#ASMSTART
	v_dot2_f32_f16 v0, v19, v23, v0
	;;#ASMEND
	s_wait_dscnt 0x6
	;;#ASMSTART
	v_dot2_f32_f16 v1, v16, v24, v1
	;;#ASMEND
	;;#ASMSTART
	v_dot2_f32_f16 v1, v17, v25, v1
	;;#ASMEND
	;;#ASMSTART
	v_dot2_f32_f16 v1, v18, v26, v1
	;;#ASMEND
	;;#ASMSTART
	v_dot2_f32_f16 v1, v19, v27, v1
	;;#ASMEND
	;; [unrolled: 13-line block ×8, first 2 shown]
	ds_load_b128 v[16:19], v129 offset:16416
	ds_load_b128 v[20:23], v131 offset:32
	;; [unrolled: 1-line block ×9, first 2 shown]
	s_wait_dscnt 0x7
	;;#ASMSTART
	v_dot2_f32_f16 v0, v16, v20, v0
	;;#ASMEND
	;;#ASMSTART
	v_dot2_f32_f16 v0, v17, v21, v0
	;;#ASMEND
	;;#ASMSTART
	v_dot2_f32_f16 v0, v18, v22, v0
	;;#ASMEND
	;;#ASMSTART
	v_dot2_f32_f16 v0, v19, v23, v0
	;;#ASMEND
	s_wait_dscnt 0x6
	;;#ASMSTART
	v_dot2_f32_f16 v1, v16, v24, v1
	;;#ASMEND
	;;#ASMSTART
	v_dot2_f32_f16 v1, v17, v25, v1
	;;#ASMEND
	;;#ASMSTART
	v_dot2_f32_f16 v1, v18, v26, v1
	;;#ASMEND
	;;#ASMSTART
	v_dot2_f32_f16 v1, v19, v27, v1
	;;#ASMEND
	;; [unrolled: 13-line block ×8, first 2 shown]
	ds_load_b128 v[16:19], v129 offset:16432
	ds_load_b128 v[20:23], v131 offset:48
	;; [unrolled: 1-line block ×9, first 2 shown]
	s_wait_dscnt 0x7
	;;#ASMSTART
	v_dot2_f32_f16 v0, v16, v20, v0
	;;#ASMEND
	;;#ASMSTART
	v_dot2_f32_f16 v0, v17, v21, v0
	;;#ASMEND
	;;#ASMSTART
	v_dot2_f32_f16 v0, v18, v22, v0
	;;#ASMEND
	;;#ASMSTART
	v_dot2_f32_f16 v0, v19, v23, v0
	;;#ASMEND
	s_wait_dscnt 0x6
	;;#ASMSTART
	v_dot2_f32_f16 v1, v16, v24, v1
	;;#ASMEND
	;;#ASMSTART
	v_dot2_f32_f16 v1, v17, v25, v1
	;;#ASMEND
	;;#ASMSTART
	v_dot2_f32_f16 v1, v18, v26, v1
	;;#ASMEND
	;;#ASMSTART
	v_dot2_f32_f16 v1, v19, v27, v1
	;;#ASMEND
	;; [unrolled: 13-line block ×8, first 2 shown]
	ds_load_b128 v[16:19], v129 offset:16448
	ds_load_b128 v[20:23], v131 offset:64
	;; [unrolled: 1-line block ×9, first 2 shown]
	s_wait_dscnt 0x7
	;;#ASMSTART
	v_dot2_f32_f16 v0, v16, v20, v0
	;;#ASMEND
	;;#ASMSTART
	v_dot2_f32_f16 v0, v17, v21, v0
	;;#ASMEND
	;;#ASMSTART
	v_dot2_f32_f16 v0, v18, v22, v0
	;;#ASMEND
	;;#ASMSTART
	v_dot2_f32_f16 v0, v19, v23, v0
	;;#ASMEND
	s_wait_dscnt 0x6
	;;#ASMSTART
	v_dot2_f32_f16 v1, v16, v24, v1
	;;#ASMEND
	;;#ASMSTART
	v_dot2_f32_f16 v1, v17, v25, v1
	;;#ASMEND
	;;#ASMSTART
	v_dot2_f32_f16 v1, v18, v26, v1
	;;#ASMEND
	;;#ASMSTART
	v_dot2_f32_f16 v1, v19, v27, v1
	;;#ASMEND
	;; [unrolled: 13-line block ×8, first 2 shown]
	ds_load_b128 v[16:19], v129 offset:16464
	ds_load_b128 v[20:23], v131 offset:80
	;; [unrolled: 1-line block ×9, first 2 shown]
	s_wait_dscnt 0x7
	;;#ASMSTART
	v_dot2_f32_f16 v0, v16, v20, v0
	;;#ASMEND
	;;#ASMSTART
	v_dot2_f32_f16 v0, v17, v21, v0
	;;#ASMEND
	;;#ASMSTART
	v_dot2_f32_f16 v0, v18, v22, v0
	;;#ASMEND
	;;#ASMSTART
	v_dot2_f32_f16 v0, v19, v23, v0
	;;#ASMEND
	s_wait_dscnt 0x6
	;;#ASMSTART
	v_dot2_f32_f16 v1, v16, v24, v1
	;;#ASMEND
	;;#ASMSTART
	v_dot2_f32_f16 v1, v17, v25, v1
	;;#ASMEND
	;;#ASMSTART
	v_dot2_f32_f16 v1, v18, v26, v1
	;;#ASMEND
	;;#ASMSTART
	v_dot2_f32_f16 v1, v19, v27, v1
	;;#ASMEND
	;; [unrolled: 13-line block ×8, first 2 shown]
	s_wait_loadcnt 0x0
	s_barrier_signal -1
	s_barrier_wait -1
	global_inv scope:SCOPE_SE
	s_and_saveexec_b32 s7, vcc_lo
	s_cbranch_execz .LBB17_25
; %bb.24:                               ;   in Loop: Header=BB17_19 Depth=1
	v_add_co_u32 v16, s6, s8, v105
	s_wait_alu 0xf1ff
	v_add_co_ci_u32_e64 v17, null, s9, v106, s6
	s_delay_alu instid0(VALU_DEP_2) | instskip(SKIP_1) | instid1(VALU_DEP_2)
	v_add_co_u32 v16, s6, v16, v141
	s_wait_alu 0xf1ff
	v_add_co_ci_u32_e64 v17, null, 0, v17, s6
	global_load_b128 v[16:19], v[16:17], off offset:160
	s_wait_loadcnt 0x0
	ds_store_b128 v132, v[16:19]
.LBB17_25:                              ;   in Loop: Header=BB17_19 Depth=1
	s_wait_alu 0xfffe
	s_or_b32 exec_lo, exec_lo, s7
	s_and_saveexec_b32 s7, s3
	s_cbranch_execz .LBB17_27
; %bb.26:                               ;   in Loop: Header=BB17_19 Depth=1
	v_add_co_u32 v16, s6, s8, v107
	s_wait_alu 0xf1ff
	v_add_co_ci_u32_e64 v17, null, s9, v108, s6
	s_delay_alu instid0(VALU_DEP_2) | instskip(SKIP_1) | instid1(VALU_DEP_2)
	v_add_co_u32 v16, s6, v16, v142
	s_wait_alu 0xf1ff
	v_add_co_ci_u32_e64 v17, null, 0, v17, s6
	global_load_b128 v[16:19], v[16:17], off offset:96
	s_wait_loadcnt 0x0
	ds_store_b128 v133, v[16:19]
.LBB17_27:                              ;   in Loop: Header=BB17_19 Depth=1
	s_wait_alu 0xfffe
	s_or_b32 exec_lo, exec_lo, s7
	s_wait_loadcnt_dscnt 0x0
	s_barrier_signal -1
	s_barrier_wait -1
	global_inv scope:SCOPE_SE
	ds_load_b128 v[16:19], v129 offset:16384
	ds_load_b128 v[20:23], v131 offset:96
	;; [unrolled: 1-line block ×9, first 2 shown]
	v_xor_b32_e32 v159, 16, v124
	v_xor_b32_e32 v160, 8, v124
	;; [unrolled: 1-line block ×5, first 2 shown]
	s_mul_u64 s[22:23], s[46:47], s[48:49]
	s_wait_dscnt 0x7
	;;#ASMSTART
	v_dot2_f32_f16 v0, v16, v20, v0
	;;#ASMEND
	;;#ASMSTART
	v_dot2_f32_f16 v0, v17, v21, v0
	;;#ASMEND
	;;#ASMSTART
	v_dot2_f32_f16 v0, v18, v22, v0
	;;#ASMEND
	;;#ASMSTART
	v_dot2_f32_f16 v0, v19, v23, v0
	;;#ASMEND
	s_wait_dscnt 0x6
	;;#ASMSTART
	v_dot2_f32_f16 v1, v16, v24, v1
	;;#ASMEND
	;;#ASMSTART
	v_dot2_f32_f16 v1, v17, v25, v1
	;;#ASMEND
	;;#ASMSTART
	v_dot2_f32_f16 v1, v18, v26, v1
	;;#ASMEND
	;;#ASMSTART
	v_dot2_f32_f16 v1, v19, v27, v1
	;;#ASMEND
	;; [unrolled: 13-line block ×8, first 2 shown]
	ds_load_b128 v[16:19], v129 offset:16400
	ds_load_b128 v[20:23], v131 offset:112
	;; [unrolled: 1-line block ×9, first 2 shown]
	s_wait_dscnt 0x7
	;;#ASMSTART
	v_dot2_f32_f16 v0, v16, v20, v0
	;;#ASMEND
	;;#ASMSTART
	v_dot2_f32_f16 v0, v17, v21, v0
	;;#ASMEND
	;;#ASMSTART
	v_dot2_f32_f16 v0, v18, v22, v0
	;;#ASMEND
	;;#ASMSTART
	v_dot2_f32_f16 v0, v19, v23, v0
	;;#ASMEND
	s_wait_dscnt 0x6
	;;#ASMSTART
	v_dot2_f32_f16 v1, v16, v24, v1
	;;#ASMEND
	;;#ASMSTART
	v_dot2_f32_f16 v1, v17, v25, v1
	;;#ASMEND
	;;#ASMSTART
	v_dot2_f32_f16 v1, v18, v26, v1
	;;#ASMEND
	;;#ASMSTART
	v_dot2_f32_f16 v1, v19, v27, v1
	;;#ASMEND
	;; [unrolled: 13-line block ×8, first 2 shown]
	ds_load_b128 v[16:19], v129 offset:16416
	ds_load_b128 v[20:23], v131 offset:128
	;; [unrolled: 1-line block ×9, first 2 shown]
	s_wait_dscnt 0x7
	;;#ASMSTART
	v_dot2_f32_f16 v0, v16, v20, v0
	;;#ASMEND
	;;#ASMSTART
	v_dot2_f32_f16 v0, v17, v21, v0
	;;#ASMEND
	;;#ASMSTART
	v_dot2_f32_f16 v0, v18, v22, v0
	;;#ASMEND
	;;#ASMSTART
	v_dot2_f32_f16 v0, v19, v23, v0
	;;#ASMEND
	s_wait_dscnt 0x6
	;;#ASMSTART
	v_dot2_f32_f16 v1, v16, v24, v1
	;;#ASMEND
	;;#ASMSTART
	v_dot2_f32_f16 v1, v17, v25, v1
	;;#ASMEND
	;;#ASMSTART
	v_dot2_f32_f16 v1, v18, v26, v1
	;;#ASMEND
	;;#ASMSTART
	v_dot2_f32_f16 v1, v19, v27, v1
	;;#ASMEND
	;; [unrolled: 13-line block ×8, first 2 shown]
	ds_load_b128 v[16:19], v129 offset:16432
	ds_load_b128 v[20:23], v131 offset:144
	;; [unrolled: 1-line block ×9, first 2 shown]
	s_wait_dscnt 0x7
	;;#ASMSTART
	v_dot2_f32_f16 v0, v16, v20, v0
	;;#ASMEND
	;;#ASMSTART
	v_dot2_f32_f16 v0, v17, v21, v0
	;;#ASMEND
	;;#ASMSTART
	v_dot2_f32_f16 v0, v18, v22, v0
	;;#ASMEND
	;;#ASMSTART
	v_dot2_f32_f16 v0, v19, v23, v0
	;;#ASMEND
	s_wait_dscnt 0x6
	;;#ASMSTART
	v_dot2_f32_f16 v1, v16, v24, v1
	;;#ASMEND
	;;#ASMSTART
	v_dot2_f32_f16 v1, v17, v25, v1
	;;#ASMEND
	;;#ASMSTART
	v_dot2_f32_f16 v1, v18, v26, v1
	;;#ASMEND
	;;#ASMSTART
	v_dot2_f32_f16 v1, v19, v27, v1
	;;#ASMEND
	;; [unrolled: 13-line block ×8, first 2 shown]
	ds_load_b128 v[16:19], v129 offset:16448
	ds_load_b128 v[20:23], v131 offset:160
	;; [unrolled: 1-line block ×4, first 2 shown]
	v_add_nc_u32_e32 v32, s46, v117
	s_wait_alu 0xfffe
	s_lshl_b64 s[22:23], s[22:23], 2
	s_wait_alu 0xfffe
	s_add_nc_u64 s[56:57], s[54:55], s[22:23]
	v_add_nc_u32_e32 v52, v32, v134
	v_add_nc_u32_e32 v54, v32, v135
	ds_load_b128 v[32:35], v131 offset:736
	ds_load_b128 v[36:39], v131 offset:928
	;; [unrolled: 1-line block ×5, first 2 shown]
	s_wait_dscnt 0x7
	;;#ASMSTART
	v_dot2_f32_f16 v0, v16, v20, v0
	;;#ASMEND
	;;#ASMSTART
	v_dot2_f32_f16 v0, v17, v21, v0
	;;#ASMEND
	;;#ASMSTART
	v_dot2_f32_f16 v0, v18, v22, v0
	;;#ASMEND
	;;#ASMSTART
	v_dot2_f32_f16 v0, v19, v23, v0
	;;#ASMEND
	s_wait_dscnt 0x6
	;;#ASMSTART
	v_dot2_f32_f16 v1, v16, v24, v1
	;;#ASMEND
	;;#ASMSTART
	v_dot2_f32_f16 v1, v17, v25, v1
	;;#ASMEND
	;;#ASMSTART
	v_dot2_f32_f16 v1, v18, v26, v1
	;;#ASMEND
	;;#ASMSTART
	v_dot2_f32_f16 v1, v19, v27, v1
	;;#ASMEND
	s_wait_dscnt 0x5
	;;#ASMSTART
	v_dot2_f32_f16 v2, v16, v28, v2
	;;#ASMEND
	;;#ASMSTART
	v_dot2_f32_f16 v2, v17, v29, v2
	;;#ASMEND
	;;#ASMSTART
	v_dot2_f32_f16 v2, v18, v30, v2
	;;#ASMEND
	;;#ASMSTART
	v_dot2_f32_f16 v2, v19, v31, v2
	;;#ASMEND
	s_wait_dscnt 0x4
	;;#ASMSTART
	v_dot2_f32_f16 v3, v16, v32, v3
	;;#ASMEND
	;;#ASMSTART
	v_dot2_f32_f16 v3, v17, v33, v3
	;;#ASMEND
	;;#ASMSTART
	v_dot2_f32_f16 v3, v18, v34, v3
	;;#ASMEND
	;;#ASMSTART
	v_dot2_f32_f16 v3, v19, v35, v3
	;;#ASMEND
	s_wait_dscnt 0x3
	;;#ASMSTART
	v_dot2_f32_f16 v4, v16, v36, v4
	;;#ASMEND
	;;#ASMSTART
	v_dot2_f32_f16 v4, v17, v37, v4
	;;#ASMEND
	;;#ASMSTART
	v_dot2_f32_f16 v4, v18, v38, v4
	;;#ASMEND
	;;#ASMSTART
	v_dot2_f32_f16 v4, v19, v39, v4
	;;#ASMEND
	s_wait_dscnt 0x2
	;;#ASMSTART
	v_dot2_f32_f16 v5, v16, v40, v5
	;;#ASMEND
	;;#ASMSTART
	v_dot2_f32_f16 v5, v17, v41, v5
	;;#ASMEND
	;;#ASMSTART
	v_dot2_f32_f16 v5, v18, v42, v5
	;;#ASMEND
	;;#ASMSTART
	v_dot2_f32_f16 v5, v19, v43, v5
	;;#ASMEND
	s_wait_dscnt 0x1
	;;#ASMSTART
	v_dot2_f32_f16 v6, v16, v44, v6
	;;#ASMEND
	;;#ASMSTART
	v_dot2_f32_f16 v6, v17, v45, v6
	;;#ASMEND
	;;#ASMSTART
	v_dot2_f32_f16 v6, v18, v46, v6
	;;#ASMEND
	;;#ASMSTART
	v_dot2_f32_f16 v6, v19, v47, v6
	;;#ASMEND
	s_wait_dscnt 0x0
	;;#ASMSTART
	v_dot2_f32_f16 v7, v16, v48, v7
	;;#ASMEND
	;;#ASMSTART
	v_dot2_f32_f16 v7, v17, v49, v7
	;;#ASMEND
	;; [unrolled: 3-line block ×3, first 2 shown]
	v_ashrrev_i32_e32 v53, 31, v52
	;;#ASMSTART
	v_dot2_f32_f16 v7, v19, v51, v7
	;;#ASMEND
	ds_load_b128 v[16:19], v129 offset:16464
	ds_load_b128 v[20:23], v131 offset:176
	v_ashrrev_i32_e32 v55, 31, v54
	ds_load_b128 v[24:27], v131 offset:368
	ds_load_b128 v[28:31], v131 offset:560
	v_lshlrev_b64_e32 v[32:33], 1, v[52:53]
	v_lshlrev_b64_e32 v[36:37], 1, v[54:55]
	s_delay_alu instid0(VALU_DEP_2) | instskip(SKIP_1) | instid1(VALU_DEP_3)
	v_add_co_u32 v52, s6, s44, v32
	s_wait_alu 0xf1ff
	v_add_co_ci_u32_e64 v53, null, s45, v33, s6
	s_delay_alu instid0(VALU_DEP_3)
	v_add_co_u32 v54, s6, s44, v36
	ds_load_b128 v[32:35], v131 offset:752
	s_wait_alu 0xf1ff
	v_add_co_ci_u32_e64 v55, null, s45, v37, s6
	ds_load_b128 v[36:39], v131 offset:944
	ds_load_b128 v[40:43], v131 offset:1136
	;; [unrolled: 1-line block ×4, first 2 shown]
	s_wait_dscnt 0x7
	;;#ASMSTART
	v_dot2_f32_f16 v0, v16, v20, v0
	;;#ASMEND
	;;#ASMSTART
	v_dot2_f32_f16 v0, v17, v21, v0
	;;#ASMEND
	;;#ASMSTART
	v_dot2_f32_f16 v0, v18, v22, v0
	;;#ASMEND
	;;#ASMSTART
	v_dot2_f32_f16 v0, v19, v23, v0
	;;#ASMEND
	s_wait_dscnt 0x6
	;;#ASMSTART
	v_dot2_f32_f16 v1, v16, v24, v1
	;;#ASMEND
	;;#ASMSTART
	v_dot2_f32_f16 v1, v17, v25, v1
	;;#ASMEND
	;;#ASMSTART
	v_dot2_f32_f16 v1, v18, v26, v1
	;;#ASMEND
	;;#ASMSTART
	v_dot2_f32_f16 v1, v19, v27, v1
	;;#ASMEND
	;; [unrolled: 13-line block ×8, first 2 shown]
	s_clause 0x1
	global_load_u16 v16, v[52:53], off
	global_load_u16 v17, v[54:55], off
	v_cmp_gt_i32_e64 s6, 32, v159
	v_max_num_f32_e32 v19, v9, v9
	v_max_num_f32_e32 v21, v11, v11
	v_max_num_f32_e32 v25, v14, v14
	s_wait_loadcnt 0x0
	s_wait_alu 0xf1ff
	v_cndmask_b32_e64 v23, v124, v159, s6
	v_max_num_f32_e32 v18, v8, v8
	v_cmp_gt_i32_e64 s6, 32, v160
	s_barrier_signal -1
	s_barrier_wait -1
	v_lshlrev_b32_e32 v23, 2, v23
	global_inv scope:SCOPE_SE
	v_cvt_f32_f16_e32 v16, v16
	v_cvt_f32_f16_e32 v17, v17
	v_max_num_f32_e32 v20, v10, v10
	v_max_num_f32_e32 v22, v12, v12
	s_delay_alu instid0(VALU_DEP_4) | instskip(SKIP_3) | instid1(VALU_DEP_1)
	v_dual_max_num_f32 v24, v13, v13 :: v_dual_add_f32 v29, v2, v16
	v_add_f32_e32 v27, v0, v16
	v_add_f32_e32 v28, v1, v16
	v_dual_add_f32 v31, v5, v17 :: v_dual_add_f32 v16, v3, v16
	v_dual_add_f32 v5, 0x40051340, v31 :: v_dual_add_f32 v30, v4, v17
	s_delay_alu instid0(VALU_DEP_2) | instskip(SKIP_2) | instid1(VALU_DEP_3)
	v_dual_add_f32 v3, 0x40051340, v16 :: v_dual_add_f32 v32, v6, v17
	v_add_f32_e32 v17, v7, v17
	v_dual_max_num_f32 v26, v15, v15 :: v_dual_add_f32 v1, 0x40051340, v28
	v_dual_add_f32 v4, 0x40051340, v30 :: v_dual_max_num_f32 v3, v21, v3
	s_delay_alu instid0(VALU_DEP_4) | instskip(NEXT) | instid1(VALU_DEP_3)
	v_dual_add_f32 v6, 0x40051340, v32 :: v_dual_max_num_f32 v5, v24, v5
	v_dual_max_num_f32 v1, v19, v1 :: v_dual_add_f32 v0, 0x40051340, v27
	s_delay_alu instid0(VALU_DEP_2)
	v_dual_add_f32 v7, 0x40051340, v17 :: v_dual_max_num_f32 v6, v25, v6
	ds_bpermute_b32 v21, v23, v3
	ds_bpermute_b32 v19, v23, v1
	v_max_num_f32_e32 v0, v18, v0
	v_dual_add_f32 v2, 0x40051340, v29 :: v_dual_max_num_f32 v7, v26, v7
	ds_bpermute_b32 v25, v23, v6
	s_wait_alu 0xf1ff
	v_cndmask_b32_e64 v26, v124, v160, s6
	v_max_num_f32_e32 v4, v22, v4
	v_max_num_f32_e32 v2, v20, v2
	ds_bpermute_b32 v24, v23, v5
	v_cmp_gt_i32_e64 s6, 32, v161
	s_wait_dscnt 0x3
	v_max_num_f32_e32 v21, v21, v21
	s_wait_dscnt 0x2
	v_max_num_f32_e32 v19, v19, v19
	ds_bpermute_b32 v18, v23, v0
	v_lshlrev_b32_e32 v26, 2, v26
	ds_bpermute_b32 v20, v23, v2
	s_wait_dscnt 0x3
	v_max_num_f32_e32 v25, v25, v25
	v_max_num_f32_e32 v1, v1, v19
	ds_bpermute_b32 v22, v23, v4
	ds_bpermute_b32 v23, v23, v7
	v_max_num_f32_e32 v3, v3, v21
	ds_bpermute_b32 v19, v26, v1
	s_wait_dscnt 0x5
	v_max_num_f32_e32 v24, v24, v24
	ds_bpermute_b32 v21, v26, v3
	s_wait_dscnt 0x5
	v_max_num_f32_e32 v18, v18, v18
	s_wait_dscnt 0x2
	s_delay_alu instid0(VALU_DEP_1) | instskip(SKIP_3) | instid1(VALU_DEP_3)
	v_dual_max_num_f32 v0, v0, v18 :: v_dual_max_num_f32 v23, v23, v23
	s_wait_dscnt 0x1
	v_dual_max_num_f32 v20, v20, v20 :: v_dual_max_num_f32 v19, v19, v19
	v_dual_max_num_f32 v22, v22, v22 :: v_dual_max_num_f32 v5, v5, v24
	v_dual_max_num_f32 v7, v7, v23 :: v_dual_max_num_f32 v6, v6, v25
	s_delay_alu instid0(VALU_DEP_3)
	v_max_num_f32_e32 v1, v1, v19
	s_wait_dscnt 0x0
	v_max_num_f32_e32 v21, v21, v21
	ds_bpermute_b32 v23, v26, v5
	ds_bpermute_b32 v25, v26, v7
	;; [unrolled: 1-line block ×3, first 2 shown]
	v_max_num_f32_e32 v2, v2, v20
	v_max_num_f32_e32 v4, v4, v22
	ds_bpermute_b32 v24, v26, v6
	v_max_num_f32_e32 v3, v3, v21
	s_wait_dscnt 0x3
	v_max_num_f32_e32 v23, v23, v23
	ds_bpermute_b32 v20, v26, v2
	s_wait_dscnt 0x3
	v_max_num_f32_e32 v25, v25, v25
	ds_bpermute_b32 v22, v26, v4
	s_wait_alu 0xf1ff
	v_cndmask_b32_e64 v26, v124, v161, s6
	s_wait_dscnt 0x3
	v_dual_max_num_f32 v18, v18, v18 :: v_dual_max_num_f32 v5, v5, v23
	v_max_num_f32_e32 v7, v7, v25
	v_cmp_gt_i32_e64 s6, 32, v162
	v_lshlrev_b32_e32 v26, 2, v26
	ds_bpermute_b32 v23, v26, v5
	ds_bpermute_b32 v19, v26, v1
	ds_bpermute_b32 v21, v26, v3
	ds_bpermute_b32 v25, v26, v7
	v_max_num_f32_e32 v0, v0, v18
	s_wait_dscnt 0x6
	v_max_num_f32_e32 v24, v24, v24
	s_wait_dscnt 0x5
	;; [unrolled: 2-line block ×4, first 2 shown]
	s_delay_alu instid0(VALU_DEP_2)
	v_dual_max_num_f32 v2, v2, v20 :: v_dual_max_num_f32 v23, v23, v23
	ds_bpermute_b32 v18, v26, v0
	s_wait_dscnt 0x3
	v_dual_max_num_f32 v19, v19, v19 :: v_dual_max_num_f32 v4, v4, v22
	s_wait_dscnt 0x2
	v_dual_max_num_f32 v21, v21, v21 :: v_dual_max_num_f32 v6, v6, v24
	s_wait_dscnt 0x1
	v_max_num_f32_e32 v25, v25, v25
	ds_bpermute_b32 v20, v26, v2
	v_max_num_f32_e32 v1, v1, v19
	ds_bpermute_b32 v22, v26, v4
	;; [unrolled: 2-line block ×3, first 2 shown]
	s_wait_alu 0xf1ff
	v_cndmask_b32_e64 v26, v124, v162, s6
	v_max_num_f32_e32 v5, v5, v23
	v_max_num_f32_e32 v7, v7, v25
	v_cmp_gt_i32_e64 s6, 32, v163
	s_delay_alu instid0(VALU_DEP_4)
	v_lshlrev_b32_e32 v26, 2, v26
	s_wait_dscnt 0x3
	v_max_num_f32_e32 v18, v18, v18
	ds_bpermute_b32 v19, v26, v1
	ds_bpermute_b32 v21, v26, v3
	;; [unrolled: 1-line block ×4, first 2 shown]
	v_max_num_f32_e32 v0, v0, v18
	s_wait_dscnt 0x6
	v_max_num_f32_e32 v20, v20, v20
	s_wait_dscnt 0x5
	v_max_num_f32_e32 v22, v22, v22
	s_wait_dscnt 0x3
	v_dual_max_num_f32 v24, v24, v24 :: v_dual_max_num_f32 v19, v19, v19
	s_wait_dscnt 0x2
	v_dual_max_num_f32 v2, v2, v20 :: v_dual_max_num_f32 v21, v21, v21
	s_wait_dscnt 0x1
	v_dual_max_num_f32 v4, v4, v22 :: v_dual_max_num_f32 v23, v23, v23
	s_wait_dscnt 0x0
	v_dual_max_num_f32 v6, v6, v24 :: v_dual_max_num_f32 v25, v25, v25
	ds_bpermute_b32 v18, v26, v0
	v_max_num_f32_e32 v1, v1, v19
	ds_bpermute_b32 v20, v26, v2
	v_max_num_f32_e32 v3, v3, v21
	;; [unrolled: 2-line block ×3, first 2 shown]
	ds_bpermute_b32 v24, v26, v6
	s_wait_alu 0xf1ff
	v_cndmask_b32_e64 v26, v124, v163, s6
	s_delay_alu instid0(VALU_DEP_1)
	v_dual_max_num_f32 v7, v7, v25 :: v_dual_lshlrev_b32 v26, 2, v26
	ds_bpermute_b32 v19, v26, v1
	ds_bpermute_b32 v23, v26, v5
	;; [unrolled: 1-line block ×4, first 2 shown]
	s_wait_dscnt 0x7
	v_max_num_f32_e32 v18, v18, v18
	s_wait_dscnt 0x6
	v_max_num_f32_e32 v20, v20, v20
	;; [unrolled: 2-line block ×3, first 2 shown]
	s_wait_dscnt 0x3
	v_dual_max_num_f32 v24, v24, v24 :: v_dual_max_num_f32 v19, v19, v19
	s_wait_dscnt 0x2
	v_dual_max_num_f32 v0, v0, v18 :: v_dual_max_num_f32 v23, v23, v23
	;; [unrolled: 2-line block ×3, first 2 shown]
	v_dual_max_num_f32 v6, v6, v24 :: v_dual_max_num_f32 v1, v1, v19
	ds_bpermute_b32 v18, v26, v0
	s_wait_dscnt 0x1
	v_dual_max_num_f32 v21, v21, v21 :: v_dual_max_num_f32 v2, v2, v20
	v_max_num_f32_e32 v5, v5, v23
	ds_bpermute_b32 v22, v26, v4
	v_max_num_f32_e32 v7, v7, v25
	ds_bpermute_b32 v24, v26, v6
	;; [unrolled: 2-line block ×3, first 2 shown]
	v_sub_f32_e32 v181, v9, v1
	v_sub_f32_e32 v9, v28, v1
	;; [unrolled: 1-line block ×6, first 2 shown]
	v_mul_f32_e32 v17, 0x3fb8aa3b, v9
	v_sub_f32_e32 v179, v11, v3
	v_sub_f32_e32 v11, v16, v3
	v_mul_f32_e32 v21, 0x3fb8aa3b, v13
	s_wait_dscnt 0x3
	v_dual_mul_f32 v23, 0x3fb8aa3b, v15 :: v_dual_max_num_f32 v18, v18, v18
	v_fma_f32 v26, 0x3fb8aa3b, v9, -v17
	v_mul_f32_e32 v19, 0x3fb8aa3b, v11
	v_fma_f32 v34, 0x3fb8aa3b, v13, -v21
	s_wait_dscnt 0x2
	v_max_num_f32_e32 v22, v22, v22
	v_max_num_f32_e32 v0, v0, v18
	s_wait_dscnt 0x1
	v_max_num_f32_e32 v24, v24, v24
	v_fmac_f32_e32 v26, 0x32a5705f, v9
	s_wait_dscnt 0x0
	v_max_num_f32_e32 v20, v20, v20
	v_max_num_f32_e32 v4, v4, v22
	v_sub_f32_e32 v182, v8, v0
	v_max_num_f32_e32 v6, v6, v24
	v_sub_f32_e32 v8, v27, v0
	v_max_num_f32_e32 v2, v2, v20
	v_rndne_f32_e32 v27, v17
	v_sub_f32_e32 v178, v12, v4
	v_rndne_f32_e32 v35, v21
	v_fma_f32 v38, 0x3fb8aa3b, v15, -v23
	v_sub_f32_e32 v180, v10, v2
	v_sub_f32_e32 v10, v29, v2
	v_dual_sub_f32 v17, v17, v27 :: v_dual_mul_f32 v16, 0x3fb8aa3b, v8
	v_rndne_f32_e32 v39, v23
	v_dual_sub_f32 v176, v14, v6 :: v_dual_sub_f32 v21, v21, v35
	s_delay_alu instid0(VALU_DEP_3) | instskip(NEXT) | instid1(VALU_DEP_4)
	v_add_f32_e32 v17, v17, v26
	v_fma_f32 v24, 0x3fb8aa3b, v8, -v16
	v_rndne_f32_e32 v25, v16
	v_dual_sub_f32 v14, v32, v6 :: v_dual_sub_f32 v23, v23, v39
	v_mul_f32_e32 v18, 0x3fb8aa3b, v10
	v_fmac_f32_e32 v34, 0x32a5705f, v13
	v_fmac_f32_e32 v24, 0x32a5705f, v8
	;; [unrolled: 1-line block ×3, first 2 shown]
	v_sub_f32_e32 v16, v16, v25
	v_fma_f32 v28, 0x3fb8aa3b, v10, -v18
	v_rndne_f32_e32 v29, v18
	v_rndne_f32_e32 v31, v19
	v_sub_f32_e32 v12, v30, v4
	v_fma_f32 v30, 0x3fb8aa3b, v11, -v19
	v_add_f32_e32 v21, v21, v34
	v_dual_add_f32 v23, v23, v38 :: v_dual_add_f32 v16, v16, v24
	v_fmac_f32_e32 v28, 0x32a5705f, v10
	v_sub_f32_e32 v18, v18, v29
	v_fmac_f32_e32 v30, 0x32a5705f, v11
	v_dual_sub_f32 v19, v19, v31 :: v_dual_mul_f32 v20, 0x3fb8aa3b, v12
	v_exp_f32_e32 v16, v16
	v_cvt_i32_f32_e32 v25, v25
	s_delay_alu instid0(VALU_DEP_2) | instskip(NEXT) | instid1(VALU_DEP_3)
	v_dual_add_f32 v18, v18, v28 :: v_dual_add_f32 v19, v19, v30
	v_fma_f32 v32, 0x3fb8aa3b, v12, -v20
	v_rndne_f32_e32 v33, v20
	v_exp_f32_e32 v17, v17
	v_mul_f32_e32 v22, 0x3fb8aa3b, v14
	v_cvt_i32_f32_e32 v27, v27
	v_fmac_f32_e32 v32, 0x32a5705f, v12
	v_sub_f32_e32 v20, v20, v33
	v_exp_f32_e32 v18, v18
	v_ldexp_f32 v16, v16, v25
	v_cmp_ngt_f32_e64 s20, 0xc2ce8ed0, v8
	v_fma_f32 v36, 0x3fb8aa3b, v14, -v22
	v_rndne_f32_e32 v37, v22
	v_cvt_i32_f32_e32 v29, v29
	v_add_f32_e32 v20, v20, v32
	v_exp_f32_e32 v19, v19
	v_ldexp_f32 v17, v17, v27
	s_wait_alu 0xf1ff
	v_cndmask_b32_e64 v16, 0, v16, s20
	v_cmp_ngt_f32_e64 s20, 0xc2ce8ed0, v9
	v_cvt_i32_f32_e32 v31, v31
	v_fmac_f32_e32 v36, 0x32a5705f, v14
	v_sub_f32_e32 v22, v22, v37
	v_exp_f32_e32 v20, v20
	v_ldexp_f32 v18, v18, v29
	s_wait_alu 0xf1ff
	v_cndmask_b32_e64 v17, 0, v17, s20
	v_cmp_ngt_f32_e64 s20, 0xc2ce8ed0, v10
	v_cvt_i32_f32_e32 v33, v33
	v_add_f32_e32 v22, v22, v36
	v_exp_f32_e32 v21, v21
	v_ldexp_f32 v19, v19, v31
	s_wait_alu 0xf1ff
	v_cndmask_b32_e64 v18, 0, v18, s20
	v_cmp_ngt_f32_e64 s20, 0xc2ce8ed0, v11
	v_cvt_i32_f32_e32 v35, v35
	v_exp_f32_e32 v22, v22
	v_ldexp_f32 v20, v20, v33
	v_exp_f32_e32 v23, v23
	s_wait_alu 0xf1ff
	v_cndmask_b32_e64 v19, 0, v19, s20
	v_cmp_ngt_f32_e64 s20, 0xc2ce8ed0, v12
	v_cvt_i32_f32_e32 v24, v37
	v_ldexp_f32 v21, v21, v35
	v_cvt_i32_f32_e32 v26, v39
	v_cmp_ngt_f32_e64 s18, 0xc2ce8ed0, v182
	s_wait_alu 0xf1ff
	v_cndmask_b32_e64 v20, 0, v20, s20
	v_cmp_ngt_f32_e64 s20, 0xc2ce8ed0, v13
	v_ldexp_f32 v22, v22, v24
	v_ldexp_f32 v23, v23, v26
	v_cmp_nlt_f32_e64 s17, 0x42b17218, v182
	v_cmp_ngt_f32_e64 s19, 0xc2ce8ed0, v181
	s_wait_alu 0xf1ff
	v_cndmask_b32_e64 v21, 0, v21, s20
	v_cmp_ngt_f32_e64 s20, 0xc2ce8ed0, v14
	v_cmp_nlt_f32_e64 s16, 0x42b17218, v181
	v_cmp_ngt_f32_e64 s15, 0xc2ce8ed0, v180
	v_cmp_nlt_f32_e64 s14, 0x42b17218, v180
	v_cmp_ngt_f32_e64 s13, 0xc2ce8ed0, v179
	s_wait_alu 0xf1ff
	v_cndmask_b32_e64 v22, 0, v22, s20
	v_cmp_ngt_f32_e64 s20, 0xc2ce8ed0, v15
	v_cmp_nlt_f32_e64 s9, 0x42b17218, v179
	v_cmp_ngt_f32_e64 s11, 0xc2ce8ed0, v178
	v_cmp_nlt_f32_e64 s7, 0x42b17218, v178
	v_cmp_ngt_f32_e64 s12, 0xc2ce8ed0, v177
	s_wait_alu 0xf1ff
	v_cndmask_b32_e64 v23, 0, v23, s20
	v_cmp_nlt_f32_e64 s20, 0x42b17218, v8
	v_cmp_nlt_f32_e64 s8, 0x42b17218, v177
	v_cmp_ngt_f32_e64 s10, 0xc2ce8ed0, v176
	v_cmp_nlt_f32_e64 s6, 0x42b17218, v176
	v_cmp_ngt_f32_e64 s21, 0xc2ce8ed0, v175
	s_wait_alu 0xf1ff
	v_cndmask_b32_e64 v171, 0x7f800000, v16, s20
	v_cmp_nlt_f32_e64 s20, 0x42b17218, v9
	s_delay_alu instid0(VALU_DEP_2) | instskip(SKIP_1) | instid1(VALU_DEP_2)
	v_cvt_f16_f32_e64 v8, v171
	s_wait_alu 0xf1ff
	v_cndmask_b32_e64 v170, 0x7f800000, v17, s20
	v_cmp_nlt_f32_e64 s20, 0x42b17218, v10
	s_wait_alu 0xf1ff
	s_delay_alu instid0(VALU_DEP_1) | instskip(SKIP_1) | instid1(VALU_DEP_2)
	v_cndmask_b32_e64 v169, 0x7f800000, v18, s20
	v_cmp_nlt_f32_e64 s20, 0x42b17218, v11
	v_cvt_f16_f32_e64 v9, v169
	s_wait_alu 0xf1ff
	s_delay_alu instid0(VALU_DEP_2) | instskip(SKIP_2) | instid1(VALU_DEP_1)
	v_cndmask_b32_e64 v168, 0x7f800000, v19, s20
	v_cmp_nlt_f32_e64 s20, 0x42b17218, v12
	s_wait_alu 0xf1ff
	v_cndmask_b32_e64 v167, 0x7f800000, v20, s20
	v_cmp_nlt_f32_e64 s20, 0x42b17218, v13
	s_delay_alu instid0(VALU_DEP_2) | instskip(SKIP_1) | instid1(VALU_DEP_2)
	v_cvt_f16_f32_e64 v10, v167
	s_wait_alu 0xf1ff
	v_cndmask_b32_e64 v166, 0x7f800000, v21, s20
	v_cmp_nlt_f32_e64 s20, 0x42b17218, v14
	v_cvt_f16_f32_e64 v14, v168
	s_delay_alu instid0(VALU_DEP_3) | instskip(SKIP_1) | instid1(VALU_DEP_3)
	v_cvt_f16_f32_e64 v13, v166
	s_wait_alu 0xf1ff
	v_cndmask_b32_e64 v165, 0x7f800000, v22, s20
	v_cmp_nlt_f32_e64 s20, 0x42b17218, v15
	v_cvt_f16_f32_e64 v15, v170
	v_pack_b32_f16 v9, v9, v14
	v_pack_b32_f16 v10, v10, v13
	v_cvt_f16_f32_e64 v11, v165
	s_wait_alu 0xf1ff
	v_cndmask_b32_e64 v164, 0x7f800000, v23, s20
	v_pack_b32_f16 v8, v8, v15
	v_cmp_nlt_f32_e64 s20, 0x42b17218, v175
	s_delay_alu instid0(VALU_DEP_3) | instskip(NEXT) | instid1(VALU_DEP_1)
	v_cvt_f16_f32_e64 v12, v164
	v_pack_b32_f16 v11, v11, v12
	ds_store_b128 v140, v[8:11]
	s_and_saveexec_b32 s23, s4
	s_cbranch_execz .LBB17_29
; %bb.28:                               ;   in Loop: Header=BB17_19 Depth=1
	s_wait_alu 0xfffe
	v_add_co_u32 v8, s22, s56, v109
	s_wait_alu 0xf1ff
	v_add_co_ci_u32_e64 v9, null, s57, v110, s22
	s_delay_alu instid0(VALU_DEP_2) | instskip(SKIP_1) | instid1(VALU_DEP_2)
	v_add_co_u32 v8, s22, v8, v142
	s_wait_alu 0xf1ff
	v_add_co_ci_u32_e64 v9, null, 0, v9, s22
	global_load_b128 v[8:11], v[8:9], off offset:128
	s_wait_loadcnt 0x0
	ds_store_b128 v138, v[8:11]
.LBB17_29:                              ;   in Loop: Header=BB17_19 Depth=1
	s_wait_alu 0xfffe
	s_or_b32 exec_lo, exec_lo, s23
	v_lshlrev_b32_e32 v183, 2, v137
	s_and_saveexec_b32 s23, s5
	s_cbranch_execz .LBB17_31
; %bb.30:                               ;   in Loop: Header=BB17_19 Depth=1
	v_add_co_u32 v8, s22, s56, v111
	s_wait_alu 0xf1ff
	v_add_co_ci_u32_e64 v9, null, s57, v112, s22
	s_delay_alu instid0(VALU_DEP_2) | instskip(SKIP_1) | instid1(VALU_DEP_2)
	v_add_co_u32 v8, s22, v8, v183
	s_wait_alu 0xf1ff
	v_add_co_ci_u32_e64 v9, null, 0, v9, s22
	global_load_b128 v[8:11], v[8:9], off
	s_wait_loadcnt 0x0
	ds_store_b128 v139, v[8:11]
.LBB17_31:                              ;   in Loop: Header=BB17_19 Depth=1
	s_wait_alu 0xfffe
	s_or_b32 exec_lo, exec_lo, s23
	v_add_nc_u32_e32 v174, 0x4000, v119
	v_add_nc_u32_e32 v173, 0x4400, v119
	s_wait_loadcnt_dscnt 0x0
	s_barrier_signal -1
	s_barrier_wait -1
	global_inv scope:SCOPE_SE
	ds_load_2addr_b64 v[36:39], v174 offset1:24
	ds_load_b128 v[100:103], v136
	ds_load_b128 v[96:99], v136 offset:16
	ds_load_b128 v[92:95], v136 offset:32
	;; [unrolled: 1-line block ×3, first 2 shown]
	ds_load_2addr_b64 v[32:35], v174 offset0:48 offset1:72
	ds_load_2addr_b64 v[28:31], v174 offset0:96 offset1:120
	ds_load_b128 v[84:87], v136 offset:64
	ds_load_b128 v[80:83], v136 offset:80
	ds_load_2addr_b64 v[24:27], v174 offset0:144 offset1:168
	ds_load_b128 v[76:79], v136 offset:96
	ds_load_b128 v[72:75], v136 offset:112
	ds_load_2addr_b64 v[20:23], v174 offset0:192 offset1:216
	v_add_nc_u32_e32 v172, 0x4800, v119
	ds_load_b128 v[68:71], v136 offset:128
	ds_load_b128 v[64:67], v136 offset:144
	ds_load_2addr_b64 v[16:19], v173 offset0:112 offset1:136
	ds_load_b128 v[60:63], v136 offset:160
	ds_load_b128 v[56:59], v136 offset:176
	ds_load_2addr_b64 v[12:15], v172 offset0:32 offset1:56
	;; [unrolled: 3-line block ×3, first 2 shown]
	ds_load_b128 v[44:47], v136 offset:224
	ds_load_b128 v[40:43], v136 offset:240
	s_or_b32 s22, s46, 16
	s_wait_loadcnt_dscnt 0x0
	s_wait_alu 0xfffe
	s_ashr_i32 s23, s22, 31
	s_barrier_signal -1
	s_wait_alu 0xfffe
	s_mul_u64 s[22:23], s[22:23], s[48:49]
	s_barrier_wait -1
	s_wait_alu 0xfffe
	s_lshl_b64 s[22:23], s[22:23], 2
	global_inv scope:SCOPE_SE
	s_wait_alu 0xfffe
	s_add_nc_u64 s[56:57], s[54:55], s[22:23]
	s_and_saveexec_b32 s23, s4
	s_cbranch_execz .LBB17_33
; %bb.32:                               ;   in Loop: Header=BB17_19 Depth=1
	s_wait_alu 0xfffe
	v_add_co_u32 v184, s22, s56, v109
	s_wait_alu 0xf1ff
	v_add_co_ci_u32_e64 v185, null, s57, v110, s22
	s_delay_alu instid0(VALU_DEP_2) | instskip(SKIP_1) | instid1(VALU_DEP_2)
	v_add_co_u32 v184, s22, v184, v142
	s_wait_alu 0xf1ff
	v_add_co_ci_u32_e64 v185, null, 0, v185, s22
	global_load_b128 v[184:187], v[184:185], off offset:128
	s_wait_loadcnt 0x0
	ds_store_b128 v138, v[184:187]
.LBB17_33:                              ;   in Loop: Header=BB17_19 Depth=1
	s_wait_alu 0xfffe
	s_or_b32 exec_lo, exec_lo, s23
	s_and_saveexec_b32 s23, s5
	s_cbranch_execz .LBB17_35
; %bb.34:                               ;   in Loop: Header=BB17_19 Depth=1
	v_add_co_u32 v184, s22, s56, v111
	s_wait_alu 0xf1ff
	v_add_co_ci_u32_e64 v185, null, s57, v112, s22
	s_delay_alu instid0(VALU_DEP_2) | instskip(SKIP_1) | instid1(VALU_DEP_2)
	v_add_co_u32 v183, s22, v184, v183
	s_wait_alu 0xf1ff
	v_add_co_ci_u32_e64 v184, null, 0, v185, s22
	global_load_b128 v[183:186], v[183:184], off
	s_wait_loadcnt 0x0
	ds_store_b128 v139, v[183:186]
.LBB17_35:                              ;   in Loop: Header=BB17_19 Depth=1
	s_wait_alu 0xfffe
	s_or_b32 exec_lo, exec_lo, s23
	v_dual_mul_f32 v242, 0x3fb8aa3b, v182 :: v_dual_mul_f32 v245, 0x3fb8aa3b, v181
	v_lshrrev_b32_e32 v184, 16, v101
	v_lshrrev_b32_e32 v185, 16, v102
	;; [unrolled: 1-line block ×3, first 2 shown]
	s_delay_alu instid0(VALU_DEP_4)
	v_fma_f32 v244, 0x3fb8aa3b, v182, -v242
	v_rndne_f32_e32 v246, v242
	v_and_b32_e32 v101, 0xffff, v101
	v_rndne_f32_e32 v248, v245
	v_and_b32_e32 v102, 0xffff, v102
	v_fmac_f32_e32 v244, 0x32a5705f, v182
	v_fma_f32 v182, 0x3fb8aa3b, v181, -v245
	v_dual_sub_f32 v242, v242, v246 :: v_dual_and_b32 v103, 0xffff, v103
	v_lshrrev_b32_e32 v183, 16, v100
	v_mul_f32_e32 v252, 0x3fb8aa3b, v179
	s_delay_alu instid0(VALU_DEP_4) | instskip(NEXT) | instid1(VALU_DEP_4)
	v_dual_fmac_f32 v182, 0x32a5705f, v181 :: v_dual_sub_f32 v181, v245, v248
	v_add_f32_e32 v242, v242, v244
	v_mul_f32_e32 v244, 0x3fb8aa3b, v180
	v_and_b32_e32 v100, 0xffff, v100
	v_lshrrev_b32_e32 v188, 16, v97
	v_add_f32_e32 v181, v181, v182
	v_exp_f32_e32 v182, v242
	v_fma_f32 v242, 0x3fb8aa3b, v180, -v244
	v_rndne_f32_e32 v251, v244
	v_and_b32_e32 v97, 0xffff, v97
	v_cvt_i32_f32_e32 v246, v246
	v_exp_f32_e32 v181, v181
	v_fmac_f32_e32 v242, 0x32a5705f, v180
	v_sub_f32_e32 v180, v244, v251
	v_fma_f32 v244, 0x3fb8aa3b, v179, -v252
	v_rndne_f32_e32 v253, v252
	v_lshrrev_b32_e32 v187, 16, v96
	v_lshrrev_b32_e32 v190, 16, v99
	v_and_b32_e32 v96, 0xffff, v96
	v_dual_add_f32 v180, v180, v242 :: v_dual_and_b32 v99, 0xffff, v99
	v_ldexp_f32 v182, v182, v246
	v_cvt_i32_f32_e32 v246, v248
	v_dual_fmac_f32 v244, 0x32a5705f, v179 :: v_dual_sub_f32 v179, v252, v253
	v_lshrrev_b32_e32 v189, 16, v98
	v_and_b32_e32 v98, 0xffff, v98
	s_delay_alu instid0(VALU_DEP_4)
	v_ldexp_f32 v181, v181, v246
	v_exp_f32_e32 v180, v180
	v_cndmask_b32_e64 v182, 0, v182, s18
	v_add_f32_e32 v179, v179, v244
	v_cvt_i32_f32_e32 v242, v251
	v_cndmask_b32_e64 v181, 0, v181, s19
	v_lshrrev_b32_e32 v191, 16, v92
	v_cndmask_b32_e64 v182, 0x7f800000, v182, s17
	v_exp_f32_e32 v179, v179
	v_and_b32_e32 v92, 0xffff, v92
	v_cndmask_b32_e64 v181, 0x7f800000, v181, s16
	v_ldexp_f32 v180, v180, v242
	v_fmac_f32_e32 v171, v158, v182
	v_cvt_i32_f32_e32 v158, v253
	v_mul_f32_e32 v242, 0x3fb8aa3b, v178
	v_lshrrev_b32_e32 v194, 16, v95
	v_dual_fmac_f32 v170, v157, v181 :: v_dual_and_b32 v95, 0xffff, v95
	v_cndmask_b32_e64 v157, 0, v180, s15
	v_mul_f32_e32 v180, 0x3fb8aa3b, v177
	v_ldexp_f32 v158, v179, v158
	v_fma_f32 v179, 0x3fb8aa3b, v178, -v242
	v_rndne_f32_e32 v244, v242
	v_lshrrev_b32_e32 v192, 16, v93
	v_and_b32_e32 v93, 0xffff, v93
	v_fma_f32 v246, 0x3fb8aa3b, v177, -v180
	v_rndne_f32_e32 v248, v180
	v_dual_fmac_f32 v179, 0x32a5705f, v178 :: v_dual_sub_f32 v178, v242, v244
	v_mul_f32_e32 v242, 0x3fb8aa3b, v176
	v_lshrrev_b32_e32 v193, 16, v94
	v_and_b32_e32 v94, 0xffff, v94
	v_lshrrev_b32_e32 v196, 16, v89
	v_dual_add_f32 v178, v178, v179 :: v_dual_and_b32 v89, 0xffff, v89
	v_dual_fmac_f32 v246, 0x32a5705f, v177 :: v_dual_sub_f32 v177, v180, v248
	v_mul_f32_e32 v180, 0x3fb8aa3b, v175
	v_fma_f32 v179, 0x3fb8aa3b, v176, -v242
	v_rndne_f32_e32 v251, v242
	v_lshrrev_b32_e32 v195, 16, v88
	v_dual_add_f32 v177, v177, v246 :: v_dual_and_b32 v88, 0xffff, v88
	v_lshrrev_b32_e32 v200, 16, v85
	v_and_b32_e32 v85, 0xffff, v85
	v_fma_f32 v246, 0x3fb8aa3b, v175, -v180
	v_rndne_f32_e32 v252, v180
	v_dual_fmac_f32 v179, 0x32a5705f, v176 :: v_dual_sub_f32 v176, v242, v251
	v_lshrrev_b32_e32 v197, 16, v90
	v_and_b32_e32 v90, 0xffff, v90
	v_lshrrev_b32_e32 v204, 16, v81
	s_delay_alu instid0(VALU_DEP_4)
	v_dual_add_f32 v176, v176, v179 :: v_dual_and_b32 v81, 0xffff, v81
	v_cndmask_b32_e64 v157, 0x7f800000, v157, s14
	v_exp_f32_e32 v178, v178
	v_dual_fmac_f32 v246, 0x32a5705f, v175 :: v_dual_sub_f32 v175, v180, v252
	v_exp_f32_e32 v177, v177
	v_lshrrev_b32_e32 v198, 16, v91
	v_and_b32_e32 v91, 0xffff, v91
	v_lshrrev_b32_e32 v199, 16, v84
	v_dual_fmac_f32 v169, v156, v157 :: v_dual_and_b32 v84, 0xffff, v84
	v_cvt_i32_f32_e32 v179, v244
	v_add_f32_e32 v156, v175, v246
	v_cvt_i32_f32_e32 v175, v248
	v_exp_f32_e32 v176, v176
	v_cndmask_b32_e64 v158, 0, v158, s13
	v_ldexp_f32 v178, v178, v179
	v_exp_f32_e32 v156, v156
	v_ldexp_f32 v175, v177, v175
	v_cvt_i32_f32_e32 v177, v251
	v_cndmask_b32_e64 v158, 0x7f800000, v158, s9
	v_cndmask_b32_e64 v178, 0, v178, s11
	v_cvt_i32_f32_e32 v179, v252
	v_cndmask_b32_e64 v175, 0, v175, s12
	v_ldexp_f32 v176, v176, v177
	v_lshrrev_b32_e32 v202, 16, v87
	v_dual_fmac_f32 v168, v155, v158 :: v_dual_and_b32 v87, 0xffff, v87
	v_cndmask_b32_e64 v177, 0x7f800000, v178, s7
	v_ldexp_f32 v155, v156, v179
	v_cndmask_b32_e64 v156, 0x7f800000, v175, s8
	v_cndmask_b32_e64 v175, 0, v176, s10
	v_lshrrev_b32_e32 v201, 16, v86
	v_dual_fmac_f32 v167, v154, v177 :: v_dual_and_b32 v86, 0xffff, v86
	v_lshrrev_b32_e32 v206, 16, v83
	v_dual_fmac_f32 v166, v153, v156 :: v_dual_and_b32 v83, 0xffff, v83
	v_cvt_f16_f32_e64 v154, v182
	v_cndmask_b32_e64 v155, 0, v155, s21
	v_cndmask_b32_e64 v153, 0x7f800000, v175, s6
	v_cvt_f16_f32_e64 v175, v181
	v_lshrrev_b32_e32 v203, 16, v80
	v_and_b32_e32 v80, 0xffff, v80
	v_and_b32_e32 v154, 0xffff, v154
	v_cndmask_b32_e64 v155, 0x7f800000, v155, s20
	v_cvt_f16_f32_e64 v157, v157
	v_dual_fmac_f32 v165, v152, v153 :: v_dual_and_b32 v152, 0xffff, v175
	v_lshrrev_b32_e32 v208, 16, v77
	s_delay_alu instid0(VALU_DEP_4)
	v_dual_fmac_f32 v164, v151, v155 :: v_dual_and_b32 v77, 0xffff, v77
	v_mul_u32_u24_e32 v154, 0x10001, v154
	v_and_b32_e32 v151, 0xffff, v157
	v_cvt_f16_f32_e64 v157, v158
	v_mul_u32_u24_e32 v152, 0x10001, v152
	v_cvt_f16_f32_e64 v153, v153
	v_pk_mul_f16 v149, v149, v154
	v_pk_mul_f16 v150, v150, v154
	v_mul_u32_u24_e32 v151, 0x10001, v151
	v_and_b32_e32 v154, 0xffff, v157
	v_pk_mul_f16 v147, v147, v152
	v_pk_mul_f16 v148, v148, v152
	v_cvt_f16_f32_e64 v152, v177
	v_pk_mul_f16 v145, v145, v151
	v_mul_u32_u24_e32 v154, 0x10001, v154
	v_pk_mul_f16 v146, v146, v151
	v_cvt_f16_f32_e64 v151, v156
	v_and_b32_e32 v152, 0xffff, v152
	v_cvt_f16_f32_e64 v155, v155
	v_pk_mul_f16 v143, v143, v154
	v_and_b32_e32 v153, 0xffff, v153
	v_and_b32_e32 v151, 0xffff, v151
	v_mul_u32_u24_e32 v152, 0x10001, v152
	v_pk_mul_f16 v144, v144, v154
	v_and_b32_e32 v154, 0xffff, v155
	v_mul_u32_u24_e32 v153, 0x10001, v153
	v_mul_u32_u24_e32 v151, 0x10001, v151
	v_pk_mul_f16 v128, v128, v152
	v_pk_mul_f16 v130, v130, v152
	v_mul_u32_u24_e32 v152, 0x10001, v154
	v_mul_u32_u24_e32 v100, 0x10001, v100
	v_pk_mul_f16 v126, v126, v151
	v_pk_mul_f16 v127, v127, v151
	;; [unrolled: 1-line block ×6, first 2 shown]
	v_mul_u32_u24_e32 v151, 0x10001, v183
	v_mul_u32_u24_e32 v101, 0x10001, v101
	;; [unrolled: 1-line block ×8, first 2 shown]
	v_pk_fma_f16 v149, v36, v100, v149
	v_mul_u32_u24_e32 v155, 0x10001, v187
	v_mul_u32_u24_e32 v97, 0x10001, v97
	v_mul_u32_u24_e32 v156, 0x10001, v188
	v_mul_u32_u24_e32 v98, 0x10001, v98
	v_mul_u32_u24_e32 v157, 0x10001, v189
	v_mul_u32_u24_e32 v99, 0x10001, v99
	v_mul_u32_u24_e32 v158, 0x10001, v190
	v_mul_u32_u24_e32 v92, 0x10001, v92
	v_pk_fma_f16 v147, v36, v151, v147
	v_pk_fma_f16 v145, v36, v101, v145
	v_pk_fma_f16 v143, v36, v152, v143
	v_pk_fma_f16 v128, v36, v102, v128
	v_pk_fma_f16 v126, v36, v153, v126
	v_pk_fma_f16 v123, v36, v103, v123
	v_pk_fma_f16 v36, v36, v154, v121
	v_pk_fma_f16 v100, v37, v100, v150
	v_pk_fma_f16 v121, v37, v151, v148
	v_pk_fma_f16 v101, v37, v101, v146
	v_pk_fma_f16 v144, v37, v152, v144
	v_pk_fma_f16 v102, v37, v102, v130
	v_pk_fma_f16 v127, v37, v153, v127
	v_pk_fma_f16 v103, v37, v103, v125
	v_pk_fma_f16 v37, v37, v154, v120
	v_pk_fma_f16 v120, v38, v96, v149
	v_mul_u32_u24_e32 v175, 0x10001, v191
	v_mul_u32_u24_e32 v93, 0x10001, v93
	v_mul_u32_u24_e32 v176, 0x10001, v192
	v_mul_u32_u24_e32 v94, 0x10001, v94
	v_mul_u32_u24_e32 v177, 0x10001, v193
	v_mul_u32_u24_e32 v95, 0x10001, v95
	v_mul_u32_u24_e32 v178, 0x10001, v194
	v_mul_u32_u24_e32 v88, 0x10001, v88
	v_pk_fma_f16 v125, v38, v155, v147
	v_pk_fma_f16 v130, v38, v97, v145
	v_pk_fma_f16 v143, v38, v156, v143
	v_pk_fma_f16 v128, v38, v98, v128
	v_pk_fma_f16 v126, v38, v157, v126
	v_pk_fma_f16 v123, v38, v99, v123
	v_pk_fma_f16 v36, v38, v158, v36
	v_pk_fma_f16 v38, v39, v96, v100
	v_pk_fma_f16 v96, v39, v155, v121
	v_pk_fma_f16 v97, v39, v97, v101
	v_pk_fma_f16 v100, v39, v156, v144
	v_pk_fma_f16 v98, v39, v98, v102
	v_pk_fma_f16 v101, v39, v157, v127
	v_pk_fma_f16 v99, v39, v99, v103
	v_pk_fma_f16 v37, v39, v158, v37
	;; [unrolled: 24-line block ×3, first 2 shown]
	v_pk_fma_f16 v37, v34, v88, v39
	v_lshrrev_b32_e32 v205, 16, v82
	v_and_b32_e32 v82, 0xffff, v82
	v_lshrrev_b32_e32 v207, 16, v76
	v_and_b32_e32 v76, 0xffff, v76
	v_mul_u32_u24_e32 v183, 0x10001, v199
	v_mul_u32_u24_e32 v85, 0x10001, v85
	;; [unrolled: 1-line block ×8, first 2 shown]
	v_pk_fma_f16 v39, v34, v179, v102
	v_pk_fma_f16 v97, v34, v89, v103
	;; [unrolled: 1-line block ×16, first 2 shown]
	v_lshrrev_b32_e32 v209, 16, v78
	v_lshrrev_b32_e32 v210, 16, v79
	v_and_b32_e32 v78, 0xffff, v78
	v_and_b32_e32 v79, 0xffff, v79
	v_lshrrev_b32_e32 v211, 16, v72
	v_and_b32_e32 v72, 0xffff, v72
	v_mul_u32_u24_e32 v187, 0x10001, v203
	v_mul_u32_u24_e32 v81, 0x10001, v81
	v_mul_u32_u24_e32 v188, 0x10001, v204
	v_mul_u32_u24_e32 v82, 0x10001, v82
	v_mul_u32_u24_e32 v189, 0x10001, v205
	v_mul_u32_u24_e32 v83, 0x10001, v83
	v_mul_u32_u24_e32 v190, 0x10001, v206
	v_mul_u32_u24_e32 v76, 0x10001, v76
	v_pk_fma_f16 v37, v28, v183, v39
	v_pk_fma_f16 v39, v28, v85, v97
	v_pk_fma_f16 v92, v28, v184, v98
	v_pk_fma_f16 v93, v28, v86, v99
	v_pk_fma_f16 v94, v28, v185, v100
	v_pk_fma_f16 v95, v28, v87, v101
	v_pk_fma_f16 v28, v28, v186, v32
	v_pk_fma_f16 v32, v29, v84, v34
	v_pk_fma_f16 v34, v29, v183, v36
	v_pk_fma_f16 v36, v29, v85, v38
	v_pk_fma_f16 v38, v29, v184, v88
	v_pk_fma_f16 v84, v29, v86, v89
	v_pk_fma_f16 v85, v29, v185, v90
	v_pk_fma_f16 v86, v29, v87, v91
	v_pk_fma_f16 v29, v29, v186, v33
	v_pk_fma_f16 v33, v30, v80, v35
	v_lshrrev_b32_e32 v212, 16, v73
	v_lshrrev_b32_e32 v213, 16, v74
	v_lshrrev_b32_e32 v214, 16, v75
	v_and_b32_e32 v73, 0xffff, v73
	v_and_b32_e32 v74, 0xffff, v74
	v_and_b32_e32 v75, 0xffff, v75
	v_lshrrev_b32_e32 v215, 16, v68
	v_and_b32_e32 v68, 0xffff, v68
	v_mul_u32_u24_e32 v191, 0x10001, v207
	v_mul_u32_u24_e32 v77, 0x10001, v77
	v_mul_u32_u24_e32 v192, 0x10001, v208
	v_mul_u32_u24_e32 v78, 0x10001, v78
	v_mul_u32_u24_e32 v193, 0x10001, v209
	v_mul_u32_u24_e32 v79, 0x10001, v79
	v_mul_u32_u24_e32 v194, 0x10001, v210
	v_mul_u32_u24_e32 v72, 0x10001, v72
	v_pk_fma_f16 v35, v30, v187, v37
	v_pk_fma_f16 v37, v30, v81, v39
	v_pk_fma_f16 v39, v30, v188, v92
	v_pk_fma_f16 v87, v30, v82, v93
	v_pk_fma_f16 v88, v30, v189, v94
	v_pk_fma_f16 v89, v30, v83, v95
	v_pk_fma_f16 v28, v30, v190, v28
	v_pk_fma_f16 v30, v31, v80, v32
	v_pk_fma_f16 v32, v31, v187, v34
	v_pk_fma_f16 v34, v31, v81, v36
	v_pk_fma_f16 v36, v31, v188, v38
	v_pk_fma_f16 v38, v31, v82, v84
	v_pk_fma_f16 v80, v31, v189, v85
	v_pk_fma_f16 v81, v31, v83, v86
	v_pk_fma_f16 v29, v31, v190, v29
	v_pk_fma_f16 v31, v24, v76, v33
	v_lshrrev_b32_e32 v216, 16, v69
	v_lshrrev_b32_e32 v217, 16, v70
	v_lshrrev_b32_e32 v218, 16, v71
	v_and_b32_e32 v69, 0xffff, v69
	;; [unrolled: 32-line block ×8, first 2 shown]
	v_and_b32_e32 v46, 0xffff, v46
	v_and_b32_e32 v47, 0xffff, v47
	v_lshrrev_b32_e32 v247, 16, v40
	v_and_b32_e32 v40, 0xffff, v40
	v_mul_u32_u24_e32 v219, 0x10001, v235
	v_mul_u32_u24_e32 v49, 0x10001, v49
	;; [unrolled: 1-line block ×8, first 2 shown]
	v_pk_fma_f16 v21, v12, v215, v23
	v_pk_fma_f16 v23, v12, v53, v25
	;; [unrolled: 1-line block ×16, first 2 shown]
	v_mul_u32_u24_e32 v223, 0x10001, v239
	v_mul_u32_u24_e32 v45, 0x10001, v45
	;; [unrolled: 1-line block ×8, first 2 shown]
	v_pk_fma_f16 v19, v14, v219, v21
	v_pk_fma_f16 v21, v14, v49, v23
	;; [unrolled: 1-line block ×32, first 2 shown]
	s_wait_loadcnt_dscnt 0x0
	s_barrier_signal -1
	s_barrier_wait -1
	global_inv scope:SCOPE_SE
	ds_load_b128 v[12:15], v136 offset:256
	v_lshrrev_b32_e32 v249, 16, v41
	v_lshrrev_b32_e32 v250, 16, v42
	;; [unrolled: 1-line block ×3, first 2 shown]
	v_and_b32_e32 v41, 0xffff, v41
	v_and_b32_e32 v42, 0xffff, v42
	;; [unrolled: 1-line block ×3, first 2 shown]
	v_mul_u32_u24_e32 v227, 0x10001, v247
	v_mul_u32_u24_e32 v228, 0x10001, v249
	;; [unrolled: 1-line block ×7, first 2 shown]
	v_pk_fma_f16 v30, v10, v227, v17
	v_pk_fma_f16 v31, v10, v41, v19
	;; [unrolled: 1-line block ×15, first 2 shown]
	ds_load_2addr_b64 v[8:11], v174 offset1:24
	ds_load_b128 v[16:19], v136 offset:272
	ds_load_b128 v[20:23], v136 offset:288
	;; [unrolled: 1-line block ×3, first 2 shown]
	s_wait_dscnt 0x4
	v_lshrrev_b32_e32 v44, 16, v12
	v_and_b32_e32 v12, 0xffff, v12
	v_lshrrev_b32_e32 v45, 16, v13
	v_lshrrev_b32_e32 v46, 16, v14
	;; [unrolled: 1-line block ×3, first 2 shown]
	v_and_b32_e32 v13, 0xffff, v13
	v_and_b32_e32 v14, 0xffff, v14
	;; [unrolled: 1-line block ×3, first 2 shown]
	v_mul_u32_u24_e32 v12, 0x10001, v12
	v_mul_u32_u24_e32 v44, 0x10001, v44
	;; [unrolled: 1-line block ×8, first 2 shown]
	s_wait_dscnt 0x3
	v_pk_fma_f16 v29, v8, v12, v29
	v_pk_fma_f16 v30, v8, v44, v30
	;; [unrolled: 1-line block ×15, first 2 shown]
	s_wait_dscnt 0x2
	v_lshrrev_b32_e32 v15, 16, v16
	v_and_b32_e32 v16, 0xffff, v16
	v_lshrrev_b32_e32 v39, 16, v17
	v_lshrrev_b32_e32 v40, 16, v18
	;; [unrolled: 1-line block ×3, first 2 shown]
	v_and_b32_e32 v17, 0xffff, v17
	v_and_b32_e32 v18, 0xffff, v18
	v_and_b32_e32 v19, 0xffff, v19
	v_mul_u32_u24_e32 v16, 0x10001, v16
	v_mul_u32_u24_e32 v15, 0x10001, v15
	v_mul_u32_u24_e32 v17, 0x10001, v17
	v_mul_u32_u24_e32 v39, 0x10001, v39
	v_mul_u32_u24_e32 v18, 0x10001, v18
	v_mul_u32_u24_e32 v40, 0x10001, v40
	v_mul_u32_u24_e32 v19, 0x10001, v19
	v_mul_u32_u24_e32 v41, 0x10001, v41
	v_pk_fma_f16 v29, v10, v16, v29
	v_pk_fma_f16 v30, v10, v15, v30
	;; [unrolled: 1-line block ×12, first 2 shown]
	ds_load_2addr_b64 v[12:15], v174 offset0:48 offset1:72
	v_pk_fma_f16 v9, v9, v47, v43
	v_pk_fma_f16 v28, v11, v39, v36
	;; [unrolled: 1-line block ×4, first 2 shown]
	s_wait_dscnt 0x2
	v_lshrrev_b32_e32 v37, 16, v21
	v_pk_fma_f16 v9, v11, v41, v9
	v_lshrrev_b32_e32 v11, 16, v20
	v_and_b32_e32 v20, 0xffff, v20
	v_lshrrev_b32_e32 v38, 16, v22
	v_lshrrev_b32_e32 v39, 16, v23
	v_and_b32_e32 v21, 0xffff, v21
	v_and_b32_e32 v22, 0xffff, v22
	;; [unrolled: 1-line block ×3, first 2 shown]
	v_mul_u32_u24_e32 v20, 0x10001, v20
	v_mul_u32_u24_e32 v11, 0x10001, v11
	;; [unrolled: 1-line block ×8, first 2 shown]
	s_wait_dscnt 0x0
	v_pk_fma_f16 v29, v12, v20, v29
	v_pk_fma_f16 v30, v12, v11, v30
	;; [unrolled: 1-line block ×16, first 2 shown]
	v_lshrrev_b32_e32 v8, 16, v24
	v_and_b32_e32 v9, 0xffff, v24
	v_lshrrev_b32_e32 v10, 16, v25
	v_lshrrev_b32_e32 v11, 16, v26
	v_and_b32_e32 v24, 0xffff, v25
	v_lshrrev_b32_e32 v19, 16, v27
	v_mul_u32_u24_e32 v25, 0x10001, v9
	v_and_b32_e32 v9, 0xffff, v26
	v_mul_u32_u24_e32 v26, 0x10001, v8
	v_and_b32_e32 v8, 0xffff, v27
	v_mul_u32_u24_e32 v27, 0x10001, v10
	v_mul_u32_u24_e32 v36, 0x10001, v11
	;; [unrolled: 1-line block ×5, first 2 shown]
	ds_load_b128 v[8:11], v136 offset:320
	v_mul_u32_u24_e32 v38, 0x10001, v19
	v_pk_fma_f16 v29, v14, v25, v29
	v_pk_fma_f16 v30, v14, v26, v30
	;; [unrolled: 1-line block ×14, first 2 shown]
	ds_load_2addr_b64 v[16:19], v174 offset0:96 offset1:120
	v_pk_fma_f16 v23, v15, v37, v23
	v_pk_fma_f16 v27, v15, v38, v13
	ds_load_b128 v[12:15], v136 offset:336
	s_wait_dscnt 0x2
	v_lshrrev_b32_e32 v28, 16, v8
	v_and_b32_e32 v8, 0xffff, v8
	v_lshrrev_b32_e32 v36, 16, v9
	v_and_b32_e32 v9, 0xffff, v9
	v_lshrrev_b32_e32 v37, 16, v10
	v_lshrrev_b32_e32 v38, 16, v11
	v_mul_u32_u24_e32 v8, 0x10001, v8
	v_and_b32_e32 v10, 0xffff, v10
	v_and_b32_e32 v11, 0xffff, v11
	v_mul_u32_u24_e32 v9, 0x10001, v9
	v_mul_u32_u24_e32 v28, 0x10001, v28
	v_mul_u32_u24_e32 v36, 0x10001, v36
	v_mul_u32_u24_e32 v10, 0x10001, v10
	v_mul_u32_u24_e32 v37, 0x10001, v37
	v_mul_u32_u24_e32 v11, 0x10001, v11
	v_mul_u32_u24_e32 v38, 0x10001, v38
	s_wait_dscnt 0x1
	v_pk_fma_f16 v29, v16, v8, v29
	v_pk_fma_f16 v31, v16, v9, v31
	;; [unrolled: 1-line block ×4, first 2 shown]
	s_wait_dscnt 0x0
	v_lshrrev_b32_e32 v8, 16, v12
	v_and_b32_e32 v9, 0xffff, v12
	v_pk_fma_f16 v33, v16, v10, v33
	v_pk_fma_f16 v35, v16, v11, v35
	;; [unrolled: 1-line block ×8, first 2 shown]
	v_lshrrev_b32_e32 v10, 16, v13
	v_lshrrev_b32_e32 v11, 16, v14
	v_mul_u32_u24_e32 v27, 0x10001, v9
	v_and_b32_e32 v9, 0xffff, v14
	v_mul_u32_u24_e32 v14, 0x10001, v8
	v_and_b32_e32 v8, 0xffff, v15
	v_pk_fma_f16 v30, v16, v28, v30
	v_pk_fma_f16 v32, v16, v36, v32
	;; [unrolled: 1-line block ×3, first 2 shown]
	v_lshrrev_b32_e32 v12, 16, v15
	v_and_b32_e32 v13, 0xffff, v13
	v_mul_u32_u24_e32 v15, 0x10001, v10
	v_mul_u32_u24_e32 v28, 0x10001, v9
	;; [unrolled: 1-line block ×4, first 2 shown]
	ds_load_b128 v[8:11], v136 offset:352
	v_pk_fma_f16 v16, v16, v38, v39
	v_mul_u32_u24_e32 v13, 0x10001, v13
	v_mul_u32_u24_e32 v38, 0x10001, v12
	v_pk_fma_f16 v29, v18, v27, v29
	v_pk_fma_f16 v30, v18, v14, v30
	;; [unrolled: 1-line block ×14, first 2 shown]
	ds_load_2addr_b64 v[12:15], v174 offset0:144 offset1:168
	v_pk_fma_f16 v23, v19, v37, v23
	v_pk_fma_f16 v27, v19, v38, v17
	ds_load_b128 v[16:19], v136 offset:368
	s_wait_dscnt 0x2
	v_lshrrev_b32_e32 v28, 16, v8
	v_and_b32_e32 v8, 0xffff, v8
	v_lshrrev_b32_e32 v36, 16, v9
	v_and_b32_e32 v9, 0xffff, v9
	v_lshrrev_b32_e32 v37, 16, v10
	v_lshrrev_b32_e32 v38, 16, v11
	v_mul_u32_u24_e32 v8, 0x10001, v8
	v_and_b32_e32 v10, 0xffff, v10
	v_and_b32_e32 v11, 0xffff, v11
	v_mul_u32_u24_e32 v9, 0x10001, v9
	v_mul_u32_u24_e32 v28, 0x10001, v28
	;; [unrolled: 1-line block ×7, first 2 shown]
	s_wait_dscnt 0x1
	v_pk_fma_f16 v29, v12, v8, v29
	v_pk_fma_f16 v31, v12, v9, v31
	;; [unrolled: 1-line block ×4, first 2 shown]
	s_wait_dscnt 0x0
	v_lshrrev_b32_e32 v8, 16, v16
	v_and_b32_e32 v9, 0xffff, v16
	v_pk_fma_f16 v33, v12, v10, v33
	v_pk_fma_f16 v35, v12, v11, v35
	;; [unrolled: 1-line block ×8, first 2 shown]
	v_lshrrev_b32_e32 v10, 16, v17
	v_lshrrev_b32_e32 v11, 16, v18
	v_mul_u32_u24_e32 v27, 0x10001, v9
	v_and_b32_e32 v9, 0xffff, v18
	v_mul_u32_u24_e32 v18, 0x10001, v8
	v_and_b32_e32 v8, 0xffff, v19
	v_pk_fma_f16 v30, v12, v28, v30
	v_pk_fma_f16 v32, v12, v36, v32
	;; [unrolled: 1-line block ×3, first 2 shown]
	v_lshrrev_b32_e32 v16, 16, v19
	v_and_b32_e32 v17, 0xffff, v17
	v_mul_u32_u24_e32 v19, 0x10001, v10
	v_mul_u32_u24_e32 v28, 0x10001, v9
	;; [unrolled: 1-line block ×4, first 2 shown]
	ds_load_b128 v[8:11], v136 offset:384
	v_pk_fma_f16 v12, v12, v38, v39
	v_mul_u32_u24_e32 v17, 0x10001, v17
	v_mul_u32_u24_e32 v38, 0x10001, v16
	v_pk_fma_f16 v29, v14, v27, v29
	v_pk_fma_f16 v30, v14, v18, v30
	;; [unrolled: 1-line block ×14, first 2 shown]
	ds_load_2addr_b64 v[16:19], v174 offset0:192 offset1:216
	v_pk_fma_f16 v23, v15, v37, v23
	v_pk_fma_f16 v27, v15, v38, v13
	ds_load_b128 v[12:15], v136 offset:400
	s_wait_dscnt 0x2
	v_lshrrev_b32_e32 v28, 16, v8
	v_and_b32_e32 v8, 0xffff, v8
	v_lshrrev_b32_e32 v36, 16, v9
	v_and_b32_e32 v9, 0xffff, v9
	v_lshrrev_b32_e32 v37, 16, v10
	v_lshrrev_b32_e32 v38, 16, v11
	v_mul_u32_u24_e32 v8, 0x10001, v8
	v_and_b32_e32 v10, 0xffff, v10
	v_and_b32_e32 v11, 0xffff, v11
	v_mul_u32_u24_e32 v9, 0x10001, v9
	v_mul_u32_u24_e32 v28, 0x10001, v28
	;; [unrolled: 1-line block ×7, first 2 shown]
	s_wait_dscnt 0x1
	v_pk_fma_f16 v29, v16, v8, v29
	v_pk_fma_f16 v31, v16, v9, v31
	;; [unrolled: 1-line block ×4, first 2 shown]
	s_wait_dscnt 0x0
	v_lshrrev_b32_e32 v8, 16, v12
	v_and_b32_e32 v9, 0xffff, v12
	v_pk_fma_f16 v33, v16, v10, v33
	v_pk_fma_f16 v35, v16, v11, v35
	;; [unrolled: 1-line block ×8, first 2 shown]
	v_lshrrev_b32_e32 v10, 16, v13
	v_lshrrev_b32_e32 v11, 16, v14
	v_mul_u32_u24_e32 v27, 0x10001, v9
	v_and_b32_e32 v9, 0xffff, v14
	v_mul_u32_u24_e32 v14, 0x10001, v8
	v_and_b32_e32 v8, 0xffff, v15
	v_pk_fma_f16 v30, v16, v28, v30
	v_pk_fma_f16 v32, v16, v36, v32
	;; [unrolled: 1-line block ×3, first 2 shown]
	v_lshrrev_b32_e32 v12, 16, v15
	v_and_b32_e32 v13, 0xffff, v13
	v_mul_u32_u24_e32 v15, 0x10001, v10
	v_mul_u32_u24_e32 v28, 0x10001, v9
	;; [unrolled: 1-line block ×4, first 2 shown]
	ds_load_b128 v[8:11], v136 offset:416
	v_pk_fma_f16 v16, v16, v38, v39
	v_mul_u32_u24_e32 v13, 0x10001, v13
	v_mul_u32_u24_e32 v38, 0x10001, v12
	v_pk_fma_f16 v29, v18, v27, v29
	v_pk_fma_f16 v30, v18, v14, v30
	;; [unrolled: 1-line block ×14, first 2 shown]
	ds_load_2addr_b64 v[12:15], v173 offset0:112 offset1:136
	v_pk_fma_f16 v23, v19, v37, v23
	v_pk_fma_f16 v27, v19, v38, v17
	ds_load_b128 v[16:19], v136 offset:432
	s_wait_dscnt 0x2
	v_lshrrev_b32_e32 v28, 16, v8
	v_and_b32_e32 v8, 0xffff, v8
	v_lshrrev_b32_e32 v36, 16, v9
	v_and_b32_e32 v9, 0xffff, v9
	v_lshrrev_b32_e32 v37, 16, v10
	v_lshrrev_b32_e32 v38, 16, v11
	v_mul_u32_u24_e32 v8, 0x10001, v8
	v_and_b32_e32 v10, 0xffff, v10
	v_and_b32_e32 v11, 0xffff, v11
	v_mul_u32_u24_e32 v9, 0x10001, v9
	v_mul_u32_u24_e32 v28, 0x10001, v28
	;; [unrolled: 1-line block ×7, first 2 shown]
	s_wait_dscnt 0x1
	v_pk_fma_f16 v29, v12, v8, v29
	v_pk_fma_f16 v31, v12, v9, v31
	;; [unrolled: 1-line block ×4, first 2 shown]
	s_wait_dscnt 0x0
	v_lshrrev_b32_e32 v8, 16, v16
	v_and_b32_e32 v9, 0xffff, v16
	v_pk_fma_f16 v33, v12, v10, v33
	v_pk_fma_f16 v35, v12, v11, v35
	;; [unrolled: 1-line block ×8, first 2 shown]
	v_lshrrev_b32_e32 v10, 16, v17
	v_lshrrev_b32_e32 v11, 16, v18
	v_mul_u32_u24_e32 v27, 0x10001, v9
	v_and_b32_e32 v9, 0xffff, v18
	v_mul_u32_u24_e32 v18, 0x10001, v8
	v_and_b32_e32 v8, 0xffff, v19
	v_pk_fma_f16 v30, v12, v28, v30
	v_pk_fma_f16 v32, v12, v36, v32
	;; [unrolled: 1-line block ×3, first 2 shown]
	v_lshrrev_b32_e32 v16, 16, v19
	v_and_b32_e32 v17, 0xffff, v17
	v_mul_u32_u24_e32 v19, 0x10001, v10
	v_mul_u32_u24_e32 v28, 0x10001, v9
	;; [unrolled: 1-line block ×4, first 2 shown]
	ds_load_b128 v[8:11], v136 offset:448
	v_pk_fma_f16 v12, v12, v38, v39
	v_mul_u32_u24_e32 v17, 0x10001, v17
	v_mul_u32_u24_e32 v38, 0x10001, v16
	v_pk_fma_f16 v29, v14, v27, v29
	v_pk_fma_f16 v30, v14, v18, v30
	v_pk_fma_f16 v32, v14, v19, v32
	v_pk_fma_f16 v31, v14, v17, v31
	v_pk_fma_f16 v33, v14, v28, v33
	v_pk_fma_f16 v34, v14, v36, v34
	v_pk_fma_f16 v35, v14, v37, v35
	v_pk_fma_f16 v39, v14, v38, v12
	v_pk_fma_f16 v20, v15, v27, v20
	v_pk_fma_f16 v25, v15, v18, v25
	v_pk_fma_f16 v24, v15, v17, v24
	v_pk_fma_f16 v21, v15, v19, v21
	v_pk_fma_f16 v26, v15, v28, v26
	v_pk_fma_f16 v22, v15, v36, v22
	ds_load_2addr_b64 v[16:19], v172 offset0:32 offset1:56
	v_pk_fma_f16 v23, v15, v37, v23
	v_pk_fma_f16 v27, v15, v38, v13
	ds_load_b128 v[12:15], v136 offset:464
	s_wait_dscnt 0x2
	v_lshrrev_b32_e32 v28, 16, v8
	v_and_b32_e32 v8, 0xffff, v8
	v_lshrrev_b32_e32 v36, 16, v9
	v_and_b32_e32 v9, 0xffff, v9
	v_lshrrev_b32_e32 v37, 16, v10
	v_lshrrev_b32_e32 v38, 16, v11
	v_mul_u32_u24_e32 v8, 0x10001, v8
	v_and_b32_e32 v10, 0xffff, v10
	v_and_b32_e32 v11, 0xffff, v11
	v_mul_u32_u24_e32 v9, 0x10001, v9
	v_mul_u32_u24_e32 v28, 0x10001, v28
	;; [unrolled: 1-line block ×7, first 2 shown]
	s_wait_dscnt 0x1
	v_pk_fma_f16 v29, v16, v8, v29
	v_pk_fma_f16 v31, v16, v9, v31
	;; [unrolled: 1-line block ×4, first 2 shown]
	s_wait_dscnt 0x0
	v_lshrrev_b32_e32 v8, 16, v12
	v_and_b32_e32 v9, 0xffff, v12
	v_pk_fma_f16 v33, v16, v10, v33
	v_pk_fma_f16 v35, v16, v11, v35
	;; [unrolled: 1-line block ×8, first 2 shown]
	v_lshrrev_b32_e32 v10, 16, v13
	v_lshrrev_b32_e32 v11, 16, v14
	v_mul_u32_u24_e32 v27, 0x10001, v9
	v_and_b32_e32 v9, 0xffff, v14
	v_mul_u32_u24_e32 v14, 0x10001, v8
	v_and_b32_e32 v8, 0xffff, v15
	v_pk_fma_f16 v30, v16, v28, v30
	v_pk_fma_f16 v32, v16, v36, v32
	;; [unrolled: 1-line block ×3, first 2 shown]
	v_lshrrev_b32_e32 v12, 16, v15
	v_and_b32_e32 v13, 0xffff, v13
	v_mul_u32_u24_e32 v15, 0x10001, v10
	v_mul_u32_u24_e32 v28, 0x10001, v9
	;; [unrolled: 1-line block ×4, first 2 shown]
	ds_load_b128 v[8:11], v136 offset:480
	v_pk_fma_f16 v16, v16, v38, v39
	v_mul_u32_u24_e32 v13, 0x10001, v13
	v_mul_u32_u24_e32 v38, 0x10001, v12
	v_pk_fma_f16 v29, v18, v27, v29
	v_pk_fma_f16 v30, v18, v14, v30
	;; [unrolled: 1-line block ×14, first 2 shown]
	ds_load_2addr_b64 v[12:15], v172 offset0:80 offset1:104
	v_pk_fma_f16 v23, v19, v37, v23
	v_pk_fma_f16 v27, v19, v38, v17
	ds_load_b128 v[16:19], v136 offset:496
	s_wait_loadcnt_dscnt 0x0
	s_barrier_signal -1
	s_barrier_wait -1
	global_inv scope:SCOPE_SE
	s_load_b32 s6, s[36:37], 0x4
	v_lshrrev_b32_e32 v28, 16, v8
	v_and_b32_e32 v8, 0xffff, v8
	v_lshrrev_b32_e32 v36, 16, v9
	v_lshrrev_b32_e32 v37, 16, v10
	;; [unrolled: 1-line block ×3, first 2 shown]
	v_and_b32_e32 v9, 0xffff, v9
	v_and_b32_e32 v10, 0xffff, v10
	;; [unrolled: 1-line block ×3, first 2 shown]
	v_mul_u32_u24_e32 v8, 0x10001, v8
	v_mul_u32_u24_e32 v28, 0x10001, v28
	v_mul_u32_u24_e32 v9, 0x10001, v9
	v_mul_u32_u24_e32 v10, 0x10001, v10
	v_mul_u32_u24_e32 v11, 0x10001, v11
	v_mul_u32_u24_e32 v36, 0x10001, v36
	v_mul_u32_u24_e32 v37, 0x10001, v37
	v_mul_u32_u24_e32 v38, 0x10001, v38
	v_pk_fma_f16 v29, v12, v8, v29
	v_pk_fma_f16 v31, v12, v9, v31
	;; [unrolled: 1-line block ×9, first 2 shown]
	v_lshrrev_b32_e32 v23, 16, v16
	v_and_b32_e32 v16, 0xffff, v16
	v_lshrrev_b32_e32 v24, 16, v17
	v_and_b32_e32 v17, 0xffff, v17
	v_lshrrev_b32_e32 v25, 16, v18
	v_lshrrev_b32_e32 v26, 16, v19
	v_and_b32_e32 v18, 0xffff, v18
	v_and_b32_e32 v19, 0xffff, v19
	v_pk_fma_f16 v30, v12, v28, v30
	v_pk_fma_f16 v32, v12, v36, v32
	;; [unrolled: 1-line block ×7, first 2 shown]
	v_mul_u32_u24_e32 v16, 0x10001, v16
	v_mul_u32_u24_e32 v23, 0x10001, v23
	;; [unrolled: 1-line block ×8, first 2 shown]
	s_wait_kmcnt 0x0
	s_lshl_b32 s6, s6, 5
	v_pk_fma_f16 v149, v14, v16, v29
	v_pk_fma_f16 v147, v14, v23, v30
	;; [unrolled: 1-line block ×16, first 2 shown]
	s_wait_alu 0xfffe
	s_add_co_i32 s46, s6, s46
	s_wait_alu 0xfffe
	s_cmp_ge_i32 s46, s42
	s_cbranch_scc1 .LBB17_37
; %bb.36:                               ;   in Loop: Header=BB17_19 Depth=1
	v_dual_mov_b32 v8, v0 :: v_dual_mov_b32 v9, v1
	v_dual_mov_b32 v10, v2 :: v_dual_mov_b32 v11, v3
	;; [unrolled: 1-line block ×8, first 2 shown]
	s_branch .LBB17_19
.LBB17_37:
	v_mov_b32_e32 v8, v124
.LBB17_38:
	v_cmp_lt_i32_e32 vcc_lo, v159, v122
	s_cmp_lg_u64 s[24:25], 0
	s_cselect_b32 s3, -1, 0
	s_cmp_eq_u32 s26, 0
	s_wait_alu 0xfffd
	v_cndmask_b32_e32 v9, v8, v159, vcc_lo
	v_cmp_lt_i32_e32 vcc_lo, v160, v122
	s_cselect_b32 s4, -1, 0
	s_wait_alu 0xfffe
	s_and_b32 s3, s4, s3
	v_lshlrev_b32_e32 v9, 2, v9
	ds_bpermute_b32 v12, v9, v169
	s_wait_dscnt 0x0
	v_add_f32_e32 v12, v169, v12
	ds_bpermute_b32 v14, v9, v167
	ds_bpermute_b32 v16, v9, v165
	s_wait_alu 0xfffd
	v_cndmask_b32_e32 v17, v8, v160, vcc_lo
	ds_bpermute_b32 v10, v9, v171
	ds_bpermute_b32 v11, v9, v170
	;; [unrolled: 1-line block ×5, first 2 shown]
	v_cmp_lt_i32_e32 vcc_lo, v161, v122
	s_wait_alu 0xfffd
	v_cndmask_b32_e32 v25, v8, v161, vcc_lo
	v_cmp_lt_i32_e32 vcc_lo, v162, v122
	s_wait_dscnt 0x6
	v_dual_add_f32 v14, v167, v14 :: v_dual_lshlrev_b32 v17, 2, v17
	s_wait_dscnt 0x5
	v_add_f32_e32 v16, v165, v16
	s_wait_dscnt 0x4
	v_add_f32_e32 v10, v171, v10
	ds_bpermute_b32 v20, v17, v12
	s_wait_dscnt 0x4
	v_add_f32_e32 v11, v170, v11
	ds_bpermute_b32 v18, v17, v10
	ds_bpermute_b32 v22, v17, v14
	;; [unrolled: 1-line block ×3, first 2 shown]
	s_wait_dscnt 0x6
	v_add_f32_e32 v13, v168, v13
	s_wait_dscnt 0x5
	v_add_f32_e32 v15, v166, v15
	;; [unrolled: 2-line block ×4, first 2 shown]
	ds_bpermute_b32 v19, v17, v11
	s_wait_dscnt 0x3
	v_dual_add_f32 v10, v10, v18 :: v_dual_lshlrev_b32 v25, 2, v25
	ds_bpermute_b32 v21, v17, v13
	s_wait_dscnt 0x3
	v_add_f32_e32 v14, v14, v22
	s_wait_dscnt 0x2
	v_add_f32_e32 v16, v16, v24
	ds_bpermute_b32 v23, v17, v15
	ds_bpermute_b32 v17, v17, v9
	s_wait_dscnt 0x3
	v_add_f32_e32 v11, v11, v19
	ds_bpermute_b32 v19, v25, v12
	s_wait_dscnt 0x2
	v_add_f32_e32 v15, v15, v23
	s_wait_dscnt 0x0
	v_dual_add_f32 v9, v9, v17 :: v_dual_add_f32 v12, v12, v19
	ds_bpermute_b32 v17, v25, v10
	ds_bpermute_b32 v23, v25, v16
	v_add_f32_e32 v13, v13, v21
	ds_bpermute_b32 v21, v25, v14
	ds_bpermute_b32 v24, v25, v9
	s_wait_dscnt 0x3
	v_add_f32_e32 v10, v10, v17
	ds_bpermute_b32 v18, v25, v11
	s_wait_dscnt 0x3
	v_add_f32_e32 v16, v16, v23
	;; [unrolled: 3-line block ×3, first 2 shown]
	ds_bpermute_b32 v22, v25, v15
	s_wait_alu 0xfffd
	v_cndmask_b32_e32 v25, v8, v162, vcc_lo
	v_cmp_lt_i32_e32 vcc_lo, v163, v122
	s_wait_alu 0xfffd
	s_delay_alu instid0(VALU_DEP_2)
	v_dual_cndmask_b32 v8, v8, v163 :: v_dual_lshlrev_b32 v25, 2, v25
	s_wait_alu 0xfffe
	s_and_b32 vcc_lo, exec_lo, s3
	ds_bpermute_b32 v19, v25, v12
	v_lshlrev_b32_e32 v8, 2, v8
	s_wait_dscnt 0x0
	v_add_f32_e32 v12, v12, v19
	ds_bpermute_b32 v17, v25, v10
	ds_bpermute_b32 v21, v25, v14
	;; [unrolled: 1-line block ×3, first 2 shown]
	v_add_f32_e32 v11, v11, v18
	ds_bpermute_b32 v19, v8, v12
	v_add_f32_e32 v9, v9, v24
	v_add_f32_e32 v13, v13, v20
	ds_bpermute_b32 v24, v25, v9
	s_wait_dscnt 0x4
	v_add_f32_e32 v10, v10, v17
	s_wait_dscnt 0x3
	v_add_f32_e32 v14, v14, v21
	ds_bpermute_b32 v18, v25, v11
	s_wait_dscnt 0x3
	v_add_f32_e32 v16, v16, v23
	ds_bpermute_b32 v20, v25, v13
	ds_bpermute_b32 v21, v8, v14
	;; [unrolled: 1-line block ×3, first 2 shown]
	s_wait_dscnt 0x4
	v_add_f32_e32 v17, v9, v24
	ds_bpermute_b32 v9, v8, v10
	v_add_f32_e32 v15, v15, v22
	ds_bpermute_b32 v24, v8, v17
	ds_bpermute_b32 v22, v25, v15
	s_wait_dscnt 0x6
	v_add_f32_e32 v11, v11, v18
	s_wait_dscnt 0x5
	v_add_f32_e32 v13, v13, v20
	ds_bpermute_b32 v18, v8, v11
	ds_bpermute_b32 v20, v8, v13
	s_wait_dscnt 0x2
	v_add_f32_e32 v15, v15, v22
	ds_bpermute_b32 v22, v8, v15
	v_add_f32_e32 v8, v10, v9
	v_add_f32_e32 v10, v12, v19
	;; [unrolled: 1-line block ×3, first 2 shown]
	s_wait_dscnt 0x2
	v_dual_add_f32 v14, v16, v23 :: v_dual_add_f32 v9, v11, v18
	s_wait_dscnt 0x1
	v_add_f32_e32 v11, v13, v20
	s_wait_dscnt 0x0
	v_add_f32_e32 v13, v15, v22
	v_add_f32_e32 v15, v17, v24
	s_wait_alu 0xfffe
	s_cbranch_vccz .LBB17_40
; %bb.39:
	s_ashr_i32 s35, s34, 31
	v_dual_mov_b32 v16, 0 :: v_dual_max_num_f32 v17, v1, v1
	s_lshl_b64 s[4:5], s[34:35], 2
	v_dual_max_num_f32 v18, v2, v2 :: v_dual_max_num_f32 v21, v5, v5
	s_wait_alu 0xfffe
	s_add_nc_u64 s[4:5], s[24:25], s[4:5]
	v_max_num_f32_e32 v19, v3, v3
	global_load_b128 v[24:27], v16, s[4:5]
	v_max_num_f32_e32 v16, v0, v0
	v_max_num_f32_e32 v22, v6, v6
	v_dual_max_num_f32 v20, v4, v4 :: v_dual_max_num_f32 v31, v7, v7
	s_wait_loadcnt 0x0
	v_dual_max_num_f32 v28, v25, v25 :: v_dual_max_num_f32 v23, v24, v24
	v_dual_max_num_f32 v29, v26, v26 :: v_dual_max_num_f32 v30, v27, v27
	s_delay_alu instid0(VALU_DEP_2) | instskip(NEXT) | instid1(VALU_DEP_2)
	v_dual_max_num_f32 v17, v17, v28 :: v_dual_max_num_f32 v16, v16, v23
	v_dual_max_num_f32 v18, v18, v29 :: v_dual_max_num_f32 v21, v21, v28
	s_delay_alu instid0(VALU_DEP_3) | instskip(SKIP_1) | instid1(VALU_DEP_4)
	v_dual_max_num_f32 v19, v19, v30 :: v_dual_max_num_f32 v20, v20, v23
	v_dual_max_num_f32 v23, v31, v30 :: v_dual_max_num_f32 v22, v22, v29
	v_sub_f32_e32 v29, v24, v16
	v_dual_sub_f32 v28, v0, v16 :: v_dual_sub_f32 v31, v25, v17
	v_dual_sub_f32 v30, v1, v17 :: v_dual_sub_f32 v33, v26, v18
	;; [unrolled: 1-line block ×7, first 2 shown]
	v_dual_mov_b32 v0, v16 :: v_dual_mov_b32 v3, v19
	v_dual_sub_f32 v26, v26, v22 :: v_dual_mov_b32 v1, v17
	v_dual_mov_b32 v2, v18 :: v_dual_mov_b32 v5, v21
	v_dual_mov_b32 v4, v20 :: v_dual_mov_b32 v7, v23
	v_dual_mov_b32 v6, v22 :: v_dual_mul_f32 v17, 0x3fb8aa3b, v29
	v_dual_mul_f32 v16, 0x3fb8aa3b, v28 :: v_dual_mul_f32 v19, 0x3fb8aa3b, v31
	v_dual_mul_f32 v18, 0x3fb8aa3b, v30 :: v_dual_mul_f32 v21, 0x3fb8aa3b, v33
	s_delay_alu instid0(VALU_DEP_3) | instskip(NEXT) | instid1(VALU_DEP_3)
	v_fma_f32 v50, 0x3fb8aa3b, v29, -v17
	v_fma_f32 v48, 0x3fb8aa3b, v28, -v16
	v_rndne_f32_e32 v49, v16
	v_rndne_f32_e32 v51, v17
	;; [unrolled: 1-line block ×3, first 2 shown]
	v_dual_mul_f32 v20, 0x3fb8aa3b, v32 :: v_dual_mul_f32 v23, 0x3fb8aa3b, v35
	s_delay_alu instid0(VALU_DEP_3)
	v_dual_fmac_f32 v48, 0x32a5705f, v28 :: v_dual_sub_f32 v17, v17, v51
	v_sub_f32_e32 v16, v16, v49
	v_dual_mul_f32 v22, 0x3fb8aa3b, v34 :: v_dual_mul_f32 v41, 0x3fb8aa3b, v24
	v_dual_mul_f32 v44, 0x3fb8aa3b, v38 :: v_dual_mul_f32 v47, 0x3fb8aa3b, v27
	v_fma_f32 v52, 0x3fb8aa3b, v30, -v18
	v_rndne_f32_e32 v53, v18
	v_fma_f32 v54, 0x3fb8aa3b, v31, -v19
	v_rndne_f32_e32 v59, v21
	v_dual_fmac_f32 v50, 0x32a5705f, v29 :: v_dual_sub_f32 v19, v19, v55
	v_add_f32_e32 v16, v16, v48
	v_fma_f32 v58, 0x3fb8aa3b, v33, -v21
	v_rndne_f32_e32 v63, v23
	v_rndne_f32_e32 v67, v41
	;; [unrolled: 1-line block ×3, first 2 shown]
	v_fmac_f32_e32 v52, 0x32a5705f, v30
	v_dual_sub_f32 v18, v18, v53 :: v_dual_sub_f32 v21, v21, v59
	v_dual_mul_f32 v46, 0x3fb8aa3b, v39 :: v_dual_add_f32 v17, v17, v50
	v_exp_f32_e32 v16, v16
	v_dual_mul_f32 v40, 0x3fb8aa3b, v36 :: v_dual_mul_f32 v43, 0x3fb8aa3b, v25
	v_dual_mul_f32 v42, 0x3fb8aa3b, v37 :: v_dual_mul_f32 v45, 0x3fb8aa3b, v26
	v_fma_f32 v56, 0x3fb8aa3b, v32, -v20
	v_rndne_f32_e32 v57, v20
	v_rndne_f32_e32 v61, v22
	v_fma_f32 v62, 0x3fb8aa3b, v35, -v23
	v_fma_f32 v66, 0x3fb8aa3b, v24, -v41
	;; [unrolled: 1-line block ×3, first 2 shown]
	v_cvt_i32_f32_e32 v49, v49
	v_dual_fmac_f32 v58, 0x32a5705f, v33 :: v_dual_sub_f32 v47, v47, v79
	v_fmac_f32_e32 v54, 0x32a5705f, v31
	v_sub_f32_e32 v23, v23, v63
	v_dual_sub_f32 v41, v41, v67 :: v_dual_add_f32 v18, v18, v52
	v_exp_f32_e32 v17, v17
	v_fma_f32 v60, 0x3fb8aa3b, v34, -v22
	v_rndne_f32_e32 v71, v43
	v_rndne_f32_e32 v75, v45
	v_cvt_i32_f32_e32 v51, v51
	v_fmac_f32_e32 v56, 0x32a5705f, v32
	v_dual_sub_f32 v20, v20, v57 :: v_dual_add_f32 v21, v21, v58
	v_dual_sub_f32 v22, v22, v61 :: v_dual_add_f32 v19, v19, v54
	v_exp_f32_e32 v18, v18
	v_ldexp_f32 v16, v16, v49
	v_cmp_ngt_f32_e32 vcc_lo, 0xc2ce8ed0, v28
	v_fma_f32 v70, 0x3fb8aa3b, v25, -v43
	v_fma_f32 v74, 0x3fb8aa3b, v26, -v45
	v_cvt_i32_f32_e32 v53, v53
	v_sub_f32_e32 v43, v43, v71
	v_dual_sub_f32 v45, v45, v75 :: v_dual_add_f32 v20, v20, v56
	v_exp_f32_e32 v19, v19
	v_ldexp_f32 v17, v17, v51
	s_wait_alu 0xfffd
	v_cndmask_b32_e32 v16, 0, v16, vcc_lo
	v_cmp_ngt_f32_e32 vcc_lo, 0xc2ce8ed0, v29
	v_cvt_i32_f32_e32 v55, v55
	v_fmac_f32_e32 v60, 0x32a5705f, v34
	v_fmac_f32_e32 v74, 0x32a5705f, v26
	v_exp_f32_e32 v20, v20
	v_ldexp_f32 v18, v18, v53
	s_wait_alu 0xfffd
	v_cndmask_b32_e32 v17, 0, v17, vcc_lo
	v_cmp_ngt_f32_e32 vcc_lo, 0xc2ce8ed0, v30
	v_fma_f32 v64, 0x3fb8aa3b, v36, -v40
	v_rndne_f32_e32 v69, v42
	v_cvt_i32_f32_e32 v57, v57
	v_dual_fmac_f32 v66, 0x32a5705f, v24 :: v_dual_add_f32 v45, v45, v74
	v_fmac_f32_e32 v62, 0x32a5705f, v35
	v_add_f32_e32 v22, v22, v60
	v_exp_f32_e32 v21, v21
	v_ldexp_f32 v19, v19, v55
	s_wait_alu 0xfffd
	v_cndmask_b32_e32 v18, 0, v18, vcc_lo
	v_cmp_ngt_f32_e32 vcc_lo, 0xc2ce8ed0, v31
	v_fma_f32 v68, 0x3fb8aa3b, v37, -v42
	v_cvt_i32_f32_e32 v59, v59
	v_dual_sub_f32 v42, v42, v69 :: v_dual_add_f32 v41, v41, v66
	v_dual_fmac_f32 v64, 0x32a5705f, v36 :: v_dual_add_f32 v23, v23, v62
	v_exp_f32_e32 v22, v22
	v_ldexp_f32 v20, v20, v57
	s_wait_alu 0xfffd
	v_cndmask_b32_e32 v19, 0, v19, vcc_lo
	v_cmp_ngt_f32_e32 vcc_lo, 0xc2ce8ed0, v32
	v_fma_f32 v72, 0x3fb8aa3b, v38, -v44
	v_cvt_i32_f32_e32 v61, v61
	v_exp_f32_e32 v23, v23
	v_ldexp_f32 v21, v21, v59
	s_wait_alu 0xfffd
	v_cndmask_b32_e32 v20, 0, v20, vcc_lo
	v_cmp_ngt_f32_e32 vcc_lo, 0xc2ce8ed0, v33
	v_cvt_i32_f32_e32 v63, v63
	v_fmac_f32_e32 v72, 0x32a5705f, v38
	v_ldexp_f32 v22, v22, v61
	v_rndne_f32_e32 v65, v40
	s_wait_alu 0xfffd
	v_cndmask_b32_e32 v21, 0, v21, vcc_lo
	v_cmp_ngt_f32_e32 vcc_lo, 0xc2ce8ed0, v34
	v_ldexp_f32 v23, v23, v63
	v_fmac_f32_e32 v78, 0x32a5705f, v27
	v_fmac_f32_e32 v68, 0x32a5705f, v37
	v_exp_f32_e32 v41, v41
	s_wait_alu 0xfffd
	v_cndmask_b32_e32 v22, 0, v22, vcc_lo
	v_cmp_ngt_f32_e32 vcc_lo, 0xc2ce8ed0, v35
	v_dual_fmac_f32 v70, 0x32a5705f, v25 :: v_dual_add_f32 v47, v47, v78
	v_add_f32_e32 v42, v42, v68
	v_cvt_i32_f32_e32 v67, v67
	s_wait_alu 0xfffd
	v_dual_cndmask_b32 v23, 0, v23 :: v_dual_sub_f32 v40, v40, v65
	v_add_f32_e32 v43, v43, v70
	v_cvt_i32_f32_e32 v65, v65
	v_exp_f32_e32 v42, v42
	v_cmp_ngt_f32_e32 vcc_lo, 0xc2ce8ed0, v36
	v_add_f32_e32 v40, v40, v64
	v_cvt_i32_f32_e32 v69, v69
	v_exp_f32_e32 v43, v43
	v_ldexp_f32 v41, v41, v67
	v_rndne_f32_e32 v73, v44
	v_exp_f32_e32 v40, v40
	v_cvt_i32_f32_e32 v71, v71
	v_exp_f32_e32 v45, v45
	v_ldexp_f32 v42, v42, v69
	v_exp_f32_e32 v47, v47
	v_fma_f32 v76, 0x3fb8aa3b, v39, -v46
	v_rndne_f32_e32 v77, v46
	v_ldexp_f32 v43, v43, v71
	v_cvt_i32_f32_e32 v75, v75
	v_cvt_i32_f32_e32 v79, v79
	v_ldexp_f32 v40, v40, v65
	s_delay_alu instid0(TRANS32_DEP_2) | instid1(VALU_DEP_3)
	v_ldexp_f32 v45, v45, v75
	s_delay_alu instid0(TRANS32_DEP_1) | instid1(VALU_DEP_3)
	v_ldexp_f32 v47, v47, v79
	s_wait_alu 0xfffd
	s_delay_alu instid0(VALU_DEP_3)
	v_cndmask_b32_e32 v40, 0, v40, vcc_lo
	v_cmp_ngt_f32_e32 vcc_lo, 0xc2ce8ed0, v24
	v_sub_f32_e32 v46, v46, v77
	v_cvt_i32_f32_e32 v77, v77
	s_wait_alu 0xfffd
	v_cndmask_b32_e32 v41, 0, v41, vcc_lo
	v_cmp_ngt_f32_e32 vcc_lo, 0xc2ce8ed0, v37
	s_wait_alu 0xfffd
	v_cndmask_b32_e32 v42, 0, v42, vcc_lo
	v_cmp_ngt_f32_e32 vcc_lo, 0xc2ce8ed0, v25
	v_sub_f32_e32 v44, v44, v73
	v_cvt_i32_f32_e32 v73, v73
	s_wait_alu 0xfffd
	s_delay_alu instid0(VALU_DEP_2) | instskip(SKIP_1) | instid1(VALU_DEP_2)
	v_dual_cndmask_b32 v43, 0, v43 :: v_dual_add_f32 v44, v44, v72
	v_cmp_ngt_f32_e32 vcc_lo, 0xc2ce8ed0, v38
	v_exp_f32_e32 v44, v44
	s_delay_alu instid0(TRANS32_DEP_1) | instskip(SKIP_1) | instid1(VALU_DEP_1)
	v_ldexp_f32 v44, v44, v73
	s_wait_alu 0xfffd
	v_cndmask_b32_e32 v44, 0, v44, vcc_lo
	v_cmp_ngt_f32_e32 vcc_lo, 0xc2ce8ed0, v26
	s_wait_alu 0xfffd
	v_dual_fmac_f32 v76, 0x32a5705f, v39 :: v_dual_cndmask_b32 v45, 0, v45
	s_delay_alu instid0(VALU_DEP_1) | instskip(SKIP_1) | instid1(VALU_DEP_2)
	v_add_f32_e32 v46, v46, v76
	v_cmp_ngt_f32_e32 vcc_lo, 0xc2ce8ed0, v39
	v_exp_f32_e32 v46, v46
	s_delay_alu instid0(TRANS32_DEP_1) | instskip(SKIP_1) | instid1(VALU_DEP_1)
	v_ldexp_f32 v46, v46, v77
	s_wait_alu 0xfffd
	v_cndmask_b32_e32 v46, 0, v46, vcc_lo
	v_cmp_ngt_f32_e32 vcc_lo, 0xc2ce8ed0, v27
	s_wait_alu 0xfffd
	v_cndmask_b32_e32 v47, 0, v47, vcc_lo
	v_cmp_nlt_f32_e32 vcc_lo, 0x42b17218, v28
	s_wait_alu 0xfffd
	v_cndmask_b32_e32 v28, 0x7f800000, v16, vcc_lo
	v_cmp_nlt_f32_e32 vcc_lo, 0x42b17218, v29
	;; [unrolled: 3-line block ×5, first 2 shown]
	s_wait_alu 0xfffd
	s_delay_alu instid0(VALU_DEP_2)
	v_dual_fmac_f32 v17, v9, v29 :: v_dual_cndmask_b32 v30, 0x7f800000, v20
	v_cmp_nlt_f32_e32 vcc_lo, 0x42b17218, v33
	v_cvt_f16_f32_e32 v9, v29
	s_wait_alu 0xfffd
	v_cndmask_b32_e32 v18, 0x7f800000, v21, vcc_lo
	v_cmp_nlt_f32_e32 vcc_lo, 0x42b17218, v34
	s_delay_alu instid0(VALU_DEP_2)
	v_fmac_f32_e32 v18, v10, v30
	s_wait_alu 0xfffd
	v_cndmask_b32_e32 v31, 0x7f800000, v22, vcc_lo
	v_cmp_nlt_f32_e32 vcc_lo, 0x42b17218, v35
	v_cvt_f16_f32_e32 v10, v30
	s_wait_alu 0xfffd
	v_cndmask_b32_e32 v19, 0x7f800000, v23, vcc_lo
	v_cmp_nlt_f32_e32 vcc_lo, 0x42b17218, v36
	s_wait_alu 0xfffd
	s_delay_alu instid0(VALU_DEP_2)
	v_dual_fmac_f32 v19, v11, v31 :: v_dual_cndmask_b32 v32, 0x7f800000, v40
	v_cmp_nlt_f32_e32 vcc_lo, 0x42b17218, v24
	v_cvt_f16_f32_e32 v11, v31
	s_wait_alu 0xfffd
	v_cndmask_b32_e32 v20, 0x7f800000, v41, vcc_lo
	v_cmp_nlt_f32_e32 vcc_lo, 0x42b17218, v37
	s_delay_alu instid0(VALU_DEP_2)
	v_fmac_f32_e32 v20, v12, v32
	s_wait_alu 0xfffd
	v_cndmask_b32_e32 v24, 0x7f800000, v42, vcc_lo
	v_cmp_nlt_f32_e32 vcc_lo, 0x42b17218, v25
	v_cvt_f16_f32_e32 v12, v32
	s_wait_alu 0xfffd
	v_cndmask_b32_e32 v21, 0x7f800000, v43, vcc_lo
	v_cmp_nlt_f32_e32 vcc_lo, 0x42b17218, v38
	s_delay_alu instid0(VALU_DEP_2)
	v_fmac_f32_e32 v21, v13, v24
	s_wait_alu 0xfffd
	v_cndmask_b32_e32 v25, 0x7f800000, v44, vcc_lo
	v_cmp_nlt_f32_e32 vcc_lo, 0x42b17218, v26
	v_cvt_f16_f32_e32 v13, v24
	s_wait_alu 0xfffd
	v_cndmask_b32_e32 v22, 0x7f800000, v45, vcc_lo
	v_cmp_nlt_f32_e32 vcc_lo, 0x42b17218, v39
	s_delay_alu instid0(VALU_DEP_3) | instskip(NEXT) | instid1(VALU_DEP_3)
	v_and_b32_e32 v29, 0xffff, v13
	v_dual_mov_b32 v13, v21 :: v_dual_fmac_f32 v22, v14, v25
	s_wait_alu 0xfffd
	v_cndmask_b32_e32 v26, 0x7f800000, v46, vcc_lo
	v_cmp_nlt_f32_e32 vcc_lo, 0x42b17218, v27
	v_cvt_f16_f32_e32 v14, v25
	v_and_b32_e32 v25, 0xffff, v9
	v_and_b32_e32 v27, 0xffff, v11
	v_mul_u32_u24_e32 v29, 0x10001, v29
	s_wait_alu 0xfffd
	v_cndmask_b32_e32 v23, 0x7f800000, v47, vcc_lo
	v_and_b32_e32 v30, 0xffff, v14
	v_mul_u32_u24_e32 v25, 0x10001, v25
	v_mul_u32_u24_e32 v27, 0x10001, v27
	v_mov_b32_e32 v9, v17
	v_fmac_f32_e32 v23, v15, v26
	v_cvt_f16_f32_e32 v15, v26
	v_and_b32_e32 v26, 0xffff, v10
	v_mul_u32_u24_e32 v30, 0x10001, v30
	v_dual_mov_b32 v10, v18 :: v_dual_mov_b32 v11, v19
	s_delay_alu instid0(VALU_DEP_4) | instskip(NEXT) | instid1(VALU_DEP_4)
	v_and_b32_e32 v15, 0xffff, v15
	v_mul_u32_u24_e32 v26, 0x10001, v26
	v_mov_b32_e32 v14, v22
	v_pk_mul_f16 v147, v147, v25
	v_pk_mul_f16 v148, v148, v25
	v_mul_u32_u24_e32 v15, 0x10001, v15
	v_pk_mul_f16 v145, v145, v26
	v_pk_mul_f16 v146, v146, v26
	;; [unrolled: 1-line block ×6, first 2 shown]
	v_dual_mov_b32 v15, v23 :: v_dual_fmac_f32 v16, v8, v28
	v_cvt_f16_f32_e32 v8, v28
	v_and_b32_e32 v28, 0xffff, v12
	v_mov_b32_e32 v12, v20
	v_pk_mul_f16 v126, v126, v29
	v_pk_mul_f16 v127, v127, v29
	v_and_b32_e32 v24, 0xffff, v8
	v_mul_u32_u24_e32 v28, 0x10001, v28
	v_mov_b32_e32 v8, v16
	v_pk_mul_f16 v123, v123, v30
	v_pk_mul_f16 v125, v125, v30
	v_mul_u32_u24_e32 v24, 0x10001, v24
	v_pk_mul_f16 v128, v128, v28
	v_pk_mul_f16 v130, v130, v28
	s_delay_alu instid0(VALU_DEP_3)
	v_pk_mul_f16 v149, v149, v24
	v_pk_mul_f16 v150, v150, v24
	s_branch .LBB17_41
.LBB17_40:
	s_delay_alu instid0(VALU_DEP_1)
	v_dual_mov_b32 v23, v15 :: v_dual_mov_b32 v22, v14
	v_dual_mov_b32 v21, v13 :: v_dual_mov_b32 v20, v12
	;; [unrolled: 1-line block ×4, first 2 shown]
.LBB17_41:
	v_lshlrev_b32_e32 v24, 1, v118
	s_mov_b32 s3, exec_lo
	s_delay_alu instid0(VALU_DEP_1) | instskip(NEXT) | instid1(VALU_DEP_1)
	v_add_nc_u32_e32 v25, s33, v24
	v_cmpx_gt_i32_e64 s38, v25
	s_cbranch_execz .LBB17_94
; %bb.42:
	s_load_b32 s1, s[0:1], 0xd4
	v_mov_b32_e32 v27, 1.0
	s_wait_kmcnt 0x0
	s_cmp_lg_u32 s1, 1
	s_cselect_b32 s4, -1, 0
	s_cmp_eq_u32 s1, 1
	s_cselect_b32 s0, -1, 0
	s_wait_alu 0xfffe
	s_and_b32 vcc_lo, exec_lo, s4
	s_wait_alu 0xfffe
	s_cbranch_vccnz .LBB17_44
; %bb.43:
	v_div_scale_f32 v25, null, v8, v8, 1.0
	s_delay_alu instid0(VALU_DEP_1) | instskip(NEXT) | instid1(TRANS32_DEP_1)
	v_rcp_f32_e32 v26, v25
	v_fma_f32 v27, -v25, v26, 1.0
	s_delay_alu instid0(VALU_DEP_1) | instskip(SKIP_1) | instid1(VALU_DEP_1)
	v_fmac_f32_e32 v26, v27, v26
	v_div_scale_f32 v27, vcc_lo, 1.0, v8, 1.0
	v_mul_f32_e32 v28, v27, v26
	s_delay_alu instid0(VALU_DEP_1) | instskip(NEXT) | instid1(VALU_DEP_1)
	v_fma_f32 v29, -v25, v28, v27
	v_fmac_f32_e32 v28, v29, v26
	s_delay_alu instid0(VALU_DEP_1) | instskip(SKIP_1) | instid1(VALU_DEP_1)
	v_fma_f32 v25, -v25, v28, v27
	s_wait_alu 0xfffd
	v_div_fmas_f32 v25, v25, v26, v28
	s_delay_alu instid0(VALU_DEP_1)
	v_div_fixup_f32 v27, v25, v8, 1.0
.LBB17_44:
	s_mul_i32 s3, s40, s38
	s_wait_alu 0xfffe
	s_add_co_i32 s3, s3, s33
	s_wait_alu 0xfffe
	v_add_nc_u32_e32 v8, s3, v24
	s_delay_alu instid0(VALU_DEP_1) | instskip(NEXT) | instid1(VALU_DEP_1)
	v_mul_lo_u32 v26, v8, s39
	v_add_nc_u32_e32 v8, s34, v26
	s_delay_alu instid0(VALU_DEP_1)
	v_mad_co_u64_u32 v[24:25], null, s1, v8, s[26:27]
	s_and_saveexec_b32 s5, s2
	s_cbranch_execz .LBB17_46
; %bb.45:
	v_lshrrev_b32_e32 v8, 16, v150
	v_mad_co_u64_u32 v[28:29], null, 0x60, v24, v[104:105]
	v_lshrrev_b32_e32 v25, 16, v149
	v_cvt_f32_f16_e64 v33, v150
	s_delay_alu instid0(VALU_DEP_4) | instskip(SKIP_3) | instid1(VALU_DEP_4)
	v_cvt_f32_f16_e32 v8, v8
	v_mov_b32_e32 v29, 0
	v_cvt_f32_f16_e64 v34, v149
	v_cvt_f32_f16_e32 v25, v25
	v_mul_f32_e32 v30, v27, v8
	s_delay_alu instid0(VALU_DEP_4) | instskip(NEXT) | instid1(VALU_DEP_1)
	v_lshlrev_b64_e32 v[28:29], 2, v[28:29]
	v_add_co_u32 v31, vcc_lo, s28, v28
	s_wait_alu 0xfffd
	s_delay_alu instid0(VALU_DEP_2)
	v_add_co_ci_u32_e64 v32, null, s29, v29, vcc_lo
	v_mul_f32_e32 v29, v27, v33
	v_mul_f32_e32 v28, v27, v25
	;; [unrolled: 1-line block ×3, first 2 shown]
	global_store_b128 v[31:32], v[27:30], off
.LBB17_46:
	s_wait_alu 0xfffe
	s_or_b32 exec_lo, exec_lo, s5
	v_cmp_eq_u32_e32 vcc_lo, 0, v117
	s_and_b32 s5, vcc_lo, s4
	s_wait_alu 0xfffe
	s_and_saveexec_b32 s4, s5
	s_cbranch_execz .LBB17_48
; %bb.47:
	v_ashrrev_i32_e32 v25, 31, v24
	v_dual_mov_b32 v27, v0 :: v_dual_mov_b32 v28, v16
	s_delay_alu instid0(VALU_DEP_2) | instskip(NEXT) | instid1(VALU_DEP_1)
	v_lshlrev_b64_e32 v[24:25], 3, v[24:25]
	v_add_co_u32 v24, vcc_lo, s30, v24
	s_wait_alu 0xfffd
	s_delay_alu instid0(VALU_DEP_2)
	v_add_co_ci_u32_e64 v25, null, s31, v25, vcc_lo
	global_store_b64 v[24:25], v[27:28], off
.LBB17_48:
	s_wait_alu 0xfffe
	s_or_b32 exec_lo, exec_lo, s4
	v_cndmask_b32_e64 v24, 0, 1, s0
	v_mov_b32_e32 v0, 1.0
	s_and_not1_b32 vcc_lo, exec_lo, s0
	s_wait_alu 0xfffe
	s_cbranch_vccnz .LBB17_50
; %bb.49:
	v_div_scale_f32 v0, null, v9, v9, 1.0
	s_delay_alu instid0(VALU_DEP_1) | instskip(NEXT) | instid1(TRANS32_DEP_1)
	v_rcp_f32_e32 v8, v0
	v_fma_f32 v16, -v0, v8, 1.0
	s_delay_alu instid0(VALU_DEP_1) | instskip(SKIP_1) | instid1(VALU_DEP_1)
	v_fmac_f32_e32 v8, v16, v8
	v_div_scale_f32 v16, vcc_lo, 1.0, v9, 1.0
	v_mul_f32_e32 v25, v16, v8
	s_delay_alu instid0(VALU_DEP_1) | instskip(NEXT) | instid1(VALU_DEP_1)
	v_fma_f32 v27, -v0, v25, v16
	v_fmac_f32_e32 v25, v27, v8
	s_delay_alu instid0(VALU_DEP_1) | instskip(SKIP_1) | instid1(VALU_DEP_1)
	v_fma_f32 v0, -v0, v25, v16
	s_wait_alu 0xfffd
	v_div_fmas_f32 v0, v0, v8, v25
	s_delay_alu instid0(VALU_DEP_1)
	v_div_fixup_f32 v0, v0, v9, 1.0
.LBB17_50:
	s_add_co_i32 s6, s34, 1
	s_wait_alu 0xfffe
	v_add_nc_u32_e32 v8, s6, v26
	s_delay_alu instid0(VALU_DEP_1)
	v_mad_co_u64_u32 v[8:9], null, s1, v8, s[26:27]
	s_and_saveexec_b32 s0, s2
	s_cbranch_execz .LBB17_52
; %bb.51:
	v_mad_co_u64_u32 v[27:28], null, 0x60, v8, v[104:105]
	v_cvt_f32_f16_e64 v25, v148
	v_mov_b32_e32 v28, 0
	v_lshrrev_b32_e32 v9, 16, v148
	v_lshrrev_b32_e32 v16, 16, v147
	v_cvt_f32_f16_e64 v33, v147
	v_mul_f32_e32 v29, v0, v25
	v_lshlrev_b64_e32 v[27:28], 2, v[27:28]
	v_cvt_f32_f16_e32 v9, v9
	v_cvt_f32_f16_e32 v16, v16
	s_delay_alu instid0(VALU_DEP_2) | instskip(NEXT) | instid1(VALU_DEP_4)
	v_mul_f32_e32 v30, v0, v9
	v_add_co_u32 v31, vcc_lo, s28, v27
	s_wait_alu 0xfffd
	v_add_co_ci_u32_e64 v32, null, s29, v28, vcc_lo
	v_mul_f32_e32 v28, v0, v16
	v_mul_f32_e32 v27, v0, v33
	global_store_b128 v[31:32], v[27:30], off
.LBB17_52:
	s_wait_alu 0xfffe
	s_or_b32 exec_lo, exec_lo, s0
	s_and_saveexec_b32 s0, s5
	s_cbranch_execz .LBB17_54
; %bb.53:
	v_ashrrev_i32_e32 v9, 31, v8
	v_mov_b32_e32 v16, v1
	s_delay_alu instid0(VALU_DEP_2) | instskip(NEXT) | instid1(VALU_DEP_1)
	v_lshlrev_b64_e32 v[8:9], 3, v[8:9]
	v_add_co_u32 v8, vcc_lo, s30, v8
	s_wait_alu 0xfffd
	s_delay_alu instid0(VALU_DEP_2)
	v_add_co_ci_u32_e64 v9, null, s31, v9, vcc_lo
	global_store_b64 v[8:9], v[16:17], off
.LBB17_54:
	s_wait_alu 0xfffe
	s_or_b32 exec_lo, exec_lo, s0
	v_cmp_ne_u32_e32 vcc_lo, 1, v24
	v_mov_b32_e32 v8, 1.0
	s_cbranch_vccnz .LBB17_56
; %bb.55:
	v_div_scale_f32 v0, null, v10, v10, 1.0
	s_delay_alu instid0(VALU_DEP_1) | instskip(NEXT) | instid1(TRANS32_DEP_1)
	v_rcp_f32_e32 v1, v0
	v_fma_f32 v8, -v0, v1, 1.0
	s_delay_alu instid0(VALU_DEP_1) | instskip(SKIP_1) | instid1(VALU_DEP_1)
	v_fmac_f32_e32 v1, v8, v1
	v_div_scale_f32 v8, vcc_lo, 1.0, v10, 1.0
	v_mul_f32_e32 v9, v8, v1
	s_delay_alu instid0(VALU_DEP_1) | instskip(NEXT) | instid1(VALU_DEP_1)
	v_fma_f32 v16, -v0, v9, v8
	v_fmac_f32_e32 v9, v16, v1
	s_delay_alu instid0(VALU_DEP_1) | instskip(SKIP_1) | instid1(VALU_DEP_1)
	v_fma_f32 v0, -v0, v9, v8
	s_wait_alu 0xfffd
	v_div_fmas_f32 v0, v0, v1, v9
	s_delay_alu instid0(VALU_DEP_1)
	v_div_fixup_f32 v8, v0, v10, 1.0
.LBB17_56:
	s_add_co_i32 s4, s34, 2
	s_wait_alu 0xfffe
	v_add_nc_u32_e32 v0, s4, v26
	s_delay_alu instid0(VALU_DEP_1)
	v_mad_co_u64_u32 v[0:1], null, s1, v0, s[26:27]
	s_and_saveexec_b32 s0, s2
	s_cbranch_execz .LBB17_58
; %bb.57:
	v_mad_co_u64_u32 v[9:10], null, 0x60, v0, v[104:105]
	v_cvt_f32_f16_e64 v17, v146
	v_mov_b32_e32 v10, 0
	v_lshrrev_b32_e32 v1, 16, v146
	v_lshrrev_b32_e32 v16, 16, v145
	v_cvt_f32_f16_e64 v25, v145
	v_mul_f32_e32 v29, v8, v17
	v_lshlrev_b64_e32 v[9:10], 2, v[9:10]
	v_cvt_f32_f16_e32 v1, v1
	v_cvt_f32_f16_e32 v16, v16
	v_mul_f32_e32 v27, v8, v25
	s_delay_alu instid0(VALU_DEP_3)
	v_mul_f32_e32 v30, v8, v1
	v_add_co_u32 v9, vcc_lo, s28, v9
	s_wait_alu 0xfffd
	v_add_co_ci_u32_e64 v10, null, s29, v10, vcc_lo
	v_mul_f32_e32 v28, v8, v16
	global_store_b128 v[9:10], v[27:30], off
.LBB17_58:
	s_wait_alu 0xfffe
	s_or_b32 exec_lo, exec_lo, s0
	s_and_saveexec_b32 s0, s5
	s_cbranch_execz .LBB17_60
; %bb.59:
	v_ashrrev_i32_e32 v1, 31, v0
	v_mov_b32_e32 v17, v2
	s_delay_alu instid0(VALU_DEP_2) | instskip(NEXT) | instid1(VALU_DEP_1)
	v_lshlrev_b64_e32 v[0:1], 3, v[0:1]
	v_add_co_u32 v0, vcc_lo, s30, v0
	s_wait_alu 0xfffd
	s_delay_alu instid0(VALU_DEP_2)
	v_add_co_ci_u32_e64 v1, null, s31, v1, vcc_lo
	global_store_b64 v[0:1], v[17:18], off
.LBB17_60:
	s_wait_alu 0xfffe
	s_or_b32 exec_lo, exec_lo, s0
	v_cmp_ne_u32_e32 vcc_lo, 1, v24
	v_mov_b32_e32 v2, 1.0
	s_cbranch_vccnz .LBB17_62
; %bb.61:
	v_div_scale_f32 v0, null, v11, v11, 1.0
	s_delay_alu instid0(VALU_DEP_1) | instskip(NEXT) | instid1(TRANS32_DEP_1)
	v_rcp_f32_e32 v1, v0
	v_fma_f32 v2, -v0, v1, 1.0
	s_delay_alu instid0(VALU_DEP_1) | instskip(SKIP_1) | instid1(VALU_DEP_1)
	v_fmac_f32_e32 v1, v2, v1
	v_div_scale_f32 v2, vcc_lo, 1.0, v11, 1.0
	v_mul_f32_e32 v8, v2, v1
	s_delay_alu instid0(VALU_DEP_1) | instskip(NEXT) | instid1(VALU_DEP_1)
	v_fma_f32 v9, -v0, v8, v2
	v_fmac_f32_e32 v8, v9, v1
	s_delay_alu instid0(VALU_DEP_1) | instskip(SKIP_1) | instid1(VALU_DEP_1)
	v_fma_f32 v0, -v0, v8, v2
	s_wait_alu 0xfffd
	v_div_fmas_f32 v0, v0, v1, v8
	s_delay_alu instid0(VALU_DEP_1)
	v_div_fixup_f32 v2, v0, v11, 1.0
.LBB17_62:
	s_add_co_i32 s0, s34, 3
	s_wait_alu 0xfffe
	v_add_nc_u32_e32 v0, s0, v26
	s_delay_alu instid0(VALU_DEP_1)
	v_mad_co_u64_u32 v[0:1], null, s1, v0, s[26:27]
	s_and_saveexec_b32 s7, s2
	s_cbranch_execz .LBB17_64
; %bb.63:
	v_mad_co_u64_u32 v[8:9], null, 0x60, v0, v[104:105]
	v_lshrrev_b32_e32 v10, 16, v143
	v_cvt_f32_f16_e64 v18, v144
	v_mov_b32_e32 v9, 0
	v_lshrrev_b32_e32 v1, 16, v144
	v_cvt_f32_f16_e64 v25, v143
	v_cvt_f32_f16_e32 v26, v10
	v_mul_f32_e32 v10, v2, v18
	v_lshlrev_b64_e32 v[8:9], 2, v[8:9]
	v_cvt_f32_f16_e32 v1, v1
	s_delay_alu instid0(VALU_DEP_1) | instskip(NEXT) | instid1(VALU_DEP_3)
	v_mul_f32_e32 v11, v2, v1
	v_add_co_u32 v16, vcc_lo, s28, v8
	s_wait_alu 0xfffd
	s_delay_alu instid0(VALU_DEP_4)
	v_add_co_ci_u32_e64 v17, null, s29, v9, vcc_lo
	v_mul_f32_e32 v9, v2, v26
	v_mul_f32_e32 v8, v2, v25
	global_store_b128 v[16:17], v[8:11], off
.LBB17_64:
	s_wait_alu 0xfffe
	s_or_b32 exec_lo, exec_lo, s7
	s_and_saveexec_b32 s7, s5
	s_cbranch_execz .LBB17_66
; %bb.65:
	v_ashrrev_i32_e32 v1, 31, v0
	v_mov_b32_e32 v18, v3
	s_delay_alu instid0(VALU_DEP_2) | instskip(NEXT) | instid1(VALU_DEP_1)
	v_lshlrev_b64_e32 v[0:1], 3, v[0:1]
	v_add_co_u32 v0, vcc_lo, s30, v0
	s_wait_alu 0xfffd
	s_delay_alu instid0(VALU_DEP_2)
	v_add_co_ci_u32_e64 v1, null, s31, v1, vcc_lo
	global_store_b64 v[0:1], v[18:19], off
.LBB17_66:
	s_wait_alu 0xfffe
	s_or_b32 exec_lo, exec_lo, s7
	v_add_nc_u32_e32 v0, s33, v116
	s_delay_alu instid0(VALU_DEP_1)
	v_cmp_gt_i32_e32 vcc_lo, s38, v0
	s_and_b32 exec_lo, exec_lo, vcc_lo
	s_cbranch_execz .LBB17_94
; %bb.67:
	v_cmp_ne_u32_e32 vcc_lo, 1, v24
	v_mov_b32_e32 v2, 1.0
	s_cbranch_vccnz .LBB17_69
; %bb.68:
	v_div_scale_f32 v0, null, v12, v12, 1.0
	s_delay_alu instid0(VALU_DEP_1) | instskip(NEXT) | instid1(TRANS32_DEP_1)
	v_rcp_f32_e32 v1, v0
	v_fma_f32 v2, -v0, v1, 1.0
	s_delay_alu instid0(VALU_DEP_1) | instskip(SKIP_1) | instid1(VALU_DEP_1)
	v_fmac_f32_e32 v1, v2, v1
	v_div_scale_f32 v2, vcc_lo, 1.0, v12, 1.0
	v_mul_f32_e32 v3, v2, v1
	s_delay_alu instid0(VALU_DEP_1) | instskip(NEXT) | instid1(VALU_DEP_1)
	v_fma_f32 v8, -v0, v3, v2
	v_fmac_f32_e32 v3, v8, v1
	s_delay_alu instid0(VALU_DEP_1) | instskip(SKIP_1) | instid1(VALU_DEP_1)
	v_fma_f32 v0, -v0, v3, v2
	s_wait_alu 0xfffd
	v_div_fmas_f32 v0, v0, v1, v3
	s_delay_alu instid0(VALU_DEP_1)
	v_div_fixup_f32 v2, v0, v12, 1.0
.LBB17_69:
	v_add_nc_u32_e32 v0, s3, v116
	s_delay_alu instid0(VALU_DEP_1) | instskip(NEXT) | instid1(VALU_DEP_1)
	v_mad_co_u64_u32 v[0:1], null, v0, s39, s[34:35]
	v_mad_co_u64_u32 v[0:1], null, s1, v0, s[26:27]
	s_and_saveexec_b32 s7, s2
	s_cbranch_execz .LBB17_71
; %bb.70:
	v_mad_co_u64_u32 v[8:9], null, 0x60, v0, v[104:105]
	v_cvt_f32_f16_e64 v10, v130
	v_mov_b32_e32 v9, 0
	v_lshrrev_b32_e32 v1, 16, v130
	v_lshrrev_b32_e32 v3, 16, v128
	v_cvt_f32_f16_e64 v12, v128
	v_mul_f32_e32 v10, v2, v10
	v_lshlrev_b64_e32 v[8:9], 2, v[8:9]
	v_cvt_f32_f16_e32 v1, v1
	v_cvt_f32_f16_e32 v3, v3
	s_delay_alu instid0(VALU_DEP_2) | instskip(NEXT) | instid1(VALU_DEP_4)
	v_mul_f32_e32 v11, v2, v1
	v_add_co_u32 v16, vcc_lo, s28, v8
	s_wait_alu 0xfffd
	v_add_co_ci_u32_e64 v17, null, s29, v9, vcc_lo
	v_mul_f32_e32 v9, v2, v3
	v_mul_f32_e32 v8, v2, v12
	global_store_b128 v[16:17], v[8:11], off
.LBB17_71:
	s_wait_alu 0xfffe
	s_or_b32 exec_lo, exec_lo, s7
	s_and_saveexec_b32 s7, s5
	s_cbranch_execz .LBB17_73
; %bb.72:
	v_ashrrev_i32_e32 v1, 31, v0
	v_mov_b32_e32 v19, v4
	s_delay_alu instid0(VALU_DEP_2) | instskip(NEXT) | instid1(VALU_DEP_1)
	v_lshlrev_b64_e32 v[0:1], 3, v[0:1]
	v_add_co_u32 v0, vcc_lo, s30, v0
	s_wait_alu 0xfffd
	s_delay_alu instid0(VALU_DEP_2)
	v_add_co_ci_u32_e64 v1, null, s31, v1, vcc_lo
	global_store_b64 v[0:1], v[19:20], off
.LBB17_73:
	s_wait_alu 0xfffe
	s_or_b32 exec_lo, exec_lo, s7
	v_lshrrev_b32_e32 v0, 2, v115
	s_delay_alu instid0(VALU_DEP_1) | instskip(NEXT) | instid1(VALU_DEP_1)
	v_add_nc_u32_e32 v1, s33, v0
	v_cmp_gt_i32_e32 vcc_lo, s38, v1
	s_and_b32 exec_lo, exec_lo, vcc_lo
	s_cbranch_execz .LBB17_94
; %bb.74:
	v_cmp_ne_u32_e32 vcc_lo, 1, v24
	v_mov_b32_e32 v2, 1.0
	s_cbranch_vccnz .LBB17_76
; %bb.75:
	v_div_scale_f32 v1, null, v13, v13, 1.0
	s_delay_alu instid0(VALU_DEP_1) | instskip(NEXT) | instid1(TRANS32_DEP_1)
	v_rcp_f32_e32 v2, v1
	v_fma_f32 v3, -v1, v2, 1.0
	s_delay_alu instid0(VALU_DEP_1) | instskip(SKIP_1) | instid1(VALU_DEP_1)
	v_fmac_f32_e32 v2, v3, v2
	v_div_scale_f32 v3, vcc_lo, 1.0, v13, 1.0
	v_mul_f32_e32 v4, v3, v2
	s_delay_alu instid0(VALU_DEP_1) | instskip(NEXT) | instid1(VALU_DEP_1)
	v_fma_f32 v8, -v1, v4, v3
	v_fmac_f32_e32 v4, v8, v2
	s_delay_alu instid0(VALU_DEP_1) | instskip(SKIP_1) | instid1(VALU_DEP_1)
	v_fma_f32 v1, -v1, v4, v3
	s_wait_alu 0xfffd
	v_div_fmas_f32 v1, v1, v2, v4
	s_delay_alu instid0(VALU_DEP_1)
	v_div_fixup_f32 v2, v1, v13, 1.0
.LBB17_76:
	v_add_nc_u32_e32 v0, s3, v0
	s_delay_alu instid0(VALU_DEP_1) | instskip(NEXT) | instid1(VALU_DEP_1)
	v_mad_co_u64_u32 v[0:1], null, v0, s39, s[6:7]
	v_mad_co_u64_u32 v[0:1], null, s1, v0, s[26:27]
	s_and_saveexec_b32 s6, s2
	s_cbranch_execz .LBB17_78
; %bb.77:
	v_lshrrev_b32_e32 v1, 16, v127
	v_mad_co_u64_u32 v[3:4], null, 0x60, v0, v[104:105]
	v_lshrrev_b32_e32 v8, 16, v126
	v_cvt_f32_f16_e32 v9, v127
	s_delay_alu instid0(VALU_DEP_4)
	v_cvt_f32_f16_e32 v1, v1
	v_mov_b32_e32 v4, 0
	v_cvt_f32_f16_e32 v12, v126
	v_cvt_f32_f16_e32 v8, v8
	v_mul_f32_e32 v10, v2, v9
	v_mul_f32_e32 v11, v2, v1
	v_lshlrev_b64_e32 v[3:4], 2, v[3:4]
	s_delay_alu instid0(VALU_DEP_4) | instskip(SKIP_1) | instid1(VALU_DEP_3)
	v_mul_f32_e32 v9, v2, v8
	v_mul_f32_e32 v8, v2, v12
	v_add_co_u32 v3, vcc_lo, s28, v3
	s_wait_alu 0xfffd
	s_delay_alu instid0(VALU_DEP_4)
	v_add_co_ci_u32_e64 v4, null, s29, v4, vcc_lo
	global_store_b128 v[3:4], v[8:11], off
.LBB17_78:
	s_wait_alu 0xfffe
	s_or_b32 exec_lo, exec_lo, s6
	s_and_saveexec_b32 s6, s5
	s_cbranch_execz .LBB17_80
; %bb.79:
	v_ashrrev_i32_e32 v1, 31, v0
	v_mov_b32_e32 v20, v5
	s_delay_alu instid0(VALU_DEP_2) | instskip(NEXT) | instid1(VALU_DEP_1)
	v_lshlrev_b64_e32 v[0:1], 3, v[0:1]
	v_add_co_u32 v0, vcc_lo, s30, v0
	s_wait_alu 0xfffd
	s_delay_alu instid0(VALU_DEP_2)
	v_add_co_ci_u32_e64 v1, null, s31, v1, vcc_lo
	global_store_b64 v[0:1], v[20:21], off
.LBB17_80:
	s_wait_alu 0xfffe
	s_or_b32 exec_lo, exec_lo, s6
	v_lshrrev_b32_e32 v0, 2, v114
	s_delay_alu instid0(VALU_DEP_1) | instskip(NEXT) | instid1(VALU_DEP_1)
	v_add_nc_u32_e32 v1, s33, v0
	v_cmp_gt_i32_e32 vcc_lo, s38, v1
	s_and_b32 exec_lo, exec_lo, vcc_lo
	s_cbranch_execz .LBB17_94
; %bb.81:
	v_cmp_ne_u32_e32 vcc_lo, 1, v24
	v_mov_b32_e32 v2, 1.0
	s_cbranch_vccnz .LBB17_83
; %bb.82:
	v_div_scale_f32 v1, null, v14, v14, 1.0
	s_delay_alu instid0(VALU_DEP_1) | instskip(NEXT) | instid1(TRANS32_DEP_1)
	v_rcp_f32_e32 v2, v1
	v_fma_f32 v3, -v1, v2, 1.0
	s_delay_alu instid0(VALU_DEP_1) | instskip(SKIP_1) | instid1(VALU_DEP_1)
	v_fmac_f32_e32 v2, v3, v2
	v_div_scale_f32 v3, vcc_lo, 1.0, v14, 1.0
	v_mul_f32_e32 v4, v3, v2
	s_delay_alu instid0(VALU_DEP_1) | instskip(NEXT) | instid1(VALU_DEP_1)
	v_fma_f32 v5, -v1, v4, v3
	v_fmac_f32_e32 v4, v5, v2
	s_delay_alu instid0(VALU_DEP_1) | instskip(SKIP_1) | instid1(VALU_DEP_1)
	v_fma_f32 v1, -v1, v4, v3
	s_wait_alu 0xfffd
	v_div_fmas_f32 v1, v1, v2, v4
	s_delay_alu instid0(VALU_DEP_1)
	v_div_fixup_f32 v2, v1, v14, 1.0
.LBB17_83:
	v_add_nc_u32_e32 v0, s3, v0
	s_delay_alu instid0(VALU_DEP_1) | instskip(NEXT) | instid1(VALU_DEP_1)
	v_mad_co_u64_u32 v[0:1], null, v0, s39, s[4:5]
	v_mad_co_u64_u32 v[0:1], null, s1, v0, s[26:27]
	s_and_saveexec_b32 s4, s2
	s_cbranch_execz .LBB17_85
; %bb.84:
	v_lshrrev_b32_e32 v1, 16, v125
	v_mad_co_u64_u32 v[3:4], null, 0x60, v0, v[104:105]
	v_lshrrev_b32_e32 v5, 16, v123
	v_cvt_f32_f16_e32 v10, v125
	s_delay_alu instid0(VALU_DEP_4) | instskip(SKIP_3) | instid1(VALU_DEP_4)
	v_cvt_f32_f16_e32 v1, v1
	v_mov_b32_e32 v4, 0
	v_cvt_f32_f16_e32 v11, v123
	v_cvt_f32_f16_e32 v12, v5
	v_mul_f32_e32 v5, v2, v1
	s_delay_alu instid0(VALU_DEP_4) | instskip(NEXT) | instid1(VALU_DEP_1)
	v_lshlrev_b64_e32 v[3:4], 2, v[3:4]
	v_add_co_u32 v8, vcc_lo, s28, v3
	s_wait_alu 0xfffd
	s_delay_alu instid0(VALU_DEP_2)
	v_add_co_ci_u32_e64 v9, null, s29, v4, vcc_lo
	v_mul_f32_e32 v4, v2, v10
	v_mul_f32_e32 v3, v2, v12
	;; [unrolled: 1-line block ×3, first 2 shown]
	global_store_b128 v[8:9], v[2:5], off
.LBB17_85:
	s_wait_alu 0xfffe
	s_or_b32 exec_lo, exec_lo, s4
	s_and_saveexec_b32 s4, s5
	s_cbranch_execz .LBB17_87
; %bb.86:
	v_ashrrev_i32_e32 v1, 31, v0
	v_mov_b32_e32 v21, v6
	s_delay_alu instid0(VALU_DEP_2) | instskip(NEXT) | instid1(VALU_DEP_1)
	v_lshlrev_b64_e32 v[0:1], 3, v[0:1]
	v_add_co_u32 v0, vcc_lo, s30, v0
	s_wait_alu 0xfffd
	s_delay_alu instid0(VALU_DEP_2)
	v_add_co_ci_u32_e64 v1, null, s31, v1, vcc_lo
	global_store_b64 v[0:1], v[21:22], off
.LBB17_87:
	s_wait_alu 0xfffe
	s_or_b32 exec_lo, exec_lo, s4
	v_lshrrev_b32_e32 v0, 2, v113
	s_delay_alu instid0(VALU_DEP_1) | instskip(NEXT) | instid1(VALU_DEP_1)
	v_add_nc_u32_e32 v1, s33, v0
	v_cmp_gt_i32_e32 vcc_lo, s38, v1
	s_and_b32 exec_lo, exec_lo, vcc_lo
	s_cbranch_execz .LBB17_94
; %bb.88:
	v_cmp_ne_u32_e32 vcc_lo, 1, v24
	v_mov_b32_e32 v2, 1.0
	s_cbranch_vccnz .LBB17_90
; %bb.89:
	v_div_scale_f32 v1, null, v15, v15, 1.0
	s_delay_alu instid0(VALU_DEP_1) | instskip(NEXT) | instid1(TRANS32_DEP_1)
	v_rcp_f32_e32 v2, v1
	v_fma_f32 v3, -v1, v2, 1.0
	s_delay_alu instid0(VALU_DEP_1) | instskip(SKIP_1) | instid1(VALU_DEP_1)
	v_fmac_f32_e32 v2, v3, v2
	v_div_scale_f32 v3, vcc_lo, 1.0, v15, 1.0
	v_mul_f32_e32 v4, v3, v2
	s_delay_alu instid0(VALU_DEP_1) | instskip(NEXT) | instid1(VALU_DEP_1)
	v_fma_f32 v5, -v1, v4, v3
	v_fmac_f32_e32 v4, v5, v2
	s_delay_alu instid0(VALU_DEP_1) | instskip(SKIP_1) | instid1(VALU_DEP_1)
	v_fma_f32 v1, -v1, v4, v3
	s_wait_alu 0xfffd
	v_div_fmas_f32 v1, v1, v2, v4
	s_delay_alu instid0(VALU_DEP_1)
	v_div_fixup_f32 v2, v1, v15, 1.0
.LBB17_90:
	v_add_nc_u32_e32 v0, s3, v0
	s_delay_alu instid0(VALU_DEP_1) | instskip(NEXT) | instid1(VALU_DEP_1)
	v_mad_co_u64_u32 v[0:1], null, v0, s39, s[0:1]
	v_mad_co_u64_u32 v[0:1], null, s1, v0, s[26:27]
	s_and_saveexec_b32 s0, s2
	s_cbranch_execz .LBB17_92
; %bb.91:
	v_lshrrev_b32_e32 v1, 16, v120
	v_mad_co_u64_u32 v[3:4], null, 0x60, v0, v[104:105]
	v_lshrrev_b32_e32 v5, 16, v121
	v_cvt_f32_f16_e32 v6, v120
	s_delay_alu instid0(VALU_DEP_4) | instskip(SKIP_3) | instid1(VALU_DEP_4)
	v_cvt_f32_f16_e32 v1, v1
	v_mov_b32_e32 v4, 0
	v_cvt_f32_f16_e32 v10, v121
	v_cvt_f32_f16_e32 v11, v5
	v_mul_f32_e32 v5, v2, v1
	s_delay_alu instid0(VALU_DEP_4) | instskip(NEXT) | instid1(VALU_DEP_1)
	v_lshlrev_b64_e32 v[3:4], 2, v[3:4]
	v_add_co_u32 v8, vcc_lo, s28, v3
	s_wait_alu 0xfffd
	s_delay_alu instid0(VALU_DEP_2)
	v_add_co_ci_u32_e64 v9, null, s29, v4, vcc_lo
	v_mul_f32_e32 v4, v2, v6
	v_mul_f32_e32 v3, v2, v11
	v_mul_f32_e32 v2, v2, v10
	global_store_b128 v[8:9], v[2:5], off
.LBB17_92:
	s_wait_alu 0xfffe
	s_or_b32 exec_lo, exec_lo, s0
	s_delay_alu instid0(SALU_CYCLE_1)
	s_and_b32 exec_lo, exec_lo, s5
	s_cbranch_execz .LBB17_94
; %bb.93:
	v_ashrrev_i32_e32 v1, 31, v0
	v_mov_b32_e32 v22, v7
	s_delay_alu instid0(VALU_DEP_2) | instskip(NEXT) | instid1(VALU_DEP_1)
	v_lshlrev_b64_e32 v[0:1], 3, v[0:1]
	v_add_co_u32 v0, vcc_lo, s30, v0
	s_wait_alu 0xfffd
	s_delay_alu instid0(VALU_DEP_2)
	v_add_co_ci_u32_e64 v1, null, s31, v1, vcc_lo
	global_store_b64 v[0:1], v[22:23], off
.LBB17_94:
	s_nop 0
	s_sendmsg sendmsg(MSG_DEALLOC_VGPRS)
	s_endpgm
	.section	.rodata,"a",@progbits
	.p2align	6, 0x0
	.amdhsa_kernel _ZL15flash_attn_tileILi96ELi96ELi16ELi4ELb0EEvPKcS1_S1_S1_S1_PKiPfP15HIP_vector_typeIfLj2EEffffjfiS5_IjLj3EEiiiiiiiiiiiliiliiiiil
		.amdhsa_group_segment_fixed_size 20096
		.amdhsa_private_segment_fixed_size 0
		.amdhsa_kernarg_size 464
		.amdhsa_user_sgpr_count 2
		.amdhsa_user_sgpr_dispatch_ptr 0
		.amdhsa_user_sgpr_queue_ptr 0
		.amdhsa_user_sgpr_kernarg_segment_ptr 1
		.amdhsa_user_sgpr_dispatch_id 0
		.amdhsa_user_sgpr_private_segment_size 0
		.amdhsa_wavefront_size32 1
		.amdhsa_uses_dynamic_stack 0
		.amdhsa_enable_private_segment 0
		.amdhsa_system_sgpr_workgroup_id_x 1
		.amdhsa_system_sgpr_workgroup_id_y 1
		.amdhsa_system_sgpr_workgroup_id_z 1
		.amdhsa_system_sgpr_workgroup_info 0
		.amdhsa_system_vgpr_workitem_id 1
		.amdhsa_next_free_vgpr 254
		.amdhsa_next_free_sgpr 58
		.amdhsa_reserve_vcc 1
		.amdhsa_float_round_mode_32 0
		.amdhsa_float_round_mode_16_64 0
		.amdhsa_float_denorm_mode_32 3
		.amdhsa_float_denorm_mode_16_64 3
		.amdhsa_fp16_overflow 0
		.amdhsa_workgroup_processor_mode 1
		.amdhsa_memory_ordered 1
		.amdhsa_forward_progress 1
		.amdhsa_inst_pref_size 182
		.amdhsa_round_robin_scheduling 0
		.amdhsa_exception_fp_ieee_invalid_op 0
		.amdhsa_exception_fp_denorm_src 0
		.amdhsa_exception_fp_ieee_div_zero 0
		.amdhsa_exception_fp_ieee_overflow 0
		.amdhsa_exception_fp_ieee_underflow 0
		.amdhsa_exception_fp_ieee_inexact 0
		.amdhsa_exception_int_div_zero 0
	.end_amdhsa_kernel
	.section	.text._ZL15flash_attn_tileILi96ELi96ELi16ELi4ELb0EEvPKcS1_S1_S1_S1_PKiPfP15HIP_vector_typeIfLj2EEffffjfiS5_IjLj3EEiiiiiiiiiiiliiliiiiil,"axG",@progbits,_ZL15flash_attn_tileILi96ELi96ELi16ELi4ELb0EEvPKcS1_S1_S1_S1_PKiPfP15HIP_vector_typeIfLj2EEffffjfiS5_IjLj3EEiiiiiiiiiiiliiliiiiil,comdat
.Lfunc_end17:
	.size	_ZL15flash_attn_tileILi96ELi96ELi16ELi4ELb0EEvPKcS1_S1_S1_S1_PKiPfP15HIP_vector_typeIfLj2EEffffjfiS5_IjLj3EEiiiiiiiiiiiliiliiiiil, .Lfunc_end17-_ZL15flash_attn_tileILi96ELi96ELi16ELi4ELb0EEvPKcS1_S1_S1_S1_PKiPfP15HIP_vector_typeIfLj2EEffffjfiS5_IjLj3EEiiiiiiiiiiiliiliiiiil
                                        ; -- End function
	.set _ZL15flash_attn_tileILi96ELi96ELi16ELi4ELb0EEvPKcS1_S1_S1_S1_PKiPfP15HIP_vector_typeIfLj2EEffffjfiS5_IjLj3EEiiiiiiiiiiiliiliiiiil.num_vgpr, 254
	.set _ZL15flash_attn_tileILi96ELi96ELi16ELi4ELb0EEvPKcS1_S1_S1_S1_PKiPfP15HIP_vector_typeIfLj2EEffffjfiS5_IjLj3EEiiiiiiiiiiiliiliiiiil.num_agpr, 0
	.set _ZL15flash_attn_tileILi96ELi96ELi16ELi4ELb0EEvPKcS1_S1_S1_S1_PKiPfP15HIP_vector_typeIfLj2EEffffjfiS5_IjLj3EEiiiiiiiiiiiliiliiiiil.numbered_sgpr, 58
	.set _ZL15flash_attn_tileILi96ELi96ELi16ELi4ELb0EEvPKcS1_S1_S1_S1_PKiPfP15HIP_vector_typeIfLj2EEffffjfiS5_IjLj3EEiiiiiiiiiiiliiliiiiil.num_named_barrier, 0
	.set _ZL15flash_attn_tileILi96ELi96ELi16ELi4ELb0EEvPKcS1_S1_S1_S1_PKiPfP15HIP_vector_typeIfLj2EEffffjfiS5_IjLj3EEiiiiiiiiiiiliiliiiiil.private_seg_size, 0
	.set _ZL15flash_attn_tileILi96ELi96ELi16ELi4ELb0EEvPKcS1_S1_S1_S1_PKiPfP15HIP_vector_typeIfLj2EEffffjfiS5_IjLj3EEiiiiiiiiiiiliiliiiiil.uses_vcc, 1
	.set _ZL15flash_attn_tileILi96ELi96ELi16ELi4ELb0EEvPKcS1_S1_S1_S1_PKiPfP15HIP_vector_typeIfLj2EEffffjfiS5_IjLj3EEiiiiiiiiiiiliiliiiiil.uses_flat_scratch, 0
	.set _ZL15flash_attn_tileILi96ELi96ELi16ELi4ELb0EEvPKcS1_S1_S1_S1_PKiPfP15HIP_vector_typeIfLj2EEffffjfiS5_IjLj3EEiiiiiiiiiiiliiliiiiil.has_dyn_sized_stack, 0
	.set _ZL15flash_attn_tileILi96ELi96ELi16ELi4ELb0EEvPKcS1_S1_S1_S1_PKiPfP15HIP_vector_typeIfLj2EEffffjfiS5_IjLj3EEiiiiiiiiiiiliiliiiiil.has_recursion, 0
	.set _ZL15flash_attn_tileILi96ELi96ELi16ELi4ELb0EEvPKcS1_S1_S1_S1_PKiPfP15HIP_vector_typeIfLj2EEffffjfiS5_IjLj3EEiiiiiiiiiiiliiliiiiil.has_indirect_call, 0
	.section	.AMDGPU.csdata,"",@progbits
; Kernel info:
; codeLenInByte = 23192
; TotalNumSgprs: 60
; NumVgprs: 254
; ScratchSize: 0
; MemoryBound: 0
; FloatMode: 240
; IeeeMode: 1
; LDSByteSize: 20096 bytes/workgroup (compile time only)
; SGPRBlocks: 0
; VGPRBlocks: 31
; NumSGPRsForWavesPerEU: 60
; NumVGPRsForWavesPerEU: 254
; Occupancy: 5
; WaveLimiterHint : 1
; COMPUTE_PGM_RSRC2:SCRATCH_EN: 0
; COMPUTE_PGM_RSRC2:USER_SGPR: 2
; COMPUTE_PGM_RSRC2:TRAP_HANDLER: 0
; COMPUTE_PGM_RSRC2:TGID_X_EN: 1
; COMPUTE_PGM_RSRC2:TGID_Y_EN: 1
; COMPUTE_PGM_RSRC2:TGID_Z_EN: 1
; COMPUTE_PGM_RSRC2:TIDIG_COMP_CNT: 1
	.section	.text._ZL25flash_attn_mask_to_KV_maxILi16EEvPK7__half2Piiii,"axG",@progbits,_ZL25flash_attn_mask_to_KV_maxILi16EEvPK7__half2Piiii,comdat
	.globl	_ZL25flash_attn_mask_to_KV_maxILi16EEvPK7__half2Piiii ; -- Begin function _ZL25flash_attn_mask_to_KV_maxILi16EEvPK7__half2Piiii
	.p2align	8
	.type	_ZL25flash_attn_mask_to_KV_maxILi16EEvPK7__half2Piiii,@function
_ZL25flash_attn_mask_to_KV_maxILi16EEvPK7__half2Piiii: ; @_ZL25flash_attn_mask_to_KV_maxILi16EEvPK7__half2Piiii
; %bb.0:
	s_load_b64 s[8:9], s[0:1], 0x0
	s_mov_b32 s2, exec_lo
	v_cmpx_gt_u32_e32 32, v0
; %bb.1:
	v_dual_mov_b32 v2, 1 :: v_dual_lshlrev_b32 v1, 2, v0
	ds_store_b32 v1, v2
; %bb.2:
	s_or_b32 exec_lo, exec_lo, s2
	s_clause 0x2
	s_load_b96 s[4:6], s[0:1], 0x10
	s_load_b64 s[2:3], s[0:1], 0x8
	s_load_b32 s1, s[0:1], 0x20
	v_dual_mov_b32 v2, 0 :: v_dual_and_b32 v1, 31, v0
	v_lshrrev_b32_e32 v5, 3, v0
	s_wait_dscnt 0x0
	s_barrier_signal -1
	s_delay_alu instid0(VALU_DEP_2)
	v_lshlrev_b32_e32 v6, 2, v1
	s_barrier_wait -1
	global_inv scope:SCOPE_SE
	s_wait_kmcnt 0x0
	s_mul_i32 s0, ttmp9, s5
	s_mul_i32 s6, s6, ttmp7
	s_lshl_b32 s0, s0, 4
	s_delay_alu instid0(SALU_CYCLE_1) | instskip(SKIP_2) | instid1(SALU_CYCLE_1)
	s_add_co_i32 s6, s6, s0
	v_cmp_eq_u32_e64 s0, 0, v1
	s_ashr_i32 s7, s6, 31
	s_lshl_b64 s[6:7], s[6:7], 2
	s_delay_alu instid0(SALU_CYCLE_1)
	s_add_nc_u64 s[6:7], s[8:9], s[6:7]
	s_lshl_b32 s8, s4, 8
	s_branch .LBB18_4
.LBB18_3:                               ;   in Loop: Header=BB18_4 Depth=1
	s_wait_alu 0xfffe
	s_or_b32 exec_lo, exec_lo, s9
	s_wait_dscnt 0x0
	s_barrier_signal -1
	s_barrier_wait -1
	global_inv scope:SCOPE_SE
	ds_load_b32 v1, v6
	s_wait_loadcnt_dscnt 0x0
	s_barrier_signal -1
	s_barrier_wait -1
	global_inv scope:SCOPE_SE
	v_cmp_ne_u32_e32 vcc_lo, 0, v1
	s_cmp_lg_u32 vcc_lo, exec_lo
	s_cselect_b32 s9, -1, 0
	s_wait_alu 0xfffe
	s_and_b32 vcc_lo, exec_lo, s9
	s_wait_alu 0xfffe
	s_cbranch_vccnz .LBB18_68
.LBB18_4:                               ; =>This Inner Loop Header: Depth=1
	s_mov_b32 s4, s8
	s_addk_co_i32 s8, 0xff00
	s_wait_alu 0xfffe
	s_cmp_lt_i32 s8, 0
	s_cbranch_scc1 .LBB18_67
; %bb.5:                                ;   in Loop: Header=BB18_4 Depth=1
	s_lshr_b32 s9, s8, 1
	s_wait_alu 0xfffe
	v_add_nc_u32_e32 v1, s9, v0
	s_delay_alu instid0(VALU_DEP_1) | instskip(NEXT) | instid1(VALU_DEP_1)
	v_lshlrev_b64_e32 v[3:4], 2, v[1:2]
	v_add_co_u32 v3, vcc_lo, s6, v3
	s_wait_alu 0xfffd
	s_delay_alu instid0(VALU_DEP_2) | instskip(SKIP_4) | instid1(VALU_DEP_2)
	v_add_co_ci_u32_e64 v4, null, s7, v4, vcc_lo
	global_load_b32 v3, v[3:4], off
	s_wait_loadcnt 0x0
	v_lshrrev_b32_e32 v4, 16, v3
	v_cmp_class_f16_e64 s9, v3, 0x204
	v_cmp_class_f16_e64 s10, v4, 0x204
	s_and_b32 s11, s9, s10
	s_mov_b32 s10, 0
	s_wait_alu 0xfffe
	s_and_saveexec_b32 s9, s11
	s_cbranch_execz .LBB18_65
; %bb.6:                                ;   in Loop: Header=BB18_4 Depth=1
	v_add_nc_u32_e32 v3, s5, v1
	s_mov_b32 s11, 0
	s_delay_alu instid0(VALU_DEP_1) | instskip(NEXT) | instid1(VALU_DEP_1)
	v_ashrrev_i32_e32 v4, 31, v3
	v_lshlrev_b64_e32 v[7:8], 2, v[3:4]
	s_delay_alu instid0(VALU_DEP_1) | instskip(SKIP_1) | instid1(VALU_DEP_2)
	v_add_co_u32 v7, vcc_lo, s6, v7
	s_wait_alu 0xfffd
	v_add_co_ci_u32_e64 v8, null, s7, v8, vcc_lo
	global_load_b32 v1, v[7:8], off
	s_wait_loadcnt 0x0
	v_cmp_class_f16_e64 s12, v1, 0x204
	s_and_saveexec_b32 s10, s12
	s_cbranch_execz .LBB18_64
; %bb.7:                                ;   in Loop: Header=BB18_4 Depth=1
	v_lshrrev_b32_e32 v1, 16, v1
	s_mov_b32 s12, 0
	s_delay_alu instid0(VALU_DEP_1)
	v_cmp_class_f16_e64 s13, v1, 0x204
	s_and_saveexec_b32 s11, s13
	s_cbranch_execz .LBB18_63
; %bb.8:                                ;   in Loop: Header=BB18_4 Depth=1
	v_add_nc_u32_e32 v3, s5, v3
	s_mov_b32 s13, 0
	s_delay_alu instid0(VALU_DEP_1) | instskip(NEXT) | instid1(VALU_DEP_1)
	v_ashrrev_i32_e32 v4, 31, v3
	v_lshlrev_b64_e32 v[7:8], 2, v[3:4]
	s_delay_alu instid0(VALU_DEP_1) | instskip(SKIP_1) | instid1(VALU_DEP_2)
	v_add_co_u32 v7, vcc_lo, s6, v7
	s_wait_alu 0xfffd
	v_add_co_ci_u32_e64 v8, null, s7, v8, vcc_lo
	global_load_b32 v1, v[7:8], off
	s_wait_loadcnt 0x0
	v_cmp_class_f16_e64 s14, v1, 0x204
	s_and_saveexec_b32 s12, s14
	s_cbranch_execz .LBB18_62
; %bb.9:                                ;   in Loop: Header=BB18_4 Depth=1
	v_lshrrev_b32_e32 v1, 16, v1
	s_mov_b32 s14, 0
	s_delay_alu instid0(VALU_DEP_1)
	v_cmp_class_f16_e64 s15, v1, 0x204
	s_and_saveexec_b32 s13, s15
	s_cbranch_execz .LBB18_61
; %bb.10:                               ;   in Loop: Header=BB18_4 Depth=1
	v_add_nc_u32_e32 v3, s5, v3
	s_mov_b32 s15, 0
	s_delay_alu instid0(VALU_DEP_1) | instskip(NEXT) | instid1(VALU_DEP_1)
	v_ashrrev_i32_e32 v4, 31, v3
	v_lshlrev_b64_e32 v[7:8], 2, v[3:4]
	s_delay_alu instid0(VALU_DEP_1) | instskip(SKIP_1) | instid1(VALU_DEP_2)
	v_add_co_u32 v7, vcc_lo, s6, v7
	s_wait_alu 0xfffd
	v_add_co_ci_u32_e64 v8, null, s7, v8, vcc_lo
	global_load_b32 v1, v[7:8], off
	s_wait_loadcnt 0x0
	v_cmp_class_f16_e64 s16, v1, 0x204
	s_and_saveexec_b32 s14, s16
	s_cbranch_execz .LBB18_60
; %bb.11:                               ;   in Loop: Header=BB18_4 Depth=1
	v_lshrrev_b32_e32 v1, 16, v1
	s_mov_b32 s16, 0
	s_delay_alu instid0(VALU_DEP_1)
	v_cmp_class_f16_e64 s17, v1, 0x204
	s_and_saveexec_b32 s15, s17
	s_cbranch_execz .LBB18_59
; %bb.12:                               ;   in Loop: Header=BB18_4 Depth=1
	v_add_nc_u32_e32 v3, s5, v3
	s_mov_b32 s17, 0
	s_delay_alu instid0(VALU_DEP_1) | instskip(NEXT) | instid1(VALU_DEP_1)
	v_ashrrev_i32_e32 v4, 31, v3
	v_lshlrev_b64_e32 v[7:8], 2, v[3:4]
	s_delay_alu instid0(VALU_DEP_1) | instskip(SKIP_1) | instid1(VALU_DEP_2)
	v_add_co_u32 v7, vcc_lo, s6, v7
	s_wait_alu 0xfffd
	v_add_co_ci_u32_e64 v8, null, s7, v8, vcc_lo
	global_load_b32 v1, v[7:8], off
	s_wait_loadcnt 0x0
	v_cmp_class_f16_e64 s18, v1, 0x204
	s_and_saveexec_b32 s16, s18
	s_cbranch_execz .LBB18_58
; %bb.13:                               ;   in Loop: Header=BB18_4 Depth=1
	;; [unrolled: 22-line block ×12, first 2 shown]
	v_lshrrev_b32_e32 v1, 16, v1
	s_mov_b32 s39, 0
	s_delay_alu instid0(VALU_DEP_1)
	v_cmp_class_f16_e64 s40, v1, 0x204
	s_and_saveexec_b32 s38, s40
	s_cbranch_execz .LBB18_37
; %bb.34:                               ;   in Loop: Header=BB18_4 Depth=1
	v_add_nc_u32_e32 v3, s5, v3
	s_delay_alu instid0(VALU_DEP_1) | instskip(NEXT) | instid1(VALU_DEP_1)
	v_ashrrev_i32_e32 v4, 31, v3
	v_lshlrev_b64_e32 v[3:4], 2, v[3:4]
	s_delay_alu instid0(VALU_DEP_1) | instskip(SKIP_1) | instid1(VALU_DEP_2)
	v_add_co_u32 v3, vcc_lo, s6, v3
	s_wait_alu 0xfffd
	v_add_co_ci_u32_e64 v4, null, s7, v4, vcc_lo
	global_load_b32 v1, v[3:4], off
	s_wait_loadcnt 0x0
	v_cmp_class_f16_e64 s41, v1, 0x204
	s_and_saveexec_b32 s40, s41
; %bb.35:                               ;   in Loop: Header=BB18_4 Depth=1
	v_lshrrev_b32_e32 v1, 16, v1
	s_delay_alu instid0(VALU_DEP_1)
	v_cmp_class_f16_e64 s39, v1, 0x204
	s_and_b32 s39, s39, exec_lo
; %bb.36:                               ;   in Loop: Header=BB18_4 Depth=1
	s_or_b32 exec_lo, exec_lo, s40
	s_delay_alu instid0(SALU_CYCLE_1)
	s_and_b32 s39, s39, exec_lo
.LBB18_37:                              ;   in Loop: Header=BB18_4 Depth=1
	s_or_b32 exec_lo, exec_lo, s38
	s_delay_alu instid0(SALU_CYCLE_1)
	s_and_b32 s38, s39, exec_lo
.LBB18_38:                              ;   in Loop: Header=BB18_4 Depth=1
	s_or_b32 exec_lo, exec_lo, s37
	s_delay_alu instid0(SALU_CYCLE_1)
	s_and_b32 s37, s38, exec_lo
.LBB18_39:                              ;   in Loop: Header=BB18_4 Depth=1
	s_or_b32 exec_lo, exec_lo, s36
	s_delay_alu instid0(SALU_CYCLE_1)
	s_and_b32 s36, s37, exec_lo
.LBB18_40:                              ;   in Loop: Header=BB18_4 Depth=1
	s_or_b32 exec_lo, exec_lo, s35
	s_delay_alu instid0(SALU_CYCLE_1)
	s_and_b32 s35, s36, exec_lo
.LBB18_41:                              ;   in Loop: Header=BB18_4 Depth=1
	s_or_b32 exec_lo, exec_lo, s34
	s_delay_alu instid0(SALU_CYCLE_1)
	s_and_b32 s34, s35, exec_lo
.LBB18_42:                              ;   in Loop: Header=BB18_4 Depth=1
	s_or_b32 exec_lo, exec_lo, s33
	s_delay_alu instid0(SALU_CYCLE_1)
	s_and_b32 s33, s34, exec_lo
.LBB18_43:                              ;   in Loop: Header=BB18_4 Depth=1
	s_or_b32 exec_lo, exec_lo, s31
	s_delay_alu instid0(SALU_CYCLE_1)
	s_and_b32 s31, s33, exec_lo
.LBB18_44:                              ;   in Loop: Header=BB18_4 Depth=1
	s_or_b32 exec_lo, exec_lo, s30
	s_delay_alu instid0(SALU_CYCLE_1)
	s_and_b32 s30, s31, exec_lo
.LBB18_45:                              ;   in Loop: Header=BB18_4 Depth=1
	s_or_b32 exec_lo, exec_lo, s29
	s_delay_alu instid0(SALU_CYCLE_1)
	s_and_b32 s29, s30, exec_lo
.LBB18_46:                              ;   in Loop: Header=BB18_4 Depth=1
	s_or_b32 exec_lo, exec_lo, s28
	s_delay_alu instid0(SALU_CYCLE_1)
	s_and_b32 s28, s29, exec_lo
.LBB18_47:                              ;   in Loop: Header=BB18_4 Depth=1
	s_or_b32 exec_lo, exec_lo, s27
	s_delay_alu instid0(SALU_CYCLE_1)
	s_and_b32 s27, s28, exec_lo
.LBB18_48:                              ;   in Loop: Header=BB18_4 Depth=1
	s_or_b32 exec_lo, exec_lo, s26
	s_delay_alu instid0(SALU_CYCLE_1)
	s_and_b32 s26, s27, exec_lo
.LBB18_49:                              ;   in Loop: Header=BB18_4 Depth=1
	s_or_b32 exec_lo, exec_lo, s25
	s_delay_alu instid0(SALU_CYCLE_1)
	s_and_b32 s25, s26, exec_lo
.LBB18_50:                              ;   in Loop: Header=BB18_4 Depth=1
	s_or_b32 exec_lo, exec_lo, s24
	s_delay_alu instid0(SALU_CYCLE_1)
	s_and_b32 s24, s25, exec_lo
.LBB18_51:                              ;   in Loop: Header=BB18_4 Depth=1
	s_or_b32 exec_lo, exec_lo, s23
	s_delay_alu instid0(SALU_CYCLE_1)
	s_and_b32 s23, s24, exec_lo
.LBB18_52:                              ;   in Loop: Header=BB18_4 Depth=1
	s_or_b32 exec_lo, exec_lo, s22
	s_delay_alu instid0(SALU_CYCLE_1)
	s_and_b32 s22, s23, exec_lo
.LBB18_53:                              ;   in Loop: Header=BB18_4 Depth=1
	s_or_b32 exec_lo, exec_lo, s21
	s_delay_alu instid0(SALU_CYCLE_1)
	s_and_b32 s21, s22, exec_lo
.LBB18_54:                              ;   in Loop: Header=BB18_4 Depth=1
	s_or_b32 exec_lo, exec_lo, s20
	s_delay_alu instid0(SALU_CYCLE_1)
	s_and_b32 s20, s21, exec_lo
.LBB18_55:                              ;   in Loop: Header=BB18_4 Depth=1
	s_or_b32 exec_lo, exec_lo, s19
	s_delay_alu instid0(SALU_CYCLE_1)
	s_and_b32 s19, s20, exec_lo
.LBB18_56:                              ;   in Loop: Header=BB18_4 Depth=1
	s_or_b32 exec_lo, exec_lo, s18
	s_delay_alu instid0(SALU_CYCLE_1)
	s_and_b32 s18, s19, exec_lo
.LBB18_57:                              ;   in Loop: Header=BB18_4 Depth=1
	s_or_b32 exec_lo, exec_lo, s17
	s_delay_alu instid0(SALU_CYCLE_1)
	s_and_b32 s17, s18, exec_lo
.LBB18_58:                              ;   in Loop: Header=BB18_4 Depth=1
	s_or_b32 exec_lo, exec_lo, s16
	s_delay_alu instid0(SALU_CYCLE_1)
	s_and_b32 s16, s17, exec_lo
.LBB18_59:                              ;   in Loop: Header=BB18_4 Depth=1
	s_or_b32 exec_lo, exec_lo, s15
	s_delay_alu instid0(SALU_CYCLE_1)
	s_and_b32 s15, s16, exec_lo
.LBB18_60:                              ;   in Loop: Header=BB18_4 Depth=1
	s_or_b32 exec_lo, exec_lo, s14
	s_delay_alu instid0(SALU_CYCLE_1)
	s_and_b32 s14, s15, exec_lo
.LBB18_61:                              ;   in Loop: Header=BB18_4 Depth=1
	s_or_b32 exec_lo, exec_lo, s13
	s_delay_alu instid0(SALU_CYCLE_1)
	s_and_b32 s13, s14, exec_lo
.LBB18_62:                              ;   in Loop: Header=BB18_4 Depth=1
	s_or_b32 exec_lo, exec_lo, s12
	s_delay_alu instid0(SALU_CYCLE_1)
	s_and_b32 s12, s13, exec_lo
.LBB18_63:                              ;   in Loop: Header=BB18_4 Depth=1
	s_wait_alu 0xfffe
	s_or_b32 exec_lo, exec_lo, s11
	s_delay_alu instid0(SALU_CYCLE_1)
	s_and_b32 s11, s12, exec_lo
.LBB18_64:                              ;   in Loop: Header=BB18_4 Depth=1
	s_wait_alu 0xfffe
	s_or_b32 exec_lo, exec_lo, s10
	s_delay_alu instid0(SALU_CYCLE_1)
	s_and_b32 s10, s11, exec_lo
.LBB18_65:                              ;   in Loop: Header=BB18_4 Depth=1
	s_wait_alu 0xfffe
	s_or_b32 exec_lo, exec_lo, s9
	v_cndmask_b32_e64 v1, 0, 1, s10
	s_mov_b32 s11, exec_lo
	s_delay_alu instid0(VALU_DEP_1)
	v_cmp_ne_u32_e32 vcc_lo, 0, v1
	s_and_saveexec_b32 s9, s0
	s_cbranch_execz .LBB18_3
; %bb.66:                               ;   in Loop: Header=BB18_4 Depth=1
	s_wait_alu 0xfffe
	s_cmp_eq_u32 vcc_lo, s11
	s_cselect_b32 s10, -1, 0
	s_wait_alu 0xfffe
	v_cndmask_b32_e64 v1, 0, 1, s10
	ds_store_b32 v5, v1
	s_branch .LBB18_3
.LBB18_67:                              ;   in Loop: Header=BB18_4 Depth=1
	s_cbranch_execz .LBB18_4
.LBB18_68:
	s_mov_b32 s0, exec_lo
	v_cmpx_eq_u32_e32 0, v0
	s_cbranch_execz .LBB18_70
; %bb.69:
	s_mul_i32 s0, s1, ttmp7
	v_dual_mov_b32 v0, 0 :: v_dual_mov_b32 v1, s4
	s_add_co_i32 s0, s0, ttmp9
	s_delay_alu instid0(SALU_CYCLE_1) | instskip(NEXT) | instid1(SALU_CYCLE_1)
	s_ashr_i32 s1, s0, 31
	s_lshl_b64 s[0:1], s[0:1], 2
	s_delay_alu instid0(SALU_CYCLE_1)
	s_add_nc_u64 s[0:1], s[2:3], s[0:1]
	global_store_b32 v0, v1, s[0:1]
.LBB18_70:
	s_endpgm
	.section	.rodata,"a",@progbits
	.p2align	6, 0x0
	.amdhsa_kernel _ZL25flash_attn_mask_to_KV_maxILi16EEvPK7__half2Piiii
		.amdhsa_group_segment_fixed_size 128
		.amdhsa_private_segment_fixed_size 0
		.amdhsa_kernarg_size 288
		.amdhsa_user_sgpr_count 2
		.amdhsa_user_sgpr_dispatch_ptr 0
		.amdhsa_user_sgpr_queue_ptr 0
		.amdhsa_user_sgpr_kernarg_segment_ptr 1
		.amdhsa_user_sgpr_dispatch_id 0
		.amdhsa_user_sgpr_private_segment_size 0
		.amdhsa_wavefront_size32 1
		.amdhsa_uses_dynamic_stack 0
		.amdhsa_enable_private_segment 0
		.amdhsa_system_sgpr_workgroup_id_x 1
		.amdhsa_system_sgpr_workgroup_id_y 1
		.amdhsa_system_sgpr_workgroup_id_z 0
		.amdhsa_system_sgpr_workgroup_info 0
		.amdhsa_system_vgpr_workitem_id 0
		.amdhsa_next_free_vgpr 9
		.amdhsa_next_free_sgpr 42
		.amdhsa_reserve_vcc 1
		.amdhsa_float_round_mode_32 0
		.amdhsa_float_round_mode_16_64 0
		.amdhsa_float_denorm_mode_32 3
		.amdhsa_float_denorm_mode_16_64 3
		.amdhsa_fp16_overflow 0
		.amdhsa_workgroup_processor_mode 1
		.amdhsa_memory_ordered 1
		.amdhsa_forward_progress 1
		.amdhsa_inst_pref_size 20
		.amdhsa_round_robin_scheduling 0
		.amdhsa_exception_fp_ieee_invalid_op 0
		.amdhsa_exception_fp_denorm_src 0
		.amdhsa_exception_fp_ieee_div_zero 0
		.amdhsa_exception_fp_ieee_overflow 0
		.amdhsa_exception_fp_ieee_underflow 0
		.amdhsa_exception_fp_ieee_inexact 0
		.amdhsa_exception_int_div_zero 0
	.end_amdhsa_kernel
	.section	.text._ZL25flash_attn_mask_to_KV_maxILi16EEvPK7__half2Piiii,"axG",@progbits,_ZL25flash_attn_mask_to_KV_maxILi16EEvPK7__half2Piiii,comdat
.Lfunc_end18:
	.size	_ZL25flash_attn_mask_to_KV_maxILi16EEvPK7__half2Piiii, .Lfunc_end18-_ZL25flash_attn_mask_to_KV_maxILi16EEvPK7__half2Piiii
                                        ; -- End function
	.set _ZL25flash_attn_mask_to_KV_maxILi16EEvPK7__half2Piiii.num_vgpr, 9
	.set _ZL25flash_attn_mask_to_KV_maxILi16EEvPK7__half2Piiii.num_agpr, 0
	.set _ZL25flash_attn_mask_to_KV_maxILi16EEvPK7__half2Piiii.numbered_sgpr, 42
	.set _ZL25flash_attn_mask_to_KV_maxILi16EEvPK7__half2Piiii.num_named_barrier, 0
	.set _ZL25flash_attn_mask_to_KV_maxILi16EEvPK7__half2Piiii.private_seg_size, 0
	.set _ZL25flash_attn_mask_to_KV_maxILi16EEvPK7__half2Piiii.uses_vcc, 1
	.set _ZL25flash_attn_mask_to_KV_maxILi16EEvPK7__half2Piiii.uses_flat_scratch, 0
	.set _ZL25flash_attn_mask_to_KV_maxILi16EEvPK7__half2Piiii.has_dyn_sized_stack, 0
	.set _ZL25flash_attn_mask_to_KV_maxILi16EEvPK7__half2Piiii.has_recursion, 0
	.set _ZL25flash_attn_mask_to_KV_maxILi16EEvPK7__half2Piiii.has_indirect_call, 0
	.section	.AMDGPU.csdata,"",@progbits
; Kernel info:
; codeLenInByte = 2544
; TotalNumSgprs: 44
; NumVgprs: 9
; ScratchSize: 0
; MemoryBound: 0
; FloatMode: 240
; IeeeMode: 1
; LDSByteSize: 128 bytes/workgroup (compile time only)
; SGPRBlocks: 0
; VGPRBlocks: 1
; NumSGPRsForWavesPerEU: 44
; NumVGPRsForWavesPerEU: 9
; Occupancy: 16
; WaveLimiterHint : 0
; COMPUTE_PGM_RSRC2:SCRATCH_EN: 0
; COMPUTE_PGM_RSRC2:USER_SGPR: 2
; COMPUTE_PGM_RSRC2:TRAP_HANDLER: 0
; COMPUTE_PGM_RSRC2:TGID_X_EN: 1
; COMPUTE_PGM_RSRC2:TGID_Y_EN: 1
; COMPUTE_PGM_RSRC2:TGID_Z_EN: 0
; COMPUTE_PGM_RSRC2:TIDIG_COMP_CNT: 0
	.section	.text._ZL33flash_attn_stream_k_fixup_uniformILi96ELi16ELi4EEvPfPK15HIP_vector_typeIfLj2EEiiiiiiS1_IjLj3EES5_S5_,"axG",@progbits,_ZL33flash_attn_stream_k_fixup_uniformILi96ELi16ELi4EEvPfPK15HIP_vector_typeIfLj2EEiiiiiiS1_IjLj3EES5_S5_,comdat
	.globl	_ZL33flash_attn_stream_k_fixup_uniformILi96ELi16ELi4EEvPfPK15HIP_vector_typeIfLj2EEiiiiiiS1_IjLj3EES5_S5_ ; -- Begin function _ZL33flash_attn_stream_k_fixup_uniformILi96ELi16ELi4EEvPfPK15HIP_vector_typeIfLj2EEiiiiiiS1_IjLj3EES5_S5_
	.p2align	8
	.type	_ZL33flash_attn_stream_k_fixup_uniformILi96ELi16ELi4EEvPfPK15HIP_vector_typeIfLj2EEiiiiiiS1_IjLj3EES5_S5_,@function
_ZL33flash_attn_stream_k_fixup_uniformILi96ELi16ELi4EEvPfPK15HIP_vector_typeIfLj2EEiiiiiiS1_IjLj3EES5_S5_: ; @_ZL33flash_attn_stream_k_fixup_uniformILi96ELi16ELi4EEvPfPK15HIP_vector_typeIfLj2EEiiiiiiS1_IjLj3EES5_S5_
; %bb.0:
	s_clause 0x1
	s_load_b256 s[4:11], s[0:1], 0x1c
	s_load_b128 s[12:15], s[0:1], 0x3c
	s_wait_kmcnt 0x0
	s_mul_hi_u32 s2, s7, ttmp9
	s_delay_alu instid0(SALU_CYCLE_1) | instskip(NEXT) | instid1(SALU_CYCLE_1)
	s_add_co_i32 s2, ttmp9, s2
	s_lshr_b32 s2, s2, s8
	s_delay_alu instid0(SALU_CYCLE_1) | instskip(SKIP_2) | instid1(SALU_CYCLE_1)
	s_mul_i32 s3, s2, s9
	s_load_b64 s[8:9], s[0:1], 0x10
	s_sub_co_i32 s3, ttmp9, s3
	s_mul_hi_u32 s7, s3, s10
	s_delay_alu instid0(SALU_CYCLE_1) | instskip(NEXT) | instid1(SALU_CYCLE_1)
	s_add_co_i32 s7, s3, s7
	s_lshr_b32 s7, s7, s11
	s_lshr_b32 s11, ttmp7, 16
	s_mul_i32 s10, s7, s12
	s_delay_alu instid0(SALU_CYCLE_1) | instskip(NEXT) | instid1(SALU_CYCLE_1)
	s_sub_co_i32 s3, s3, s10
	s_mul_hi_u32 s10, s3, s13
	s_delay_alu instid0(SALU_CYCLE_1) | instskip(NEXT) | instid1(SALU_CYCLE_1)
	s_add_co_i32 s10, s3, s10
	s_lshr_b32 s13, s10, s14
	s_delay_alu instid0(SALU_CYCLE_1) | instskip(SKIP_4) | instid1(SALU_CYCLE_1)
	s_mul_i32 s10, s13, s15
	s_lshl_b32 s13, s13, 2
	s_sub_co_i32 s12, s3, s10
	s_and_b32 s10, ttmp7, 0xffff
	s_lshl_b32 s3, s12, 4
	s_add_co_i32 s3, s3, s10
	s_wait_kmcnt 0x0
	s_cmp_lt_i32 s3, s8
	s_cselect_b32 s3, -1, 0
	s_add_co_i32 s13, s13, s11
	s_delay_alu instid0(SALU_CYCLE_1) | instskip(SKIP_1) | instid1(SALU_CYCLE_1)
	s_cmp_lt_i32 s13, s5
	s_cselect_b32 s14, -1, 0
	s_and_b32 s3, s3, s14
	s_delay_alu instid0(SALU_CYCLE_1)
	s_and_not1_b32 vcc_lo, exec_lo, s3
	s_cbranch_vccnz .LBB19_6
; %bb.1:
	s_mul_i32 s8, s2, s8
	s_mul_i32 s7, s7, s5
	s_add_co_i32 s8, s8, s10
	s_add_co_i32 s5, s13, s7
	s_mul_i32 s8, s8, s9
	s_load_b128 s[0:3], s[0:1], 0x0
	s_mul_i32 s7, s9, s12
	s_add_co_i32 s5, s5, s8
	s_mulk_i32 s7, 0x600
	s_mulk_i32 s5, 0x60
	s_mul_i32 s8, s6, ttmp9
	v_add3_u32 v1, s5, s7, v0
	s_lshl_b32 s5, s10, 2
	s_add_co_i32 s9, s8, s6
	s_delay_alu instid0(SALU_CYCLE_1) | instskip(NEXT) | instid1(VALU_DEP_1)
	s_add_co_i32 s7, s9, -2
	v_ashrrev_i32_e32 v2, 31, v1
	s_delay_alu instid0(VALU_DEP_1) | instskip(SKIP_1) | instid1(VALU_DEP_1)
	v_lshlrev_b64_e32 v[1:2], 2, v[1:2]
	s_wait_kmcnt 0x0
	v_add_co_u32 v1, vcc_lo, s0, v1
	s_delay_alu instid0(VALU_DEP_1)
	v_add_co_ci_u32_e64 v2, null, s1, v2, vcc_lo
	s_wait_alu 0xfffe
	s_add_co_i32 s0, s5, s11
	s_lshl_b32 s1, s9, 6
	global_load_b32 v5, v[1:2], off
	s_wait_alu 0xfffe
	s_add_co_i32 s0, s0, s1
	s_wait_alu 0xfffe
	s_sub_co_i32 s0, s0, 64
	s_wait_alu 0xfffe
	s_ashr_i32 s1, s0, 31
	s_wait_alu 0xfffe
	s_lshl_b64 s[0:1], s[0:1], 3
	s_cmp_lt_i32 s7, s8
	s_wait_alu 0xfffe
	s_add_nc_u64 s[0:1], s[2:3], s[0:1]
	s_load_b32 s12, s[0:1], 0x4
	s_cbranch_scc1 .LBB19_4
; %bb.2:
	s_load_b32 s0, s[0:1], 0x0
	s_add_co_i32 s1, ttmp9, 1
	s_mulk_i32 s10, 0x180
	s_wait_alu 0xfffe
	s_mul_i32 s1, s6, s1
	s_lshl_b32 s14, s4, 8
	s_wait_alu 0xfffe
	s_lshl_b32 s13, s1, 6
	s_mulk_i32 s1, 0x1800
	s_add_co_i32 s13, s11, s13
	s_mulk_i32 s11, 0x60
	s_lshl_b32 s4, s4, 6
	s_add_co_i32 s10, s11, s10
	s_ashr_i32 s15, s14, 31
	s_wait_alu 0xfffe
	s_add_co_i32 s10, s10, s1
	s_add_co_i32 s1, s13, s4
	v_add3_u32 v3, s10, v0, 0xffffd000
	s_wait_kmcnt 0x0
	v_mov_b32_e32 v6, s12
	s_lshl_b64 s[6:7], s[14:15], 2
	s_wait_alu 0xfffe
	s_add_co_i32 s4, s1, s5
	s_add_nc_u64 s[6:7], s[2:3], s[6:7]
	s_add_co_i32 s1, s9, -1
	s_wait_alu 0xfffe
	s_addk_co_i32 s4, 0xff80
.LBB19_3:                               ; =>This Inner Loop Header: Depth=1
	v_ashrrev_i32_e32 v4, 31, v3
	s_wait_alu 0xfffe
	s_ashr_i32 s5, s4, 31
	v_mov_b32_e32 v10, v6
	s_wait_alu 0xfffe
	s_lshl_b64 s[10:11], s[4:5], 3
	s_wait_loadcnt 0x0
	v_mov_b32_e32 v9, v5
	v_lshlrev_b64_e32 v[7:8], 2, v[3:4]
	s_wait_alu 0xfffe
	s_add_nc_u64 s[10:11], s[2:3], s[10:11]
	v_max_num_f32_e64 v4, s0, s0
	s_load_b64 s[10:11], s[10:11], 0x0
	v_add_nc_u32_e32 v3, 0xffffe800, v3
	v_add_co_u32 v7, vcc_lo, s6, v7
	s_wait_alu 0xfffd
	v_add_co_ci_u32_e64 v8, null, s7, v8, vcc_lo
	v_readfirstlane_b32 s5, v4
	global_load_b32 v0, v[7:8], off
	s_wait_kmcnt 0x0
	v_max_num_f32_e64 v4, s10, s10
	s_delay_alu instid0(VALU_DEP_1) | instskip(SKIP_2) | instid1(SALU_CYCLE_2)
	v_readfirstlane_b32 s9, v4
	s_max_num_f32 s5, s5, s9
	s_wait_alu 0xfffe
	s_sub_f32 s0, s0, s5
	s_sub_f32 s9, s10, s5
	s_wait_alu 0xfffe
	s_delay_alu instid0(SALU_CYCLE_1) | instskip(NEXT) | instid1(SALU_CYCLE_1)
	s_mul_f32 s10, s0, 0x3fb8aa3b
	s_mul_f32 s12, s9, 0x3fb8aa3b
	s_wait_alu 0xfffe
	s_delay_alu instid0(SALU_CYCLE_1)
	s_xor_b32 s13, s10, 0x80000000
	s_rndne_f32 s14, s10
	s_wait_alu 0xfffe
	s_fmamk_f32 s13, s0, 0x3fb8aa3b, s13
	s_cmp_nlt_f32 s0, 0xc2ce8ed0
	s_rndne_f32 s15, s12
	s_sub_f32 s10, s10, s14
	s_wait_alu 0xfffe
	s_fmamk_f32 s13, s0, 0x32a5705f, s13
	s_cvt_i32_f32 s14, s14
	s_cselect_b32 vcc_lo, -1, 0
	s_cmp_ngt_f32 s0, 0x42b17218
	s_wait_alu 0xfffe
	s_add_f32 s10, s10, s13
	s_sub_f32 s13, s12, s15
	s_wait_alu 0xfffe
	s_delay_alu instid0(SALU_CYCLE_1) | instskip(SKIP_1) | instid1(TRANS32_DEP_1)
	v_s_exp_f32 s10, s10
	s_wait_alu 0xf1ff
	v_ldexp_f32 v4, s10, s14
	s_cvt_i32_f32 s10, s15
	s_delay_alu instid0(VALU_DEP_1) | instskip(SKIP_3) | instid1(VALU_DEP_1)
	v_cndmask_b32_e32 v4, 0, v4, vcc_lo
	s_cselect_b32 vcc_lo, -1, 0
	s_cmp_ge_f32 s0, 0xc1a00000
	s_wait_alu 0xfffe
	v_cndmask_b32_e32 v4, 0x7f800000, v4, vcc_lo
	s_cselect_b32 vcc_lo, -1, 0
	s_xor_b32 s0, s12, 0x80000000
	s_cmp_nlt_f32 s9, 0xc2ce8ed0
	s_wait_alu 0xfffe
	s_fmamk_f32 s0, s9, 0x3fb8aa3b, s0
	s_wait_alu 0xfffe
	s_delay_alu instid0(SALU_CYCLE_2) | instskip(SKIP_1) | instid1(SALU_CYCLE_2)
	s_fmamk_f32 s0, s9, 0x32a5705f, s0
	s_wait_alu 0xfffe
	s_add_f32 s0, s13, s0
	s_wait_alu 0xfffe
	s_delay_alu instid0(SALU_CYCLE_2) | instskip(SKIP_1) | instid1(TRANS32_DEP_1)
	v_s_exp_f32 s0, s0
	s_wait_alu 0xf1ff
	v_ldexp_f32 v7, s0, s10
	s_cselect_b32 s0, -1, 0
	s_cmp_ngt_f32 s9, 0x42b17218
	s_wait_alu 0xfffe
	s_delay_alu instid0(VALU_DEP_1) | instskip(SKIP_3) | instid1(VALU_DEP_1)
	v_cndmask_b32_e64 v7, 0, v7, s0
	s_cselect_b32 s0, -1, 0
	s_cmp_ge_f32 s9, 0xc1a00000
	s_wait_alu 0xfffe
	v_cndmask_b32_e64 v7, 0x7f800000, v7, s0
	s_cselect_b32 s0, -1, 0
	s_add_co_i32 s1, s1, -1
	s_sub_co_i32 s4, s4, 64
	s_wait_alu 0xfffe
	s_cmp_le_i32 s1, s8
	v_cndmask_b32_e64 v7, 0, v7, s0
	s_mov_b32 s0, s5
	s_wait_loadcnt 0x0
	s_delay_alu instid0(VALU_DEP_1) | instskip(NEXT) | instid1(VALU_DEP_1)
	v_dual_mul_f32 v5, v0, v7 :: v_dual_cndmask_b32 v4, 0, v4
	v_dual_mul_f32 v8, s11, v7 :: v_dual_fmac_f32 v5, v9, v4
	s_delay_alu instid0(VALU_DEP_1) | instskip(NEXT) | instid1(VALU_DEP_1)
	v_mov_b32_e32 v6, v8
	v_fmac_f32_e32 v6, v10, v4
	s_cbranch_scc0 .LBB19_3
	s_branch .LBB19_5
.LBB19_4:
	s_wait_kmcnt 0x0
	v_mov_b32_e32 v6, s12
.LBB19_5:
	s_wait_loadcnt 0x0
	s_delay_alu instid0(VALU_DEP_1) | instskip(NEXT) | instid1(VALU_DEP_1)
	v_div_scale_f32 v0, null, v6, v6, v5
	v_rcp_f32_e32 v3, v0
	s_delay_alu instid0(TRANS32_DEP_1) | instskip(NEXT) | instid1(VALU_DEP_1)
	v_fma_f32 v4, -v0, v3, 1.0
	v_fmac_f32_e32 v3, v4, v3
	v_div_scale_f32 v4, vcc_lo, v5, v6, v5
	s_delay_alu instid0(VALU_DEP_1) | instskip(NEXT) | instid1(VALU_DEP_1)
	v_mul_f32_e32 v7, v4, v3
	v_fma_f32 v8, -v0, v7, v4
	s_delay_alu instid0(VALU_DEP_1) | instskip(NEXT) | instid1(VALU_DEP_1)
	v_fmac_f32_e32 v7, v8, v3
	v_fma_f32 v0, -v0, v7, v4
	s_wait_alu 0xfffd
	s_delay_alu instid0(VALU_DEP_1) | instskip(NEXT) | instid1(VALU_DEP_1)
	v_div_fmas_f32 v0, v0, v3, v7
	v_div_fixup_f32 v0, v0, v6, v5
	global_store_b32 v[1:2], v0, off
.LBB19_6:
	s_endpgm
	.section	.rodata,"a",@progbits
	.p2align	6, 0x0
	.amdhsa_kernel _ZL33flash_attn_stream_k_fixup_uniformILi96ELi16ELi4EEvPfPK15HIP_vector_typeIfLj2EEiiiiiiS1_IjLj3EES5_S5_
		.amdhsa_group_segment_fixed_size 0
		.amdhsa_private_segment_fixed_size 0
		.amdhsa_kernarg_size 76
		.amdhsa_user_sgpr_count 2
		.amdhsa_user_sgpr_dispatch_ptr 0
		.amdhsa_user_sgpr_queue_ptr 0
		.amdhsa_user_sgpr_kernarg_segment_ptr 1
		.amdhsa_user_sgpr_dispatch_id 0
		.amdhsa_user_sgpr_private_segment_size 0
		.amdhsa_wavefront_size32 1
		.amdhsa_uses_dynamic_stack 0
		.amdhsa_enable_private_segment 0
		.amdhsa_system_sgpr_workgroup_id_x 1
		.amdhsa_system_sgpr_workgroup_id_y 1
		.amdhsa_system_sgpr_workgroup_id_z 1
		.amdhsa_system_sgpr_workgroup_info 0
		.amdhsa_system_vgpr_workitem_id 0
		.amdhsa_next_free_vgpr 11
		.amdhsa_next_free_sgpr 16
		.amdhsa_reserve_vcc 1
		.amdhsa_float_round_mode_32 0
		.amdhsa_float_round_mode_16_64 0
		.amdhsa_float_denorm_mode_32 3
		.amdhsa_float_denorm_mode_16_64 3
		.amdhsa_fp16_overflow 0
		.amdhsa_workgroup_processor_mode 1
		.amdhsa_memory_ordered 1
		.amdhsa_forward_progress 1
		.amdhsa_inst_pref_size 9
		.amdhsa_round_robin_scheduling 0
		.amdhsa_exception_fp_ieee_invalid_op 0
		.amdhsa_exception_fp_denorm_src 0
		.amdhsa_exception_fp_ieee_div_zero 0
		.amdhsa_exception_fp_ieee_overflow 0
		.amdhsa_exception_fp_ieee_underflow 0
		.amdhsa_exception_fp_ieee_inexact 0
		.amdhsa_exception_int_div_zero 0
	.end_amdhsa_kernel
	.section	.text._ZL33flash_attn_stream_k_fixup_uniformILi96ELi16ELi4EEvPfPK15HIP_vector_typeIfLj2EEiiiiiiS1_IjLj3EES5_S5_,"axG",@progbits,_ZL33flash_attn_stream_k_fixup_uniformILi96ELi16ELi4EEvPfPK15HIP_vector_typeIfLj2EEiiiiiiS1_IjLj3EES5_S5_,comdat
.Lfunc_end19:
	.size	_ZL33flash_attn_stream_k_fixup_uniformILi96ELi16ELi4EEvPfPK15HIP_vector_typeIfLj2EEiiiiiiS1_IjLj3EES5_S5_, .Lfunc_end19-_ZL33flash_attn_stream_k_fixup_uniformILi96ELi16ELi4EEvPfPK15HIP_vector_typeIfLj2EEiiiiiiS1_IjLj3EES5_S5_
                                        ; -- End function
	.set _ZL33flash_attn_stream_k_fixup_uniformILi96ELi16ELi4EEvPfPK15HIP_vector_typeIfLj2EEiiiiiiS1_IjLj3EES5_S5_.num_vgpr, 11
	.set _ZL33flash_attn_stream_k_fixup_uniformILi96ELi16ELi4EEvPfPK15HIP_vector_typeIfLj2EEiiiiiiS1_IjLj3EES5_S5_.num_agpr, 0
	.set _ZL33flash_attn_stream_k_fixup_uniformILi96ELi16ELi4EEvPfPK15HIP_vector_typeIfLj2EEiiiiiiS1_IjLj3EES5_S5_.numbered_sgpr, 16
	.set _ZL33flash_attn_stream_k_fixup_uniformILi96ELi16ELi4EEvPfPK15HIP_vector_typeIfLj2EEiiiiiiS1_IjLj3EES5_S5_.num_named_barrier, 0
	.set _ZL33flash_attn_stream_k_fixup_uniformILi96ELi16ELi4EEvPfPK15HIP_vector_typeIfLj2EEiiiiiiS1_IjLj3EES5_S5_.private_seg_size, 0
	.set _ZL33flash_attn_stream_k_fixup_uniformILi96ELi16ELi4EEvPfPK15HIP_vector_typeIfLj2EEiiiiiiS1_IjLj3EES5_S5_.uses_vcc, 1
	.set _ZL33flash_attn_stream_k_fixup_uniformILi96ELi16ELi4EEvPfPK15HIP_vector_typeIfLj2EEiiiiiiS1_IjLj3EES5_S5_.uses_flat_scratch, 0
	.set _ZL33flash_attn_stream_k_fixup_uniformILi96ELi16ELi4EEvPfPK15HIP_vector_typeIfLj2EEiiiiiiS1_IjLj3EES5_S5_.has_dyn_sized_stack, 0
	.set _ZL33flash_attn_stream_k_fixup_uniformILi96ELi16ELi4EEvPfPK15HIP_vector_typeIfLj2EEiiiiiiS1_IjLj3EES5_S5_.has_recursion, 0
	.set _ZL33flash_attn_stream_k_fixup_uniformILi96ELi16ELi4EEvPfPK15HIP_vector_typeIfLj2EEiiiiiiS1_IjLj3EES5_S5_.has_indirect_call, 0
	.section	.AMDGPU.csdata,"",@progbits
; Kernel info:
; codeLenInByte = 1148
; TotalNumSgprs: 18
; NumVgprs: 11
; ScratchSize: 0
; MemoryBound: 0
; FloatMode: 240
; IeeeMode: 1
; LDSByteSize: 0 bytes/workgroup (compile time only)
; SGPRBlocks: 0
; VGPRBlocks: 1
; NumSGPRsForWavesPerEU: 18
; NumVGPRsForWavesPerEU: 11
; Occupancy: 16
; WaveLimiterHint : 0
; COMPUTE_PGM_RSRC2:SCRATCH_EN: 0
; COMPUTE_PGM_RSRC2:USER_SGPR: 2
; COMPUTE_PGM_RSRC2:TRAP_HANDLER: 0
; COMPUTE_PGM_RSRC2:TGID_X_EN: 1
; COMPUTE_PGM_RSRC2:TGID_Y_EN: 1
; COMPUTE_PGM_RSRC2:TGID_Z_EN: 1
; COMPUTE_PGM_RSRC2:TIDIG_COMP_CNT: 0
	.section	.text._ZL33flash_attn_stream_k_fixup_generalILi96ELi16ELi4EEvPfPK15HIP_vector_typeIfLj2EEiiiiS1_IjLj3EES5_S5_S5_,"axG",@progbits,_ZL33flash_attn_stream_k_fixup_generalILi96ELi16ELi4EEvPfPK15HIP_vector_typeIfLj2EEiiiiS1_IjLj3EES5_S5_S5_,comdat
	.globl	_ZL33flash_attn_stream_k_fixup_generalILi96ELi16ELi4EEvPfPK15HIP_vector_typeIfLj2EEiiiiS1_IjLj3EES5_S5_S5_ ; -- Begin function _ZL33flash_attn_stream_k_fixup_generalILi96ELi16ELi4EEvPfPK15HIP_vector_typeIfLj2EEiiiiS1_IjLj3EES5_S5_S5_
	.p2align	8
	.type	_ZL33flash_attn_stream_k_fixup_generalILi96ELi16ELi4EEvPfPK15HIP_vector_typeIfLj2EEiiiiS1_IjLj3EES5_S5_S5_,@function
_ZL33flash_attn_stream_k_fixup_generalILi96ELi16ELi4EEvPfPK15HIP_vector_typeIfLj2EEiiiiS1_IjLj3EES5_S5_S5_: ; @_ZL33flash_attn_stream_k_fixup_generalILi96ELi16ELi4EEvPfPK15HIP_vector_typeIfLj2EEiiiiS1_IjLj3EES5_S5_S5_
; %bb.0:
	s_clause 0x1
	s_load_b128 s[4:7], s[0:1], 0x10
	s_load_b32 s16, s[0:1], 0x50
	s_mov_b32 s2, ttmp9
	s_ashr_i32 s3, ttmp9, 31
	s_mov_b32 s17, 0
	s_delay_alu instid0(SALU_CYCLE_1) | instskip(SKIP_3) | instid1(SALU_CYCLE_1)
	s_mov_b32 s8, s17
	s_wait_kmcnt 0x0
	s_ashr_i32 s19, s7, 31
	s_mov_b32 s18, s7
	s_mul_u64 s[2:3], s[18:19], s[2:3]
	s_delay_alu instid0(SALU_CYCLE_1) | instskip(NEXT) | instid1(SALU_CYCLE_1)
	s_mov_b32 s9, s3
	s_cmp_lg_u64 s[8:9], 0
	s_cbranch_scc0 .LBB20_21
; %bb.1:
	s_add_nc_u64 s[8:9], s[16:17], 0
	s_mov_b32 s15, s17
	s_xor_b64 s[8:9], s[8:9], 0
	s_mov_b32 s23, s17
	s_cvt_f32_u32 s7, s8
	s_cvt_f32_u32 s10, s9
	s_sub_nc_u64 s[12:13], 0, s[8:9]
	s_delay_alu instid0(SALU_CYCLE_2) | instskip(NEXT) | instid1(SALU_CYCLE_3)
	s_fmamk_f32 s7, s10, 0x4f800000, s7
	v_s_rcp_f32 s7, s7
	s_delay_alu instid0(TRANS32_DEP_1) | instskip(SKIP_1) | instid1(SALU_CYCLE_2)
	s_mul_f32 s7, s7, 0x5f7ffffc
	s_wait_alu 0xfffe
	s_mul_f32 s10, s7, 0x2f800000
	s_delay_alu instid0(SALU_CYCLE_3) | instskip(NEXT) | instid1(SALU_CYCLE_3)
	s_trunc_f32 s10, s10
	s_fmamk_f32 s7, s10, 0xcf800000, s7
	s_cvt_u32_f32 s11, s10
	s_wait_alu 0xfffe
	s_delay_alu instid0(SALU_CYCLE_1) | instskip(NEXT) | instid1(SALU_CYCLE_3)
	s_cvt_u32_f32 s10, s7
	s_mul_u64 s[20:21], s[12:13], s[10:11]
	s_delay_alu instid0(SALU_CYCLE_1)
	s_mul_hi_u32 s25, s10, s21
	s_mul_i32 s24, s10, s21
	s_mul_hi_u32 s14, s10, s20
	s_mul_i32 s22, s11, s20
	s_add_nc_u64 s[14:15], s[14:15], s[24:25]
	s_mul_hi_u32 s7, s11, s20
	s_mul_hi_u32 s26, s11, s21
	s_add_co_u32 s14, s14, s22
	s_wait_alu 0xfffe
	s_add_co_ci_u32 s22, s15, s7
	s_mul_i32 s20, s11, s21
	s_add_co_ci_u32 s21, s26, 0
	s_delay_alu instid0(SALU_CYCLE_1)
	s_add_nc_u64 s[14:15], s[22:23], s[20:21]
	s_mov_b32 s21, s17
	s_add_co_u32 s10, s10, s14
	s_cselect_b32 s7, -1, 0
	s_wait_alu 0xfffe
	s_cmp_lg_u32 s7, 0
	s_add_co_ci_u32 s11, s11, s15
	s_mov_b32 s15, s17
	s_mul_u64 s[12:13], s[12:13], s[10:11]
	s_delay_alu instid0(SALU_CYCLE_1)
	s_mul_hi_u32 s23, s10, s13
	s_mul_i32 s22, s10, s13
	s_mul_hi_u32 s14, s10, s12
	s_mul_i32 s20, s11, s12
	s_add_nc_u64 s[14:15], s[14:15], s[22:23]
	s_mul_hi_u32 s7, s11, s12
	s_mul_hi_u32 s24, s11, s13
	s_mul_i32 s12, s11, s13
	s_add_co_u32 s13, s14, s20
	s_wait_alu 0xfffe
	s_add_co_ci_u32 s20, s15, s7
	s_add_co_ci_u32 s13, s24, 0
	s_mov_b32 s15, s17
	s_add_nc_u64 s[12:13], s[20:21], s[12:13]
	s_delay_alu instid0(SALU_CYCLE_1) | instskip(SKIP_1) | instid1(SALU_CYCLE_1)
	s_add_co_u32 s7, s10, s12
	s_cselect_b32 s10, -1, 0
	s_cmp_lg_u32 s10, 0
	s_add_co_ci_u32 s20, s11, s13
	s_ashr_i32 s10, s3, 31
	s_delay_alu instid0(SALU_CYCLE_1) | instskip(NEXT) | instid1(SALU_CYCLE_1)
	s_mov_b32 s11, s10
	s_add_nc_u64 s[12:13], s[2:3], s[10:11]
	s_delay_alu instid0(SALU_CYCLE_1) | instskip(NEXT) | instid1(SALU_CYCLE_1)
	s_xor_b64 s[12:13], s[12:13], s[10:11]
	s_mul_hi_u32 s23, s12, s20
	s_mul_i32 s22, s12, s20
	s_wait_alu 0xfffe
	s_mul_hi_u32 s14, s12, s7
	s_mul_hi_u32 s24, s13, s7
	s_mul_i32 s7, s13, s7
	s_add_nc_u64 s[14:15], s[14:15], s[22:23]
	s_mul_hi_u32 s3, s13, s20
	s_wait_alu 0xfffe
	s_add_co_u32 s7, s14, s7
	s_mul_i32 s22, s13, s20
	s_add_co_ci_u32 s20, s15, s24
	s_add_co_ci_u32 s23, s3, 0
	s_delay_alu instid0(SALU_CYCLE_1) | instskip(NEXT) | instid1(SALU_CYCLE_1)
	s_add_nc_u64 s[14:15], s[20:21], s[22:23]
	s_mul_u64 s[20:21], s[8:9], s[14:15]
	s_delay_alu instid0(SALU_CYCLE_1)
	s_sub_co_u32 s3, s12, s20
	s_cselect_b32 s7, -1, 0
	s_sub_co_i32 s12, s13, s21
	s_wait_alu 0xfffe
	s_cmp_lg_u32 s7, 0
	s_sub_co_ci_u32 s12, s12, s9
	s_sub_co_u32 s20, s3, s8
	s_cselect_b32 s22, -1, 0
	s_delay_alu instid0(SALU_CYCLE_1) | instskip(SKIP_2) | instid1(SALU_CYCLE_1)
	s_cmp_lg_u32 s22, 0
	s_add_nc_u64 s[22:23], s[14:15], 1
	s_sub_co_ci_u32 s12, s12, 0
	s_cmp_ge_u32 s12, s9
	s_cselect_b32 s24, -1, 0
	s_cmp_ge_u32 s20, s8
	s_cselect_b32 s20, -1, 0
	s_cmp_eq_u32 s12, s9
	s_cselect_b32 s12, s20, s24
	s_add_nc_u64 s[24:25], s[14:15], 2
	s_cmp_lg_u32 s12, 0
	s_cselect_b32 s12, s24, s22
	s_cselect_b32 s20, s25, s23
	s_cmp_lg_u32 s7, 0
	s_sub_co_ci_u32 s7, s13, s21
	s_wait_alu 0xfffe
	s_cmp_ge_u32 s7, s9
	s_cselect_b32 s13, -1, 0
	s_cmp_ge_u32 s3, s8
	s_cselect_b32 s3, -1, 0
	s_cmp_eq_u32 s7, s9
	s_cselect_b32 s3, s3, s13
	s_delay_alu instid0(SALU_CYCLE_1) | instskip(SKIP_4) | instid1(SALU_CYCLE_1)
	s_cmp_lg_u32 s3, 0
	s_mov_b32 s3, s17
	s_cselect_b32 s9, s20, s15
	s_cselect_b32 s8, s12, s14
	s_xor_b64 s[10:11], s[10:11], 0
	s_xor_b64 s[8:9], s[8:9], s[10:11]
	s_delay_alu instid0(SALU_CYCLE_1)
	s_sub_nc_u64 s[20:21], s[8:9], s[10:11]
	s_and_not1_b32 vcc_lo, exec_lo, s3
	s_cbranch_vccnz .LBB20_3
.LBB20_2:
	v_cvt_f32_u32_e32 v1, s16
	s_sub_co_i32 s7, 0, s16
	s_delay_alu instid0(VALU_DEP_1) | instskip(NEXT) | instid1(TRANS32_DEP_1)
	v_rcp_iflag_f32_e32 v1, v1
	v_mul_f32_e32 v1, 0x4f7ffffe, v1
	s_delay_alu instid0(VALU_DEP_1) | instskip(NEXT) | instid1(VALU_DEP_1)
	v_cvt_u32_f32_e32 v1, v1
	v_readfirstlane_b32 s3, v1
	s_wait_alu 0xfffe
	s_mul_i32 s7, s7, s3
	s_wait_alu 0xfffe
	s_mul_hi_u32 s7, s3, s7
	s_wait_alu 0xfffe
	s_add_co_i32 s3, s3, s7
	s_delay_alu instid0(SALU_CYCLE_1) | instskip(NEXT) | instid1(SALU_CYCLE_1)
	s_mul_hi_u32 s3, s2, s3
	s_mul_i32 s7, s3, s16
	s_wait_alu 0xfffe
	s_sub_co_i32 s2, s2, s7
	s_add_co_i32 s7, s3, 1
	s_sub_co_i32 s8, s2, s16
	s_cmp_ge_u32 s2, s16
	s_wait_alu 0xfffe
	s_cselect_b32 s3, s7, s3
	s_cselect_b32 s2, s8, s2
	s_add_co_i32 s7, s3, 1
	s_cmp_ge_u32 s2, s16
	s_wait_alu 0xfffe
	s_cselect_b32 s20, s7, s3
.LBB20_3:
	s_add_co_i32 s2, ttmp9, 1
	s_mov_b32 s8, 0
	s_ashr_i32 s3, s2, 31
	s_delay_alu instid0(SALU_CYCLE_1) | instskip(NEXT) | instid1(SALU_CYCLE_1)
	s_mul_u64 s[2:3], s[18:19], s[2:3]
	s_mov_b32 s9, s3
	s_delay_alu instid0(SALU_CYCLE_1)
	s_cmp_lg_u64 s[8:9], 0
	s_cbranch_scc0 .LBB20_22
; %bb.4:
	s_add_nc_u64 s[10:11], s[16:17], 0
	s_mov_b32 s23, s8
	s_xor_b64 s[10:11], s[10:11], 0
	s_mov_b32 s27, s8
	s_cvt_f32_u32 s7, s10
	s_cvt_f32_u32 s9, s11
	s_sub_nc_u64 s[14:15], 0, s[10:11]
	s_wait_alu 0xfffe
	s_delay_alu instid0(SALU_CYCLE_1) | instskip(SKIP_1) | instid1(SALU_CYCLE_2)
	s_fmamk_f32 s7, s9, 0x4f800000, s7
	s_wait_alu 0xfffe
	v_s_rcp_f32 s7, s7
	s_delay_alu instid0(TRANS32_DEP_1) | instskip(SKIP_1) | instid1(SALU_CYCLE_2)
	s_mul_f32 s7, s7, 0x5f7ffffc
	s_wait_alu 0xfffe
	s_mul_f32 s9, s7, 0x2f800000
	s_delay_alu instid0(SALU_CYCLE_3) | instskip(NEXT) | instid1(SALU_CYCLE_3)
	s_trunc_f32 s9, s9
	s_fmamk_f32 s7, s9, 0xcf800000, s7
	s_cvt_u32_f32 s13, s9
	s_wait_alu 0xfffe
	s_delay_alu instid0(SALU_CYCLE_1) | instskip(NEXT) | instid1(SALU_CYCLE_3)
	s_cvt_u32_f32 s12, s7
	s_mul_u64 s[24:25], s[14:15], s[12:13]
	s_delay_alu instid0(SALU_CYCLE_1)
	s_mul_hi_u32 s29, s12, s25
	s_mul_i32 s28, s12, s25
	s_mul_hi_u32 s22, s12, s24
	s_mul_i32 s9, s13, s24
	s_add_nc_u64 s[22:23], s[22:23], s[28:29]
	s_mul_hi_u32 s7, s13, s24
	s_mul_hi_u32 s21, s13, s25
	s_add_co_u32 s9, s22, s9
	s_wait_alu 0xfffe
	s_add_co_ci_u32 s26, s23, s7
	s_mul_i32 s24, s13, s25
	s_add_co_ci_u32 s25, s21, 0
	s_delay_alu instid0(SALU_CYCLE_1)
	s_add_nc_u64 s[22:23], s[26:27], s[24:25]
	s_mov_b32 s25, s8
	s_add_co_u32 s12, s12, s22
	s_cselect_b32 s7, -1, 0
	s_wait_alu 0xfffe
	s_cmp_lg_u32 s7, 0
	s_add_co_ci_u32 s13, s13, s23
	s_mov_b32 s23, s8
	s_mul_u64 s[14:15], s[14:15], s[12:13]
	s_delay_alu instid0(SALU_CYCLE_1)
	s_mul_hi_u32 s27, s12, s15
	s_mul_i32 s26, s12, s15
	s_mul_hi_u32 s22, s12, s14
	s_mul_i32 s9, s13, s14
	s_add_nc_u64 s[22:23], s[22:23], s[26:27]
	s_mul_hi_u32 s7, s13, s14
	s_mul_hi_u32 s21, s13, s15
	s_add_co_u32 s9, s22, s9
	s_wait_alu 0xfffe
	s_add_co_ci_u32 s24, s23, s7
	s_mul_i32 s14, s13, s15
	s_add_co_ci_u32 s15, s21, 0
	s_mov_b32 s23, s8
	s_add_nc_u64 s[14:15], s[24:25], s[14:15]
	s_delay_alu instid0(SALU_CYCLE_1) | instskip(SKIP_1) | instid1(SALU_CYCLE_1)
	s_add_co_u32 s7, s12, s14
	s_cselect_b32 s9, -1, 0
	s_cmp_lg_u32 s9, 0
	s_add_co_ci_u32 s9, s13, s15
	s_ashr_i32 s12, s3, 31
	s_delay_alu instid0(SALU_CYCLE_1) | instskip(NEXT) | instid1(SALU_CYCLE_1)
	s_mov_b32 s13, s12
	s_add_nc_u64 s[14:15], s[2:3], s[12:13]
	s_delay_alu instid0(SALU_CYCLE_1) | instskip(NEXT) | instid1(SALU_CYCLE_1)
	s_xor_b64 s[14:15], s[14:15], s[12:13]
	s_mul_hi_u32 s27, s14, s9
	s_mul_i32 s26, s14, s9
	s_wait_alu 0xfffe
	s_mul_hi_u32 s22, s14, s7
	s_mul_hi_u32 s21, s15, s7
	s_mul_i32 s7, s15, s7
	s_add_nc_u64 s[22:23], s[22:23], s[26:27]
	s_mul_hi_u32 s3, s15, s9
	s_wait_alu 0xfffe
	s_add_co_u32 s7, s22, s7
	s_add_co_ci_u32 s24, s23, s21
	s_mul_i32 s26, s15, s9
	s_add_co_ci_u32 s27, s3, 0
	s_delay_alu instid0(SALU_CYCLE_1) | instskip(NEXT) | instid1(SALU_CYCLE_1)
	s_add_nc_u64 s[22:23], s[24:25], s[26:27]
	s_mul_u64 s[24:25], s[10:11], s[22:23]
	s_add_nc_u64 s[26:27], s[22:23], 1
	s_sub_co_u32 s3, s14, s24
	s_cselect_b32 s7, -1, 0
	s_sub_co_i32 s9, s15, s25
	s_wait_alu 0xfffe
	s_cmp_lg_u32 s7, 0
	s_add_nc_u64 s[28:29], s[22:23], 2
	s_sub_co_ci_u32 s9, s9, s11
	s_sub_co_u32 s14, s3, s10
	s_cselect_b32 s21, -1, 0
	s_delay_alu instid0(SALU_CYCLE_1) | instskip(SKIP_1) | instid1(SALU_CYCLE_1)
	s_cmp_lg_u32 s21, 0
	s_sub_co_ci_u32 s9, s9, 0
	s_cmp_ge_u32 s9, s11
	s_cselect_b32 s21, -1, 0
	s_cmp_ge_u32 s14, s10
	s_cselect_b32 s14, -1, 0
	s_cmp_eq_u32 s9, s11
	s_cselect_b32 s9, s14, s21
	s_delay_alu instid0(SALU_CYCLE_1)
	s_cmp_lg_u32 s9, 0
	s_cselect_b32 s9, s28, s26
	s_cselect_b32 s14, s29, s27
	s_cmp_lg_u32 s7, 0
	s_sub_co_ci_u32 s7, s15, s25
	s_wait_alu 0xfffe
	s_cmp_ge_u32 s7, s11
	s_cselect_b32 s15, -1, 0
	s_cmp_ge_u32 s3, s10
	s_cselect_b32 s3, -1, 0
	s_cmp_eq_u32 s7, s11
	s_cselect_b32 s3, s3, s15
	s_delay_alu instid0(SALU_CYCLE_1) | instskip(SKIP_3) | instid1(SALU_CYCLE_1)
	s_cmp_lg_u32 s3, 0
	s_cselect_b32 s11, s14, s23
	s_cselect_b32 s10, s9, s22
	s_xor_b64 s[12:13], s[12:13], 0
	s_xor_b64 s[10:11], s[10:11], s[12:13]
	s_delay_alu instid0(SALU_CYCLE_1)
	s_sub_nc_u64 s[10:11], s[10:11], s[12:13]
	s_load_b96 s[12:14], s[0:1], 0x44
	s_and_not1_b32 vcc_lo, exec_lo, s8
	s_cbranch_vccnz .LBB20_6
.LBB20_5:
	v_cvt_f32_u32_e32 v1, s16
	s_sub_co_i32 s7, 0, s16
	s_delay_alu instid0(VALU_DEP_1) | instskip(NEXT) | instid1(TRANS32_DEP_1)
	v_rcp_iflag_f32_e32 v1, v1
	v_mul_f32_e32 v1, 0x4f7ffffe, v1
	s_delay_alu instid0(VALU_DEP_1) | instskip(NEXT) | instid1(VALU_DEP_1)
	v_cvt_u32_f32_e32 v1, v1
	v_readfirstlane_b32 s3, v1
	s_wait_alu 0xfffe
	s_mul_i32 s7, s7, s3
	s_wait_alu 0xfffe
	s_mul_hi_u32 s7, s3, s7
	s_wait_alu 0xfffe
	s_add_co_i32 s3, s3, s7
	s_delay_alu instid0(SALU_CYCLE_1) | instskip(NEXT) | instid1(SALU_CYCLE_1)
	s_mul_hi_u32 s3, s2, s3
	s_mul_i32 s7, s3, s16
	s_wait_alu 0xfffe
	s_sub_co_i32 s2, s2, s7
	s_add_co_i32 s7, s3, 1
	s_sub_co_i32 s8, s2, s16
	s_cmp_ge_u32 s2, s16
	s_wait_alu 0xfffe
	s_cselect_b32 s3, s7, s3
	s_cselect_b32 s2, s8, s2
	s_add_co_i32 s7, s3, 1
	s_cmp_ge_u32 s2, s16
	s_wait_alu 0xfffe
	s_cselect_b32 s10, s7, s3
.LBB20_6:
	s_mov_b32 s21, 0
	s_wait_kmcnt 0x0
	s_mov_b32 s22, s12
	s_mov_b32 s23, s21
	s_cmp_eq_u32 s20, s10
	s_mul_u64 s[2:3], s[20:21], s[22:23]
	s_cselect_b32 s7, -1, 0
	s_add_co_i32 s2, s3, s20
	s_mov_b32 s11, s21
	s_lshr_b32 s12, s2, s13
	s_mul_u64 s[2:3], s[10:11], s[22:23]
	s_mul_i32 s2, s12, s14
	s_delay_alu instid0(SALU_CYCLE_1) | instskip(SKIP_2) | instid1(SALU_CYCLE_1)
	s_cmp_eq_u32 s2, s20
	s_cselect_b32 s2, -1, 0
	s_add_co_i32 s3, s3, s10
	s_lshr_b32 s3, s3, s13
	s_delay_alu instid0(SALU_CYCLE_1)
	s_cmp_eq_u32 s12, s3
	s_mul_i32 s3, s3, s14
	s_cselect_b32 s8, -1, 0
	s_cmp_lg_u32 s3, s10
	s_cselect_b32 s3, -1, 0
	s_wait_alu 0xfffe
	s_or_b32 s2, s7, s2
	s_and_b32 s3, s8, s3
	s_delay_alu instid0(SALU_CYCLE_1) | instskip(NEXT) | instid1(SALU_CYCLE_1)
	s_or_b32 s2, s2, s3
	s_and_b32 vcc_lo, exec_lo, s2
	s_cbranch_vccnz .LBB20_24
; %bb.7:
	s_load_b256 s[24:31], s[0:1], 0x20
	s_mov_b32 s3, s21
	s_wait_kmcnt 0x0
	s_mov_b32 s2, s24
	s_delay_alu instid0(SALU_CYCLE_1) | instskip(NEXT) | instid1(SALU_CYCLE_1)
	s_mul_u64 s[2:3], s[20:21], s[2:3]
	s_add_co_i32 s2, s3, s20
	s_delay_alu instid0(SALU_CYCLE_1) | instskip(SKIP_2) | instid1(SALU_CYCLE_1)
	s_lshr_b32 s7, s2, s25
	s_load_b32 s2, s[0:1], 0x40
	s_mul_i32 s3, s7, s26
	s_sub_co_i32 s3, s20, s3
	s_delay_alu instid0(SALU_CYCLE_1) | instskip(NEXT) | instid1(SALU_CYCLE_1)
	s_mul_hi_u32 s8, s3, s27
	s_add_co_i32 s8, s3, s8
	s_delay_alu instid0(SALU_CYCLE_1) | instskip(NEXT) | instid1(SALU_CYCLE_1)
	s_lshr_b32 s15, s8, s28
	s_mul_i32 s8, s15, s29
	s_delay_alu instid0(SALU_CYCLE_1) | instskip(NEXT) | instid1(SALU_CYCLE_1)
	s_sub_co_i32 s8, s3, s8
	s_mul_hi_u32 s3, s8, s30
	s_delay_alu instid0(SALU_CYCLE_1) | instskip(NEXT) | instid1(SALU_CYCLE_1)
	s_add_co_i32 s3, s8, s3
	s_lshr_b32 s10, s3, s31
	s_mov_b32 s3, s21
	s_wait_kmcnt 0x0
	s_mul_i32 s2, s10, s2
	s_lshl_b32 s24, s10, 2
	s_sub_co_i32 s2, s8, s2
	s_delay_alu instid0(SALU_CYCLE_1) | instskip(SKIP_2) | instid1(SALU_CYCLE_1)
	s_mul_u64 s[8:9], s[2:3], s[22:23]
	s_lshr_b32 s3, ttmp7, 16
	s_add_co_i32 s2, s2, s9
	s_lshr_b32 s21, s2, s13
	s_and_b32 s2, ttmp7, 0xffff
	s_lshl_b32 s8, s21, 4
	s_delay_alu instid0(SALU_CYCLE_1) | instskip(NEXT) | instid1(SALU_CYCLE_1)
	s_add_co_i32 s8, s8, s2
	s_cmp_lt_i32 s8, s4
	s_cselect_b32 s8, -1, 0
	s_add_co_i32 s24, s24, s3
	s_delay_alu instid0(SALU_CYCLE_1) | instskip(SKIP_1) | instid1(SALU_CYCLE_1)
	s_cmp_lt_i32 s24, s6
	s_cselect_b32 s9, -1, 0
	s_and_b32 s8, s8, s9
	s_delay_alu instid0(SALU_CYCLE_1)
	s_and_not1_b32 vcc_lo, exec_lo, s8
	s_cbranch_vccnz .LBB20_24
; %bb.8:
	s_mul_i32 s4, s7, s4
	s_load_b128 s[8:11], s[0:1], 0x0
	s_add_co_i32 s0, s4, s2
	s_mul_i32 s15, s15, s6
	s_mul_i32 s0, s0, s5
	s_add_co_i32 s1, s24, s15
	s_mul_i32 s4, s5, s21
	s_add_co_i32 s0, s1, s0
	s_mulk_i32 s4, 0x600
	s_mulk_i32 s0, 0x60
	s_lshl_b32 s15, s2, 2
	v_add3_u32 v1, s4, s0, v0
	s_add_nc_u64 s[0:1], s[16:17], 0
	s_add_co_i32 s15, s15, s3
	s_wait_alu 0xfffe
	s_xor_b64 s[6:7], s[0:1], 0
	s_lshl_b32 s0, ttmp9, 6
	v_ashrrev_i32_e32 v2, 31, v1
	s_wait_alu 0xfffe
	s_cvt_f32_u32 s1, s6
	s_cvt_f32_u32 s2, s7
	s_add_co_i32 s0, s15, s0
	v_cvt_f32_u32_e32 v3, s16
	v_lshlrev_b64_e32 v[1:2], 2, v[1:2]
	s_wait_alu 0xfffe
	s_fmamk_f32 s2, s2, 0x4f800000, s1
	s_ashr_i32 s1, s0, 31
	s_add_co_i32 s34, ttmp9, -1
	s_wait_alu 0xfffe
	s_lshl_b64 s[0:1], s[0:1], 3
	v_s_rcp_f32 s2, s2
	s_wait_kmcnt 0x0
	v_add_co_u32 v1, vcc_lo, s8, v1
	s_delay_alu instid0(VALU_DEP_1)
	v_add_co_ci_u32_e64 v2, null, s9, v2, vcc_lo
	s_wait_alu 0xfffe
	s_add_nc_u64 s[0:1], s[10:11], s[0:1]
	v_rcp_iflag_f32_e32 v3, v3
	s_load_b64 s[26:27], s[0:1], 0x0
	global_load_b32 v5, v[1:2], off
	s_mul_f32 s2, s2, 0x5f7ffffc
	s_mov_b32 s8, 0
	s_lshl_b32 s0, s16, 8
	s_wait_alu 0xfffe
	s_mov_b32 s1, s8
	s_mul_f32 s3, s2, 0x2f800000
	s_wait_alu 0xfffe
	s_lshl_b64 s[0:1], s[0:1], 2
	s_sub_nc_u64 s[30:31], 0, s[6:7]
	v_mul_f32_e32 v6, 0x4f7ffffe, v3
	s_trunc_f32 s3, s3
	s_wait_alu 0xfffe
	s_add_nc_u64 s[24:25], s[10:11], s[0:1]
	v_mad_co_u64_u32 v[3:4], null, 0x60, s15, v[0:1]
	s_fmamk_f32 s0, s3, 0xcf800000, s2
	v_cvt_u32_f32_e32 v0, v6
	s_cvt_u32_f32 s29, s3
	s_wait_alu 0xfffe
	s_cvt_u32_f32 s28, s0
	s_wait_kmcnt 0x0
	v_mov_b32_e32 v4, s27
.LBB20_9:                               ; =>This Inner Loop Header: Depth=1
	s_wait_alu 0xfffe
	s_ashr_i32 s35, s34, 31
	s_mov_b32 s2, -1
	s_wait_alu 0xfffe
	s_mul_u64 s[0:1], s[34:35], s[18:19]
                                        ; implicit-def: $sgpr38_sgpr39
	s_wait_alu 0xfffe
	s_mov_b32 s9, s1
	s_wait_alu 0xfffe
	s_cmp_lg_u64 s[8:9], 0
	s_cbranch_scc0 .LBB20_11
; %bb.10:                               ;   in Loop: Header=BB20_9 Depth=1
	s_mul_u64 s[2:3], s[30:31], s[28:29]
	s_mov_b32 s37, s8
	s_wait_alu 0xfffe
	s_mul_hi_u32 s5, s28, s3
	s_mul_i32 s4, s28, s3
	s_mul_hi_u32 s36, s28, s2
	s_mul_hi_u32 s9, s29, s2
	s_wait_alu 0xfffe
	s_add_nc_u64 s[4:5], s[36:37], s[4:5]
	s_mul_i32 s2, s29, s2
	s_mul_hi_u32 s17, s29, s3
	s_wait_alu 0xfffe
	s_add_co_u32 s2, s4, s2
	s_add_co_ci_u32 s2, s5, s9
	s_add_co_ci_u32 s5, s17, 0
	s_mul_i32 s4, s29, s3
	s_mov_b32 s3, s8
	s_mov_b32 s39, s8
	s_wait_alu 0xfffe
	s_add_nc_u64 s[2:3], s[2:3], s[4:5]
	s_wait_alu 0xfffe
	s_add_co_u32 s2, s28, s2
	s_cselect_b32 s4, -1, 0
	s_wait_alu 0xfffe
	s_cmp_lg_u32 s4, 0
	s_add_co_ci_u32 s3, s29, s3
	s_wait_alu 0xfffe
	s_mul_u64 s[4:5], s[30:31], s[2:3]
	s_wait_alu 0xfffe
	s_mul_hi_u32 s37, s2, s5
	s_mul_i32 s36, s2, s5
	s_mul_hi_u32 s38, s2, s4
	s_mul_hi_u32 s9, s3, s4
	s_mul_i32 s4, s3, s4
	s_wait_alu 0xfffe
	s_add_nc_u64 s[36:37], s[38:39], s[36:37]
	s_mul_hi_u32 s17, s3, s5
	s_wait_alu 0xfffe
	s_add_co_u32 s4, s36, s4
	s_add_co_ci_u32 s4, s37, s9
	s_add_co_ci_u32 s37, s17, 0
	s_mul_i32 s36, s3, s5
	s_mov_b32 s5, s8
	s_wait_alu 0xfffe
	s_add_nc_u64 s[4:5], s[4:5], s[36:37]
	s_mov_b32 s37, s8
	s_wait_alu 0xfffe
	s_add_co_u32 s9, s2, s4
	s_cselect_b32 s2, -1, 0
	s_wait_alu 0xfffe
	s_cmp_lg_u32 s2, 0
	s_add_co_ci_u32 s17, s3, s5
	s_ashr_i32 s2, s1, 31
	s_wait_alu 0xfffe
	s_mov_b32 s3, s2
	s_wait_alu 0xfffe
	s_add_nc_u64 s[4:5], s[0:1], s[2:3]
	s_wait_alu 0xfffe
	s_xor_b64 s[4:5], s[4:5], s[2:3]
	s_wait_alu 0xfffe
	s_mul_hi_u32 s39, s4, s17
	s_mul_i32 s38, s4, s17
	s_mul_hi_u32 s36, s4, s9
	s_mul_i32 s21, s5, s9
	s_wait_alu 0xfffe
	s_add_nc_u64 s[36:37], s[36:37], s[38:39]
	s_mul_hi_u32 s9, s5, s9
	s_mul_hi_u32 s1, s5, s17
	s_wait_alu 0xfffe
	s_add_co_u32 s21, s36, s21
	s_add_co_ci_u32 s36, s37, s9
	s_add_co_ci_u32 s39, s1, 0
	s_mul_i32 s38, s5, s17
	s_mov_b32 s37, s8
	s_wait_alu 0xfffe
	s_add_nc_u64 s[36:37], s[36:37], s[38:39]
	s_wait_alu 0xfffe
	s_mul_u64 s[38:39], s[6:7], s[36:37]
	s_add_nc_u64 s[40:41], s[36:37], 1
	s_sub_co_u32 s1, s4, s38
	s_cselect_b32 s4, -1, 0
	s_sub_co_i32 s9, s5, s39
	s_wait_alu 0xfffe
	s_cmp_lg_u32 s4, 0
	s_add_nc_u64 s[42:43], s[36:37], 2
	s_sub_co_ci_u32 s9, s9, s7
	s_sub_co_u32 s17, s1, s6
	s_cselect_b32 s21, -1, 0
	s_delay_alu instid0(SALU_CYCLE_1)
	s_cmp_lg_u32 s21, 0
	s_wait_alu 0xfffe
	s_sub_co_ci_u32 s9, s9, 0
	s_wait_alu 0xfffe
	s_cmp_ge_u32 s9, s7
	s_cselect_b32 s21, -1, 0
	s_cmp_ge_u32 s17, s6
	s_cselect_b32 s17, -1, 0
	s_cmp_eq_u32 s9, s7
	s_wait_alu 0xfffe
	s_cselect_b32 s9, s17, s21
	s_wait_alu 0xfffe
	s_cmp_lg_u32 s9, 0
	s_cselect_b32 s9, s42, s40
	s_cselect_b32 s17, s43, s41
	s_cmp_lg_u32 s4, 0
	s_sub_co_ci_u32 s4, s5, s39
	s_wait_alu 0xfffe
	s_cmp_ge_u32 s4, s7
	s_cselect_b32 s5, -1, 0
	s_cmp_ge_u32 s1, s6
	s_cselect_b32 s1, -1, 0
	s_cmp_eq_u32 s4, s7
	s_wait_alu 0xfffe
	s_cselect_b32 s1, s1, s5
	s_wait_alu 0xfffe
	s_cmp_lg_u32 s1, 0
	s_cselect_b32 s5, s17, s37
	s_cselect_b32 s4, s9, s36
	s_xor_b64 s[2:3], s[2:3], 0
	s_wait_alu 0xfffe
	s_xor_b64 s[4:5], s[4:5], s[2:3]
	s_wait_alu 0xfffe
	s_sub_nc_u64 s[38:39], s[4:5], s[2:3]
	s_mov_b32 s2, 0
.LBB20_11:                              ;   in Loop: Header=BB20_9 Depth=1
	s_wait_alu 0xfffe
	s_and_not1_b32 vcc_lo, exec_lo, s2
	s_wait_alu 0xfffe
	s_cbranch_vccnz .LBB20_13
; %bb.12:                               ;   in Loop: Header=BB20_9 Depth=1
	v_readfirstlane_b32 s1, v0
	s_sub_co_i32 s2, 0, s16
	s_wait_alu 0xfffe
	s_mul_i32 s2, s2, s1
	s_wait_alu 0xfffe
	s_mul_hi_u32 s2, s1, s2
	s_wait_alu 0xfffe
	s_add_co_i32 s1, s1, s2
	s_wait_alu 0xfffe
	s_mul_hi_u32 s1, s0, s1
	s_wait_alu 0xfffe
	s_mul_i32 s2, s1, s16
	s_wait_alu 0xfffe
	s_sub_co_i32 s0, s0, s2
	s_add_co_i32 s2, s1, 1
	s_wait_alu 0xfffe
	s_sub_co_i32 s3, s0, s16
	s_cmp_ge_u32 s0, s16
	s_cselect_b32 s1, s2, s1
	s_wait_alu 0xfffe
	s_cselect_b32 s0, s3, s0
	s_add_co_i32 s2, s1, 1
	s_wait_alu 0xfffe
	s_cmp_ge_u32 s0, s16
	s_cselect_b32 s38, s2, s1
.LBB20_13:                              ;   in Loop: Header=BB20_9 Depth=1
	v_readfirstlane_b32 s9, v0
	s_cmp_lg_u32 s20, s38
	s_mov_b32 s0, -1
                                        ; implicit-def: $sgpr21
                                        ; implicit-def: $vgpr6
                                        ; implicit-def: $vgpr7
                                        ; implicit-def: $sgpr17
                                        ; implicit-def: $sgpr27
	s_cbranch_scc1 .LBB20_16
; %bb.14:                               ;   in Loop: Header=BB20_9 Depth=1
	s_wait_alu 0xfffe
	s_and_not1_b32 vcc_lo, exec_lo, s0
	s_wait_alu 0xfffe
	s_cbranch_vccz .LBB20_19
.LBB20_15:                              ;   in Loop: Header=BB20_9 Depth=1
	s_and_not1_b32 vcc_lo, exec_lo, s21
	s_wait_alu 0xfffe
	s_cbranch_vccnz .LBB20_20
	s_branch .LBB20_23
.LBB20_16:                              ;   in Loop: Header=BB20_9 Depth=1
	s_add_co_i32 s0, s34, s16
	s_mov_b32 s1, s8
	s_wait_alu 0xfffe
	s_lshl_b32 s0, s0, 6
	v_max_num_f32_e64 v6, s26, s26
	s_wait_alu 0xfffe
	s_add_co_i32 s0, s0, s15
	s_mov_b32 s39, s8
	s_wait_alu 0xfffe
	s_lshl_b64 s[0:1], s[0:1], 3
	s_mul_u64 s[40:41], s[38:39], s[22:23]
	s_wait_alu 0xfffe
	s_add_nc_u64 s[0:1], s[10:11], s[0:1]
	s_mov_b32 s27, s20
	s_load_b64 s[36:37], s[0:1], 0x0
	v_readfirstlane_b32 s0, v6
	s_wait_kmcnt 0x0
	v_max_num_f32_e64 v7, s36, s36
	s_delay_alu instid0(VALU_DEP_1) | instskip(SKIP_2) | instid1(SALU_CYCLE_2)
	v_readfirstlane_b32 s1, v7
	s_max_num_f32 s9, s0, s1
	s_wait_alu 0xfffe
	s_sub_f32 s33, s26, s9
	s_sub_f32 s35, s36, s9
	s_wait_alu 0xfffe
	s_delay_alu instid0(SALU_CYCLE_1)
	s_cmp_nlt_f32 s33, 0xc2ce8ed0
	s_cselect_b32 s0, -1, 0
	s_cmp_ngt_f32 s33, 0x42b17218
	s_cselect_b32 s1, -1, 0
	s_cmp_ge_f32 s33, 0xc1a00000
	s_cselect_b32 s2, -1, 0
	s_cmp_nlt_f32 s35, 0xc2ce8ed0
	s_cselect_b32 s3, -1, 0
	s_cmp_ngt_f32 s35, 0x42b17218
	s_cselect_b32 s4, -1, 0
	s_cmp_ge_f32 s35, 0xc1a00000
	s_cselect_b32 s5, -1, 0
	s_add_co_i32 s17, s41, s38
	s_wait_alu 0xfffe
	s_lshr_b32 s17, s17, s13
	s_wait_alu 0xfffe
	s_mul_i32 s21, s17, s14
	s_delay_alu instid0(SALU_CYCLE_1)
	s_cmp_eq_u32 s21, s38
	s_cselect_b32 s21, -1, 0
	s_cmp_lt_u32 s17, s12
	s_cselect_b32 s17, -1, 0
	s_wait_alu 0xfffe
	s_or_b32 s17, s17, s21
	s_mov_b32 s21, -1
	s_wait_alu 0xfffe
	s_and_b32 vcc_lo, exec_lo, s17
	s_mov_b32 s17, s34
	s_wait_alu 0xfffe
	s_cbranch_vccnz .LBB20_18
; %bb.17:                               ;   in Loop: Header=BB20_9 Depth=1
	s_add_co_i32 s17, s34, -1
	s_mov_b32 s21, 0
	s_mov_b32 s27, s38
.LBB20_18:                              ;   in Loop: Header=BB20_9 Depth=1
	v_mad_co_u64_u32 v[6:7], null, 0x1800, s34, v[3:4]
	s_mul_f32 s36, s35, 0x3fb8aa3b
	s_mul_f32 s38, s33, 0x3fb8aa3b
	s_wait_alu 0xfffe
	s_delay_alu instid0(SALU_CYCLE_1)
	s_xor_b32 s39, s36, 0x80000000
	s_rndne_f32 s40, s36
	v_ashrrev_i32_e32 v7, 31, v6
	s_fmamk_f32 s39, s35, 0x3fb8aa3b, s39
	s_xor_b32 s41, s38, 0x80000000
	s_sub_f32 s36, s36, s40
	s_rndne_f32 s42, s38
	v_lshlrev_b64_e32 v[6:7], 2, v[6:7]
	s_fmamk_f32 s35, s35, 0x32a5705f, s39
	s_fmamk_f32 s39, s33, 0x3fb8aa3b, s41
	s_sub_f32 s38, s38, s42
	s_wait_alu 0xfffe
	s_add_f32 s35, s36, s35
	v_add_co_u32 v6, vcc_lo, s24, v6
	s_wait_alu 0xfffd
	v_add_co_ci_u32_e64 v7, null, s25, v7, vcc_lo
	s_fmamk_f32 s33, s33, 0x32a5705f, s39
	s_wait_alu 0xfffe
	v_s_exp_f32 s35, s35
	s_cvt_i32_f32 s36, s40
	global_load_b32 v6, v[6:7], off
	s_add_f32 s33, s38, s33
	s_wait_alu 0xfffe
	s_delay_alu instid0(SALU_CYCLE_2) | instskip(SKIP_2) | instid1(VALU_DEP_1)
	v_s_exp_f32 s33, s33
	v_ldexp_f32 v7, s35, s36
	s_cvt_i32_f32 s35, s42
	v_cndmask_b32_e64 v7, 0, v7, s3
	s_wait_alu 0xf1fe
	s_delay_alu instid0(TRANS32_DEP_1) | instid1(SALU_CYCLE_1)
	v_ldexp_f32 v8, s33, s35
	s_delay_alu instid0(VALU_DEP_2) | instskip(NEXT) | instid1(VALU_DEP_2)
	v_cndmask_b32_e64 v7, 0x7f800000, v7, s4
	v_cndmask_b32_e64 v8, 0, v8, s0
	s_delay_alu instid0(VALU_DEP_2) | instskip(NEXT) | instid1(VALU_DEP_2)
	v_cndmask_b32_e64 v7, 0, v7, s5
	v_cndmask_b32_e64 v8, 0x7f800000, v8, s1
	s_delay_alu instid0(VALU_DEP_1) | instskip(SKIP_1) | instid1(VALU_DEP_3)
	v_cndmask_b32_e64 v8, 0, v8, s2
	s_wait_loadcnt 0x0
	v_mul_f32_e32 v6, v6, v7
	v_mul_f32_e32 v7, s37, v7
	s_delay_alu instid0(VALU_DEP_1) | instskip(NEXT) | instid1(VALU_DEP_3)
	v_fmac_f32_e32 v7, v4, v8
	v_fmac_f32_e32 v6, v5, v8
	s_cbranch_execnz .LBB20_15
.LBB20_19:                              ;   in Loop: Header=BB20_9 Depth=1
	s_wait_loadcnt 0x0
	v_dual_mov_b32 v7, v4 :: v_dual_mov_b32 v6, v5
	s_add_co_i32 s17, s34, -1
	s_mov_b32 s27, s20
	s_mov_b32 s9, s26
	s_cbranch_execz .LBB20_23
.LBB20_20:                              ;   in Loop: Header=BB20_9 Depth=1
	s_wait_loadcnt 0x0
	v_dual_mov_b32 v4, v7 :: v_dual_mov_b32 v5, v6
	s_wait_alu 0xfffe
	s_mov_b32 s20, s27
	s_mov_b32 s34, s17
	;; [unrolled: 1-line block ×3, first 2 shown]
	s_branch .LBB20_9
.LBB20_21:
                                        ; implicit-def: $sgpr20_sgpr21
	s_branch .LBB20_2
.LBB20_22:
                                        ; implicit-def: $sgpr10_sgpr11
	s_load_b96 s[12:14], s[0:1], 0x44
	s_branch .LBB20_5
.LBB20_23:
	v_div_scale_f32 v0, null, v7, v7, v6
	s_delay_alu instid0(VALU_DEP_1) | instskip(NEXT) | instid1(TRANS32_DEP_1)
	v_rcp_f32_e32 v3, v0
	v_fma_f32 v4, -v0, v3, 1.0
	s_delay_alu instid0(VALU_DEP_1) | instskip(SKIP_2) | instid1(VALU_DEP_1)
	v_fmac_f32_e32 v3, v4, v3
	v_div_scale_f32 v4, vcc_lo, v6, v7, v6
	s_wait_loadcnt 0x0
	v_mul_f32_e32 v5, v4, v3
	s_delay_alu instid0(VALU_DEP_1) | instskip(NEXT) | instid1(VALU_DEP_1)
	v_fma_f32 v8, -v0, v5, v4
	v_fmac_f32_e32 v5, v8, v3
	s_delay_alu instid0(VALU_DEP_1) | instskip(SKIP_1) | instid1(VALU_DEP_1)
	v_fma_f32 v0, -v0, v5, v4
	s_wait_alu 0xfffd
	v_div_fmas_f32 v0, v0, v3, v5
	s_delay_alu instid0(VALU_DEP_1)
	v_div_fixup_f32 v0, v0, v7, v6
	global_store_b32 v[1:2], v0, off
.LBB20_24:
	s_endpgm
	.section	.rodata,"a",@progbits
	.p2align	6, 0x0
	.amdhsa_kernel _ZL33flash_attn_stream_k_fixup_generalILi96ELi16ELi4EEvPfPK15HIP_vector_typeIfLj2EEiiiiS1_IjLj3EES5_S5_S5_
		.amdhsa_group_segment_fixed_size 0
		.amdhsa_private_segment_fixed_size 0
		.amdhsa_kernarg_size 336
		.amdhsa_user_sgpr_count 2
		.amdhsa_user_sgpr_dispatch_ptr 0
		.amdhsa_user_sgpr_queue_ptr 0
		.amdhsa_user_sgpr_kernarg_segment_ptr 1
		.amdhsa_user_sgpr_dispatch_id 0
		.amdhsa_user_sgpr_private_segment_size 0
		.amdhsa_wavefront_size32 1
		.amdhsa_uses_dynamic_stack 0
		.amdhsa_enable_private_segment 0
		.amdhsa_system_sgpr_workgroup_id_x 1
		.amdhsa_system_sgpr_workgroup_id_y 1
		.amdhsa_system_sgpr_workgroup_id_z 1
		.amdhsa_system_sgpr_workgroup_info 0
		.amdhsa_system_vgpr_workitem_id 0
		.amdhsa_next_free_vgpr 9
		.amdhsa_next_free_sgpr 44
		.amdhsa_reserve_vcc 1
		.amdhsa_float_round_mode_32 0
		.amdhsa_float_round_mode_16_64 0
		.amdhsa_float_denorm_mode_32 3
		.amdhsa_float_denorm_mode_16_64 3
		.amdhsa_fp16_overflow 0
		.amdhsa_workgroup_processor_mode 1
		.amdhsa_memory_ordered 1
		.amdhsa_forward_progress 1
		.amdhsa_inst_pref_size 28
		.amdhsa_round_robin_scheduling 0
		.amdhsa_exception_fp_ieee_invalid_op 0
		.amdhsa_exception_fp_denorm_src 0
		.amdhsa_exception_fp_ieee_div_zero 0
		.amdhsa_exception_fp_ieee_overflow 0
		.amdhsa_exception_fp_ieee_underflow 0
		.amdhsa_exception_fp_ieee_inexact 0
		.amdhsa_exception_int_div_zero 0
	.end_amdhsa_kernel
	.section	.text._ZL33flash_attn_stream_k_fixup_generalILi96ELi16ELi4EEvPfPK15HIP_vector_typeIfLj2EEiiiiS1_IjLj3EES5_S5_S5_,"axG",@progbits,_ZL33flash_attn_stream_k_fixup_generalILi96ELi16ELi4EEvPfPK15HIP_vector_typeIfLj2EEiiiiS1_IjLj3EES5_S5_S5_,comdat
.Lfunc_end20:
	.size	_ZL33flash_attn_stream_k_fixup_generalILi96ELi16ELi4EEvPfPK15HIP_vector_typeIfLj2EEiiiiS1_IjLj3EES5_S5_S5_, .Lfunc_end20-_ZL33flash_attn_stream_k_fixup_generalILi96ELi16ELi4EEvPfPK15HIP_vector_typeIfLj2EEiiiiS1_IjLj3EES5_S5_S5_
                                        ; -- End function
	.set _ZL33flash_attn_stream_k_fixup_generalILi96ELi16ELi4EEvPfPK15HIP_vector_typeIfLj2EEiiiiS1_IjLj3EES5_S5_S5_.num_vgpr, 9
	.set _ZL33flash_attn_stream_k_fixup_generalILi96ELi16ELi4EEvPfPK15HIP_vector_typeIfLj2EEiiiiS1_IjLj3EES5_S5_S5_.num_agpr, 0
	.set _ZL33flash_attn_stream_k_fixup_generalILi96ELi16ELi4EEvPfPK15HIP_vector_typeIfLj2EEiiiiS1_IjLj3EES5_S5_S5_.numbered_sgpr, 44
	.set _ZL33flash_attn_stream_k_fixup_generalILi96ELi16ELi4EEvPfPK15HIP_vector_typeIfLj2EEiiiiS1_IjLj3EES5_S5_S5_.num_named_barrier, 0
	.set _ZL33flash_attn_stream_k_fixup_generalILi96ELi16ELi4EEvPfPK15HIP_vector_typeIfLj2EEiiiiS1_IjLj3EES5_S5_S5_.private_seg_size, 0
	.set _ZL33flash_attn_stream_k_fixup_generalILi96ELi16ELi4EEvPfPK15HIP_vector_typeIfLj2EEiiiiS1_IjLj3EES5_S5_S5_.uses_vcc, 1
	.set _ZL33flash_attn_stream_k_fixup_generalILi96ELi16ELi4EEvPfPK15HIP_vector_typeIfLj2EEiiiiS1_IjLj3EES5_S5_S5_.uses_flat_scratch, 0
	.set _ZL33flash_attn_stream_k_fixup_generalILi96ELi16ELi4EEvPfPK15HIP_vector_typeIfLj2EEiiiiS1_IjLj3EES5_S5_S5_.has_dyn_sized_stack, 0
	.set _ZL33flash_attn_stream_k_fixup_generalILi96ELi16ELi4EEvPfPK15HIP_vector_typeIfLj2EEiiiiS1_IjLj3EES5_S5_S5_.has_recursion, 0
	.set _ZL33flash_attn_stream_k_fixup_generalILi96ELi16ELi4EEvPfPK15HIP_vector_typeIfLj2EEiiiiS1_IjLj3EES5_S5_S5_.has_indirect_call, 0
	.section	.AMDGPU.csdata,"",@progbits
; Kernel info:
; codeLenInByte = 3540
; TotalNumSgprs: 46
; NumVgprs: 9
; ScratchSize: 0
; MemoryBound: 0
; FloatMode: 240
; IeeeMode: 1
; LDSByteSize: 0 bytes/workgroup (compile time only)
; SGPRBlocks: 0
; VGPRBlocks: 1
; NumSGPRsForWavesPerEU: 46
; NumVGPRsForWavesPerEU: 9
; Occupancy: 16
; WaveLimiterHint : 0
; COMPUTE_PGM_RSRC2:SCRATCH_EN: 0
; COMPUTE_PGM_RSRC2:USER_SGPR: 2
; COMPUTE_PGM_RSRC2:TRAP_HANDLER: 0
; COMPUTE_PGM_RSRC2:TGID_X_EN: 1
; COMPUTE_PGM_RSRC2:TGID_Y_EN: 1
; COMPUTE_PGM_RSRC2:TGID_Z_EN: 1
; COMPUTE_PGM_RSRC2:TIDIG_COMP_CNT: 0
	.section	.text._ZL15flash_attn_tileILi96ELi96ELi8ELi4ELb0EEvPKcS1_S1_S1_S1_PKiPfP15HIP_vector_typeIfLj2EEffffjfiS5_IjLj3EEiiiiiiiiiiiliiliiiiil,"axG",@progbits,_ZL15flash_attn_tileILi96ELi96ELi8ELi4ELb0EEvPKcS1_S1_S1_S1_PKiPfP15HIP_vector_typeIfLj2EEffffjfiS5_IjLj3EEiiiiiiiiiiiliiliiiiil,comdat
	.globl	_ZL15flash_attn_tileILi96ELi96ELi8ELi4ELb0EEvPKcS1_S1_S1_S1_PKiPfP15HIP_vector_typeIfLj2EEffffjfiS5_IjLj3EEiiiiiiiiiiiliiliiiiil ; -- Begin function _ZL15flash_attn_tileILi96ELi96ELi8ELi4ELb0EEvPKcS1_S1_S1_S1_PKiPfP15HIP_vector_typeIfLj2EEffffjfiS5_IjLj3EEiiiiiiiiiiiliiliiiiil
	.p2align	8
	.type	_ZL15flash_attn_tileILi96ELi96ELi8ELi4ELb0EEvPKcS1_S1_S1_S1_PKiPfP15HIP_vector_typeIfLj2EEffffjfiS5_IjLj3EEiiiiiiiiiiiliiliiiiil,@function
_ZL15flash_attn_tileILi96ELi96ELi8ELi4ELb0EEvPKcS1_S1_S1_S1_PKiPfP15HIP_vector_typeIfLj2EEffffjfiS5_IjLj3EEiiiiiiiiiiiliiliiiiil: ; @_ZL15flash_attn_tileILi96ELi96ELi8ELi4ELb0EEvPKcS1_S1_S1_S1_PKiPfP15HIP_vector_typeIfLj2EEffffjfiS5_IjLj3EEiiiiiiiiiiiliiliiiiil
; %bb.0:
	s_clause 0x1
	s_load_b128 s[24:27], s[0:1], 0x5c
	s_load_b64 s[30:31], s[0:1], 0x80
	s_lshr_b32 s5, ttmp7, 16
	s_mov_b32 s39, 0
	s_mov_b64 s[34:35], 0
	s_wait_kmcnt 0x0
	s_ashr_i32 s2, s27, 31
	s_delay_alu instid0(SALU_CYCLE_1) | instskip(NEXT) | instid1(SALU_CYCLE_1)
	s_lshr_b32 s2, s2, 30
	s_add_co_i32 s2, s27, s2
	s_delay_alu instid0(SALU_CYCLE_1) | instskip(NEXT) | instid1(SALU_CYCLE_1)
	s_ashr_i32 s2, s2, 2
	s_cvt_f32_u32 s3, s2
	s_sub_co_i32 s4, 0, s2
	s_delay_alu instid0(SALU_CYCLE_2) | instskip(NEXT) | instid1(TRANS32_DEP_1)
	v_rcp_iflag_f32_e32 v1, s3
	v_readfirstlane_b32 s3, v1
	s_mul_f32 s3, s3, 0x4f7ffffe
	s_wait_alu 0xfffe
	s_delay_alu instid0(SALU_CYCLE_2) | instskip(SKIP_1) | instid1(SALU_CYCLE_2)
	s_cvt_u32_f32 s3, s3
	s_wait_alu 0xfffe
	s_mul_i32 s4, s4, s3
	s_delay_alu instid0(SALU_CYCLE_1) | instskip(NEXT) | instid1(SALU_CYCLE_1)
	s_mul_hi_u32 s4, s3, s4
	s_add_co_i32 s3, s3, s4
	s_wait_alu 0xfffe
	s_mul_hi_u32 s3, s5, s3
	s_wait_alu 0xfffe
	s_mul_i32 s4, s3, s2
	s_add_co_i32 s6, s3, 1
	s_sub_co_i32 s4, s5, s4
	s_delay_alu instid0(SALU_CYCLE_1)
	s_sub_co_i32 s7, s4, s2
	s_cmp_ge_u32 s4, s2
	s_cselect_b32 s3, s6, s3
	s_cselect_b32 s4, s7, s4
	s_wait_alu 0xfffe
	s_add_co_i32 s6, s3, 1
	s_cmp_ge_u32 s4, s2
	s_cselect_b32 s28, s6, s3
	s_abs_i32 s2, s31
	s_abs_i32 s6, s27
	s_wait_alu 0xfffe
	s_cvt_f32_u32 s3, s2
	s_sub_co_i32 s4, 0, s2
	s_wait_alu 0xfffe
	s_delay_alu instid0(SALU_CYCLE_1) | instskip(NEXT) | instid1(TRANS32_DEP_1)
	v_rcp_iflag_f32_e32 v1, s3
	v_readfirstlane_b32 s3, v1
	s_mul_f32 s3, s3, 0x4f7ffffe
	s_wait_alu 0xfffe
	s_delay_alu instid0(SALU_CYCLE_2) | instskip(SKIP_1) | instid1(SALU_CYCLE_2)
	s_cvt_u32_f32 s3, s3
	s_wait_alu 0xfffe
	s_mul_i32 s4, s4, s3
	s_delay_alu instid0(SALU_CYCLE_1) | instskip(NEXT) | instid1(SALU_CYCLE_1)
	s_mul_hi_u32 s4, s3, s4
	s_add_co_i32 s3, s3, s4
	s_lshl_b32 s4, s5, 2
	s_wait_alu 0xfffe
	s_mul_hi_u32 s3, s6, s3
	s_xor_b32 s5, s27, s31
	s_wait_alu 0xfffe
	s_mul_i32 s7, s3, s2
	s_ashr_i32 s5, s5, 31
	s_sub_co_i32 s6, s6, s7
	s_add_co_i32 s7, s3, 1
	s_sub_co_i32 s8, s6, s2
	s_cmp_ge_u32 s6, s2
	s_cselect_b32 s3, s7, s3
	s_cselect_b32 s6, s8, s6
	s_wait_alu 0xfffe
	s_add_co_i32 s7, s3, 1
	s_cmp_ge_u32 s6, s2
	s_load_b512 s[8:23], s[0:1], 0x0
	s_cselect_b32 s2, s7, s3
	s_wait_alu 0xfffe
	s_xor_b32 s2, s2, s5
	s_wait_alu 0xfffe
	s_sub_co_i32 s33, s2, s5
	s_load_b64 s[2:3], s[0:1], 0xb8
	s_abs_i32 s31, s33
	s_delay_alu instid0(SALU_CYCLE_1) | instskip(NEXT) | instid1(SALU_CYCLE_3)
	s_cvt_f32_u32 s5, s31
	v_rcp_iflag_f32_e32 v1, s5
	s_mul_i32 s5, s28, s27
	s_wait_kmcnt 0x0
	s_cmp_eq_u64 s[14:15], 0
	s_delay_alu instid0(TRANS32_DEP_1)
	v_readfirstlane_b32 s7, v1
	s_cbranch_scc1 .LBB21_2
; %bb.1:
	s_abs_i32 s2, s2
	s_load_b64 s[34:35], s[0:1], 0xc8
	s_cvt_f32_u32 s6, s2
	s_sub_co_i32 s29, 0, s2
	s_delay_alu instid0(SALU_CYCLE_2) | instskip(NEXT) | instid1(TRANS32_DEP_1)
	v_rcp_iflag_f32_e32 v1, s6
	v_readfirstlane_b32 s6, v1
	s_mul_f32 s6, s6, 0x4f7ffffe
	s_wait_alu 0xfffe
	s_delay_alu instid0(SALU_CYCLE_2) | instskip(SKIP_1) | instid1(SALU_CYCLE_2)
	s_cvt_u32_f32 s6, s6
	s_wait_alu 0xfffe
	s_mul_i32 s29, s29, s6
	s_delay_alu instid0(SALU_CYCLE_1) | instskip(NEXT) | instid1(SALU_CYCLE_1)
	s_mul_hi_u32 s29, s6, s29
	s_add_co_i32 s6, s6, s29
	s_wait_alu 0xfffe
	s_mul_hi_u32 s6, s28, s6
	s_wait_alu 0xfffe
	s_mul_i32 s6, s6, s2
	s_wait_alu 0xfffe
	s_sub_co_i32 s6, s28, s6
	s_wait_alu 0xfffe
	s_sub_co_i32 s29, s6, s2
	s_cmp_ge_u32 s6, s2
	s_cselect_b32 s6, s29, s6
	s_wait_alu 0xfffe
	s_sub_co_i32 s29, s6, s2
	s_cmp_ge_u32 s6, s2
	s_cselect_b32 s36, s29, s6
	s_delay_alu instid0(SALU_CYCLE_1) | instskip(SKIP_2) | instid1(SALU_CYCLE_1)
	s_ashr_i32 s37, s36, 31
	s_wait_kmcnt 0x0
	s_mul_u64 s[34:35], s[34:35], s[36:37]
	s_add_nc_u64 s[34:35], s[14:15], s[34:35]
.LBB21_2:
	v_bfe_u32 v1, v0, 10, 10
	v_and_b32_e32 v69, 0x3ff, v0
	s_delay_alu instid0(VALU_DEP_2) | instskip(NEXT) | instid1(VALU_DEP_2)
	v_lshl_add_u32 v70, ttmp9, 3, v1
	v_cmp_gt_u32_e64 s2, 24, v69
	v_lshlrev_b32_e32 v68, 2, v69
	v_lshlrev_b32_e32 v80, 3, v69
	s_delay_alu instid0(VALU_DEP_4) | instskip(SKIP_2) | instid1(VALU_DEP_1)
	v_mul_hi_u32 v2, s24, v70
	s_wait_alu 0xfffe
	s_sub_co_i32 s24, s4, s5
	v_add_nc_u32_e32 v2, v70, v2
	s_delay_alu instid0(VALU_DEP_1) | instskip(NEXT) | instid1(VALU_DEP_1)
	v_lshrrev_b32_e32 v2, s25, v2
	v_mul_lo_u32 v2, v2, s26
	s_delay_alu instid0(VALU_DEP_1)
	v_sub_nc_u32_e32 v0, v70, v2
	s_and_saveexec_b32 s14, s2
	s_cbranch_execz .LBB21_4
; %bb.3:
	s_load_b96 s[4:6], s[0:1], 0x70
	v_mad_u32_u24 v18, 0x300, v1, v80
	s_wait_kmcnt 0x0
	s_ashr_i32 s37, s4, 31
	s_mov_b32 s36, s4
	s_lshr_b32 s4, s37, 2
	s_lshr_b64 s[40:41], s[36:37], 2
	s_mul_i32 s36, s28, s6
	v_mad_co_u64_u32 v[2:3], null, s40, v0, 0
	s_mul_i32 s40, s24, s5
	s_ashr_i32 s37, s36, 31
	s_wait_alu 0xfffe
	s_ashr_i32 s41, s40, 31
	s_add_nc_u64 s[8:9], s[8:9], s[36:37]
	s_ashr_i32 s37, s5, 31
	s_wait_alu 0xfffe
	s_add_nc_u64 s[8:9], s[8:9], s[40:41]
	v_mad_co_u64_u32 v[3:4], null, s4, v0, v[3:4]
	v_lshlrev_b32_e32 v4, 2, v68
	s_mov_b32 s36, s5
	s_and_b32 s6, s5, -4
	s_delay_alu instid0(VALU_DEP_2) | instskip(NEXT) | instid1(VALU_DEP_1)
	v_lshlrev_b64_e32 v[2:3], 2, v[2:3]
	v_add_co_u32 v2, vcc_lo, s8, v2
	s_delay_alu instid0(VALU_DEP_1)
	v_add_co_ci_u32_e64 v3, null, s9, v3, vcc_lo
	s_lshr_b64 s[8:9], s[36:37], 2
	v_add_co_u32 v6, vcc_lo, v2, v4
	s_wait_alu 0xfffd
	v_add_co_ci_u32_e64 v7, null, 0, v3, vcc_lo
	s_wait_alu 0xfffe
	s_lshl_b64 s[4:5], s[8:9], 3
	v_add_co_u32 v8, vcc_lo, v6, s6
	s_delay_alu instid0(VALU_DEP_2)
	v_mad_co_u64_u32 v[14:15], null, s8, 12, v[6:7]
	global_load_b128 v[2:5], v[6:7], off
	s_wait_alu 0xfffd
	v_add_co_ci_u32_e64 v9, null, s37, v7, vcc_lo
	s_wait_alu 0xfffe
	v_add_co_u32 v10, vcc_lo, v6, s4
	s_wait_alu 0xfffd
	v_add_co_ci_u32_e64 v11, null, s5, v7, vcc_lo
	s_clause 0x1
	global_load_b128 v[6:9], v[8:9], off
	global_load_b128 v[10:13], v[10:11], off
	v_mad_co_u64_u32 v[15:16], null, s37, 12, v[15:16]
	s_load_b32 s4, s[0:1], 0x40
	global_load_b128 v[14:17], v[14:15], off
	s_wait_loadcnt 0x3
	s_wait_kmcnt 0x0
	v_fma_mixlo_f16 v3, s4, v3, 0
	v_fma_mixlo_f16 v2, s4, v2, 0
	;; [unrolled: 1-line block ×4, first 2 shown]
	s_delay_alu instid0(VALU_DEP_4) | instskip(NEXT) | instid1(VALU_DEP_4)
	v_lshlrev_b32_e32 v3, 16, v3
	v_and_b32_e32 v2, 0xffff, v2
	s_delay_alu instid0(VALU_DEP_4) | instskip(NEXT) | instid1(VALU_DEP_4)
	v_lshlrev_b32_e32 v5, 16, v5
	v_and_b32_e32 v4, 0xffff, v4
	s_wait_loadcnt 0x2
	v_fma_mixlo_f16 v6, s4, v6, 0
	v_fma_mixlo_f16 v7, s4, v7, 0
	;; [unrolled: 1-line block ×4, first 2 shown]
	s_wait_loadcnt 0x1
	v_fma_mixlo_f16 v10, s4, v10, 0
	v_fma_mixlo_f16 v11, s4, v11, 0
	v_or_b32_e32 v2, v3, v2
	v_or3_b32 v3, v5, v4, 0
	v_lshlrev_b32_e32 v4, 16, v7
	v_and_b32_e32 v5, 0xffff, v6
	v_lshlrev_b32_e32 v6, 16, v9
	v_and_b32_e32 v7, 0xffff, v8
	;; [unrolled: 2-line block ×3, first 2 shown]
	v_or_b32_e32 v4, v4, v5
	v_fma_mixlo_f16 v12, s4, v12, 0
	v_or3_b32 v5, v6, v7, 0
	s_wait_loadcnt 0x0
	v_fma_mixlo_f16 v6, s4, v15, 0
	v_fma_mixlo_f16 v7, s4, v14, 0
	v_fma_mixlo_f16 v13, s4, v13, 0
	v_or_b32_e32 v8, v8, v9
	v_fma_mixlo_f16 v9, s4, v16, 0
	v_fma_mixlo_f16 v10, s4, v17, 0
	v_lshlrev_b32_e32 v6, 16, v6
	v_and_b32_e32 v7, 0xffff, v7
	v_lshlrev_b32_e32 v11, 16, v13
	v_and_b32_e32 v12, 0xffff, v12
	;; [unrolled: 2-line block ×3, first 2 shown]
	v_or_b32_e32 v13, v6, v7
	v_or3_b32 v2, 0, 0, v2
	v_or3_b32 v4, 0, 0, v4
	v_or3_b32 v7, v11, v12, 0
	v_or3_b32 v6, 0, 0, v8
	v_or3_b32 v9, v10, v9, 0
	v_or3_b32 v8, 0, 0, v13
	ds_store_2addr_b64 v18, v[2:3], v[4:5] offset1:24
	ds_store_2addr_b64 v18, v[6:7], v[8:9] offset0:48 offset1:72
.LBB21_4:
	s_or_b32 exec_lo, exec_lo, s14
	s_cmp_eq_u64 s[18:19], 0
	s_wait_dscnt 0x0
	s_barrier_signal -1
	s_barrier_wait -1
	global_inv scope:SCOPE_SE
	s_cbranch_scc1 .LBB21_6
; %bb.5:
	s_load_b32 s4, s[0:1], 0xd0
	s_mov_b32 s5, 0
	s_wait_kmcnt 0x0
	s_mul_i32 s4, s4, s28
	s_wait_alu 0xfffe
	s_add_co_i32 s4, s4, ttmp9
	s_wait_alu 0xfffe
	s_lshl_b64 s[4:5], s[4:5], 2
	s_wait_alu 0xfffe
	s_add_nc_u64 s[4:5], s[18:19], s[4:5]
	s_load_b32 s30, s[4:5], 0x0
.LBB21_6:
	s_and_b32 s15, ttmp7, 0xffff
	v_mbcnt_lo_u32_b32 v82, -1, 0
	s_lshl_b32 s18, s15, 5
	s_wait_kmcnt 0x0
	s_cmp_lt_i32 s18, s30
	s_cbranch_scc1 .LBB21_9
; %bb.7:
	v_mbcnt_lo_u32_b32 v4, -1, 0
	v_mov_b32_e32 v84, 32
	s_delay_alu instid0(VALU_DEP_2)
	v_xor_b32_e32 v101, 16, v4
	v_xor_b32_e32 v106, 8, v4
	;; [unrolled: 1-line block ×5, first 2 shown]
	s_mov_b32 s29, 0
	s_cbranch_execz .LBB21_10
; %bb.8:
	v_dual_mov_b32 v99, 0 :: v_dual_mov_b32 v110, 0
	v_dual_mov_b32 v3, 0xfeffffff :: v_dual_mov_b32 v2, 0xfeffffff
	;; [unrolled: 1-line block ×8, first 2 shown]
	s_branch .LBB21_30
.LBB21_9:
                                        ; implicit-def: $vgpr4
                                        ; implicit-def: $vgpr84
                                        ; implicit-def: $vgpr101
                                        ; implicit-def: $vgpr106
                                        ; implicit-def: $vgpr107
                                        ; implicit-def: $vgpr108
                                        ; implicit-def: $vgpr109
	s_mov_b32 s29, 0
.LBB21_10:
	s_mul_f32 s14, s7, 0x4f7ffffe
	s_clause 0x1
	s_load_b128 s[4:7], s[0:1], 0x98
	s_load_b64 s[8:9], s[0:1], 0x8c
	s_sub_co_i32 s19, 0, s31
	s_abs_i32 s38, s24
	s_cvt_u32_f32 s14, s14
	s_mov_b32 s37, s39
	s_load_b64 s[40:41], s[0:1], 0xa8
	s_ashr_i32 s25, s24, 31
	s_mul_i32 s19, s19, s14
	s_ashr_i32 s33, s33, 31
	s_mul_hi_u32 s19, s14, s19
	v_lshrrev_b32_e32 v2, 1, v69
	s_add_co_i32 s36, s14, s19
	s_ashr_i32 s14, s3, 1
	s_wait_alu 0xfffe
	s_mul_u64 s[36:37], s[38:39], s[36:37]
	s_xor_b32 s3, s25, s33
	s_wait_alu 0xfffe
	s_mul_i32 s19, s37, s31
	s_add_co_i32 s25, s37, 1
	v_lshrrev_b32_e32 v3, 2, v69
	v_lshl_add_u32 v4, v1, 4, v2
	s_wait_kmcnt 0x0
	s_ashr_i32 s36, s6, 2
	s_sub_co_i32 s6, s38, s19
	s_ashr_i32 s38, s8, 2
	s_wait_alu 0xfffe
	s_sub_co_i32 s8, s6, s31
	s_cmp_ge_u32 s6, s31
	v_dual_mov_b32 v81, 0 :: v_dual_and_b32 v10, 4, v68
	s_cselect_b32 s19, s25, s37
	s_wait_alu 0xfffe
	s_cselect_b32 s6, s8, s6
	s_add_co_i32 s8, s19, 1
	s_wait_alu 0xfffe
	s_cmp_ge_u32 s6, s31
	v_lshl_add_u32 v5, v1, 3, v3
	s_cselect_b32 s6, s8, s19
	v_cmp_gt_u32_e32 vcc_lo, 32, v4
	s_wait_alu 0xfffe
	s_xor_b32 s6, s6, s3
	v_mul_lo_u32 v2, s38, v4
	s_wait_alu 0xfffe
	s_sub_co_i32 s3, s6, s3
	v_mul_u32_u24_e32 v3, 0x70, v4
	v_lshlrev_b32_e32 v4, 2, v10
	s_mul_u64 s[4:5], s[4:5], s[28:29]
	s_wait_alu 0xfffe
	s_mul_i32 s6, s3, s9
	s_mul_u64 s[40:41], s[40:41], s[28:29]
	s_add_nc_u64 s[4:5], s[10:11], s[4:5]
	s_mul_i32 s8, s3, s7
	s_wait_alu 0xfffe
	s_ashr_i32 s7, s6, 31
	s_add_nc_u64 s[10:11], s[12:13], s[40:41]
	s_wait_alu 0xfffe
	s_add_nc_u64 s[40:41], s[4:5], s[6:7]
	v_cmp_gt_u32_e64 s3, 32, v5
	v_dual_mov_b32 v84, 32 :: v_dual_and_b32 v11, 12, v68
	v_mul_u32_u24_e32 v7, 0x70, v5
	v_mul_lo_u32 v6, s38, v5
	v_mad_co_u64_u32 v[71:72], null, v0, s14, v[69:70]
	v_mul_u32_u24_e32 v9, 0xc0, v5
	v_mul_lo_u32 v0, s36, v5
	v_cmp_gt_u32_e64 s4, 16, v5
	v_mov_b32_e32 v5, 0xfeffffff
	v_add3_u32 v90, v3, v4, 0x1840
	v_lshrrev_b32_e32 v4, 3, v69
	v_dual_mov_b32 v83, 0 :: v_dual_lshlrev_b32 v8, 2, v11
	v_dual_mov_b32 v85, 0 :: v_dual_and_b32 v94, 28, v68
	s_delay_alu instid0(VALU_DEP_3) | instskip(SKIP_1) | instid1(VALU_DEP_4)
	v_lshl_add_u32 v4, v1, 2, v4
	v_mul_u32_u24_e32 v89, 0x300, v1
	v_add3_u32 v91, v7, v8, 0x1800
	v_lshl_add_u32 v93, v1, 8, 0x2680
	v_or_b32_e32 v1, v9, v8
	v_mul_lo_u32 v8, s36, v4
	v_mul_u32_u24_e32 v9, 0xc0, v4
	v_dual_mov_b32 v99, 0 :: v_dual_lshlrev_b32 v12, 2, v94
	v_ashrrev_i32_e32 v3, 31, v2
	v_ashrrev_i32_e32 v7, 31, v6
	v_dual_mov_b32 v86, 0 :: v_dual_add_nc_u32 v95, 0x1880, v1
	v_ashrrev_i32_e32 v1, 31, v0
	v_add3_u32 v96, v9, v12, 0x1800
	v_ashrrev_i32_e32 v9, 31, v8
	v_lshlrev_b64_e32 v[72:73], 2, v[2:3]
	v_lshlrev_b64_e32 v[74:75], 2, v[6:7]
	;; [unrolled: 1-line block ×3, first 2 shown]
	v_mul_u32_u24_e32 v87, 0x70, v69
	v_lshlrev_b64_e32 v[78:79], 2, v[8:9]
	v_cmp_gt_u32_e64 s5, 16, v4
	v_dual_mov_b32 v92, 0 :: v_dual_lshlrev_b32 v97, 2, v10
	v_dual_mov_b32 v7, 0xfeffffff :: v_dual_lshlrev_b32 v98, 2, v11
	v_dual_mov_b32 v88, 0 :: v_dual_mov_b32 v105, 0
	v_dual_mov_b32 v100, 0 :: v_dual_mov_b32 v103, 0
	v_mov_b32_e32 v6, 0xfeffffff
	v_mov_b32_e32 v4, 0xfeffffff
	;; [unrolled: 1-line block ×4, first 2 shown]
	s_ashr_i32 s9, s8, 31
	s_ashr_i32 s39, s38, 31
	s_wait_alu 0xfffe
	s_add_nc_u64 s[42:43], s[10:11], s[8:9]
	s_ashr_i32 s37, s36, 31
	s_add_nc_u64 s[44:45], s[0:1], 0xd0
.LBB21_11:                              ; =>This Inner Loop Header: Depth=1
	s_ashr_i32 s19, s18, 31
	s_wait_alu 0xfffe
	s_mul_u64 s[6:7], s[18:19], s[38:39]
	s_wait_alu 0xfffe
	s_lshl_b64 s[6:7], s[6:7], 2
	s_wait_alu 0xfffe
	s_add_nc_u64 s[8:9], s[40:41], s[6:7]
	s_and_saveexec_b32 s7, vcc_lo
	s_cbranch_execz .LBB21_13
; %bb.12:                               ;   in Loop: Header=BB21_11 Depth=1
	s_wait_alu 0xfffe
	v_add_co_u32 v0, s6, s8, v72
	s_wait_alu 0xf1ff
	v_add_co_ci_u32_e64 v1, null, s9, v73, s6
	s_delay_alu instid0(VALU_DEP_2) | instskip(SKIP_1) | instid1(VALU_DEP_2)
	v_add_co_u32 v0, s6, v0, v97
	s_wait_alu 0xf1ff
	v_add_co_ci_u32_e64 v1, null, 0, v1, s6
	global_load_b128 v[0:3], v[0:1], off offset:64
	s_wait_loadcnt 0x0
	ds_store_b128 v90, v[0:3]
.LBB21_13:                              ;   in Loop: Header=BB21_11 Depth=1
	s_wait_alu 0xfffe
	s_or_b32 exec_lo, exec_lo, s7
	s_and_saveexec_b32 s7, s3
	s_cbranch_execz .LBB21_15
; %bb.14:                               ;   in Loop: Header=BB21_11 Depth=1
	v_add_co_u32 v0, s6, s8, v74
	s_wait_alu 0xf1ff
	v_add_co_ci_u32_e64 v1, null, s9, v75, s6
	s_delay_alu instid0(VALU_DEP_2) | instskip(SKIP_1) | instid1(VALU_DEP_2)
	v_add_co_u32 v0, s6, v0, v98
	s_wait_alu 0xf1ff
	v_add_co_ci_u32_e64 v1, null, 0, v1, s6
	global_load_b128 v[0:3], v[0:1], off
	s_wait_loadcnt 0x0
	ds_store_b128 v91, v[0:3]
.LBB21_15:                              ;   in Loop: Header=BB21_11 Depth=1
	s_wait_alu 0xfffe
	s_or_b32 exec_lo, exec_lo, s7
	s_wait_loadcnt_dscnt 0x0
	s_barrier_signal -1
	s_barrier_wait -1
	global_inv scope:SCOPE_SE
	ds_load_b128 v[8:11], v87 offset:6144
	ds_load_b128 v[12:15], v89
	ds_load_b128 v[16:19], v89 offset:192
	ds_load_b128 v[20:23], v89 offset:384
	;; [unrolled: 1-line block ×3, first 2 shown]
	v_dual_mov_b32 v0, 0 :: v_dual_mov_b32 v1, 0
	v_dual_mov_b32 v2, 0 :: v_dual_mov_b32 v3, 0
	s_wait_dscnt 0x3
	;;#ASMSTART
	v_dot2_f32_f16 v0, v8, v12, v0
	;;#ASMEND
	;;#ASMSTART
	v_dot2_f32_f16 v0, v9, v13, v0
	;;#ASMEND
	;;#ASMSTART
	v_dot2_f32_f16 v0, v10, v14, v0
	;;#ASMEND
	;;#ASMSTART
	v_dot2_f32_f16 v0, v11, v15, v0
	;;#ASMEND
	s_wait_dscnt 0x2
	;;#ASMSTART
	v_dot2_f32_f16 v1, v8, v16, v1
	;;#ASMEND
	;;#ASMSTART
	v_dot2_f32_f16 v1, v9, v17, v1
	;;#ASMEND
	;;#ASMSTART
	v_dot2_f32_f16 v1, v10, v18, v1
	;;#ASMEND
	;;#ASMSTART
	v_dot2_f32_f16 v1, v11, v19, v1
	;;#ASMEND
	s_wait_dscnt 0x1
	;;#ASMSTART
	v_dot2_f32_f16 v2, v8, v20, v2
	;;#ASMEND
	;;#ASMSTART
	v_dot2_f32_f16 v2, v9, v21, v2
	;;#ASMEND
	;;#ASMSTART
	v_dot2_f32_f16 v2, v10, v22, v2
	;;#ASMEND
	;;#ASMSTART
	v_dot2_f32_f16 v2, v11, v23, v2
	;;#ASMEND
	s_wait_dscnt 0x0
	;;#ASMSTART
	v_dot2_f32_f16 v3, v8, v24, v3
	;;#ASMEND
	;;#ASMSTART
	v_dot2_f32_f16 v3, v9, v25, v3
	;;#ASMEND
	;;#ASMSTART
	v_dot2_f32_f16 v3, v10, v26, v3
	;;#ASMEND
	;;#ASMSTART
	v_dot2_f32_f16 v3, v11, v27, v3
	;;#ASMEND
	ds_load_b128 v[8:11], v87 offset:6160
	ds_load_b128 v[12:15], v89 offset:16
	ds_load_b128 v[16:19], v89 offset:208
	ds_load_b128 v[20:23], v89 offset:400
	ds_load_b128 v[24:27], v89 offset:592
	s_wait_dscnt 0x3
	;;#ASMSTART
	v_dot2_f32_f16 v0, v8, v12, v0
	;;#ASMEND
	;;#ASMSTART
	v_dot2_f32_f16 v0, v9, v13, v0
	;;#ASMEND
	;;#ASMSTART
	v_dot2_f32_f16 v0, v10, v14, v0
	;;#ASMEND
	;;#ASMSTART
	v_dot2_f32_f16 v0, v11, v15, v0
	;;#ASMEND
	s_wait_dscnt 0x2
	;;#ASMSTART
	v_dot2_f32_f16 v1, v8, v16, v1
	;;#ASMEND
	;;#ASMSTART
	v_dot2_f32_f16 v1, v9, v17, v1
	;;#ASMEND
	;;#ASMSTART
	v_dot2_f32_f16 v1, v10, v18, v1
	;;#ASMEND
	;;#ASMSTART
	v_dot2_f32_f16 v1, v11, v19, v1
	;;#ASMEND
	s_wait_dscnt 0x1
	;;#ASMSTART
	v_dot2_f32_f16 v2, v8, v20, v2
	;;#ASMEND
	;;#ASMSTART
	v_dot2_f32_f16 v2, v9, v21, v2
	;;#ASMEND
	;;#ASMSTART
	v_dot2_f32_f16 v2, v10, v22, v2
	;;#ASMEND
	;;#ASMSTART
	v_dot2_f32_f16 v2, v11, v23, v2
	;;#ASMEND
	s_wait_dscnt 0x0
	;;#ASMSTART
	v_dot2_f32_f16 v3, v8, v24, v3
	;;#ASMEND
	;;#ASMSTART
	v_dot2_f32_f16 v3, v9, v25, v3
	;;#ASMEND
	;;#ASMSTART
	v_dot2_f32_f16 v3, v10, v26, v3
	;;#ASMEND
	;;#ASMSTART
	v_dot2_f32_f16 v3, v11, v27, v3
	;;#ASMEND
	ds_load_b128 v[8:11], v87 offset:6176
	ds_load_b128 v[12:15], v89 offset:32
	ds_load_b128 v[16:19], v89 offset:224
	ds_load_b128 v[20:23], v89 offset:416
	ds_load_b128 v[24:27], v89 offset:608
	;; [unrolled: 57-line block ×5, first 2 shown]
	s_wait_dscnt 0x3
	;;#ASMSTART
	v_dot2_f32_f16 v0, v8, v12, v0
	;;#ASMEND
	;;#ASMSTART
	v_dot2_f32_f16 v0, v9, v13, v0
	;;#ASMEND
	;;#ASMSTART
	v_dot2_f32_f16 v0, v10, v14, v0
	;;#ASMEND
	;;#ASMSTART
	v_dot2_f32_f16 v0, v11, v15, v0
	;;#ASMEND
	s_wait_dscnt 0x2
	;;#ASMSTART
	v_dot2_f32_f16 v1, v8, v16, v1
	;;#ASMEND
	;;#ASMSTART
	v_dot2_f32_f16 v1, v9, v17, v1
	;;#ASMEND
	;;#ASMSTART
	v_dot2_f32_f16 v1, v10, v18, v1
	;;#ASMEND
	;;#ASMSTART
	v_dot2_f32_f16 v1, v11, v19, v1
	;;#ASMEND
	;; [unrolled: 13-line block ×4, first 2 shown]
	s_wait_loadcnt 0x0
	s_barrier_signal -1
	s_barrier_wait -1
	global_inv scope:SCOPE_SE
	s_and_saveexec_b32 s7, vcc_lo
	s_cbranch_execz .LBB21_17
; %bb.16:                               ;   in Loop: Header=BB21_11 Depth=1
	v_add_co_u32 v8, s6, s8, v72
	s_wait_alu 0xf1ff
	v_add_co_ci_u32_e64 v9, null, s9, v73, s6
	s_delay_alu instid0(VALU_DEP_2) | instskip(SKIP_1) | instid1(VALU_DEP_2)
	v_add_co_u32 v8, s6, v8, v97
	s_wait_alu 0xf1ff
	v_add_co_ci_u32_e64 v9, null, 0, v9, s6
	global_load_b128 v[8:11], v[8:9], off offset:160
	s_wait_loadcnt 0x0
	ds_store_b128 v90, v[8:11]
.LBB21_17:                              ;   in Loop: Header=BB21_11 Depth=1
	s_wait_alu 0xfffe
	s_or_b32 exec_lo, exec_lo, s7
	s_and_saveexec_b32 s7, s3
	s_cbranch_execz .LBB21_19
; %bb.18:                               ;   in Loop: Header=BB21_11 Depth=1
	v_add_co_u32 v8, s6, s8, v74
	s_wait_alu 0xf1ff
	v_add_co_ci_u32_e64 v9, null, s9, v75, s6
	s_delay_alu instid0(VALU_DEP_2) | instskip(SKIP_1) | instid1(VALU_DEP_2)
	v_add_co_u32 v8, s6, v8, v98
	s_wait_alu 0xf1ff
	v_add_co_ci_u32_e64 v9, null, 0, v9, s6
	global_load_b128 v[8:11], v[8:9], off offset:96
	s_wait_loadcnt 0x0
	ds_store_b128 v91, v[8:11]
.LBB21_19:                              ;   in Loop: Header=BB21_11 Depth=1
	s_wait_alu 0xfffe
	s_or_b32 exec_lo, exec_lo, s7
	s_wait_loadcnt_dscnt 0x0
	s_barrier_signal -1
	s_barrier_wait -1
	global_inv scope:SCOPE_SE
	ds_load_b128 v[8:11], v87 offset:6144
	ds_load_b128 v[12:15], v89 offset:96
	;; [unrolled: 1-line block ×5, first 2 shown]
	v_xor_b32_e32 v101, 16, v82
	v_xor_b32_e32 v106, 8, v82
	;; [unrolled: 1-line block ×5, first 2 shown]
	s_mul_u64 s[46:47], s[18:19], s[36:37]
	s_wait_dscnt 0x3
	;;#ASMSTART
	v_dot2_f32_f16 v0, v8, v12, v0
	;;#ASMEND
	;;#ASMSTART
	v_dot2_f32_f16 v0, v9, v13, v0
	;;#ASMEND
	;;#ASMSTART
	v_dot2_f32_f16 v0, v10, v14, v0
	;;#ASMEND
	;;#ASMSTART
	v_dot2_f32_f16 v0, v11, v15, v0
	;;#ASMEND
	s_wait_dscnt 0x2
	;;#ASMSTART
	v_dot2_f32_f16 v1, v8, v16, v1
	;;#ASMEND
	;;#ASMSTART
	v_dot2_f32_f16 v1, v9, v17, v1
	;;#ASMEND
	;;#ASMSTART
	v_dot2_f32_f16 v1, v10, v18, v1
	;;#ASMEND
	;;#ASMSTART
	v_dot2_f32_f16 v1, v11, v19, v1
	;;#ASMEND
	s_wait_dscnt 0x1
	;;#ASMSTART
	v_dot2_f32_f16 v2, v8, v20, v2
	;;#ASMEND
	;;#ASMSTART
	v_dot2_f32_f16 v2, v9, v21, v2
	;;#ASMEND
	;;#ASMSTART
	v_dot2_f32_f16 v2, v10, v22, v2
	;;#ASMEND
	;;#ASMSTART
	v_dot2_f32_f16 v2, v11, v23, v2
	;;#ASMEND
	s_wait_dscnt 0x0
	;;#ASMSTART
	v_dot2_f32_f16 v3, v8, v24, v3
	;;#ASMEND
	;;#ASMSTART
	v_dot2_f32_f16 v3, v9, v25, v3
	;;#ASMEND
	;;#ASMSTART
	v_dot2_f32_f16 v3, v10, v26, v3
	;;#ASMEND
	;;#ASMSTART
	v_dot2_f32_f16 v3, v11, v27, v3
	;;#ASMEND
	ds_load_b128 v[8:11], v87 offset:6160
	ds_load_b128 v[12:15], v89 offset:112
	;; [unrolled: 1-line block ×5, first 2 shown]
	s_wait_alu 0xfffe
	s_lshl_b64 s[46:47], s[46:47], 2
	s_wait_dscnt 0x3
	;;#ASMSTART
	v_dot2_f32_f16 v0, v8, v12, v0
	;;#ASMEND
	;;#ASMSTART
	v_dot2_f32_f16 v0, v9, v13, v0
	;;#ASMEND
	;;#ASMSTART
	v_dot2_f32_f16 v0, v10, v14, v0
	;;#ASMEND
	;;#ASMSTART
	v_dot2_f32_f16 v0, v11, v15, v0
	;;#ASMEND
	s_wait_dscnt 0x2
	;;#ASMSTART
	v_dot2_f32_f16 v1, v8, v16, v1
	;;#ASMEND
	;;#ASMSTART
	v_dot2_f32_f16 v1, v9, v17, v1
	;;#ASMEND
	;;#ASMSTART
	v_dot2_f32_f16 v1, v10, v18, v1
	;;#ASMEND
	;;#ASMSTART
	v_dot2_f32_f16 v1, v11, v19, v1
	;;#ASMEND
	;; [unrolled: 13-line block ×4, first 2 shown]
	ds_load_b128 v[8:11], v87 offset:6176
	ds_load_b128 v[12:15], v89 offset:128
	ds_load_b128 v[16:19], v89 offset:320
	ds_load_b128 v[20:23], v89 offset:512
	ds_load_b128 v[24:27], v89 offset:704
	s_wait_alu 0xfffe
	s_add_nc_u64 s[46:47], s[42:43], s[46:47]
	s_wait_dscnt 0x3
	;;#ASMSTART
	v_dot2_f32_f16 v0, v8, v12, v0
	;;#ASMEND
	;;#ASMSTART
	v_dot2_f32_f16 v0, v9, v13, v0
	;;#ASMEND
	;;#ASMSTART
	v_dot2_f32_f16 v0, v10, v14, v0
	;;#ASMEND
	;;#ASMSTART
	v_dot2_f32_f16 v0, v11, v15, v0
	;;#ASMEND
	s_wait_dscnt 0x2
	;;#ASMSTART
	v_dot2_f32_f16 v1, v8, v16, v1
	;;#ASMEND
	;;#ASMSTART
	v_dot2_f32_f16 v1, v9, v17, v1
	;;#ASMEND
	;;#ASMSTART
	v_dot2_f32_f16 v1, v10, v18, v1
	;;#ASMEND
	;;#ASMSTART
	v_dot2_f32_f16 v1, v11, v19, v1
	;;#ASMEND
	;; [unrolled: 13-line block ×4, first 2 shown]
	ds_load_b128 v[8:11], v87 offset:6192
	ds_load_b128 v[12:15], v89 offset:144
	;; [unrolled: 1-line block ×5, first 2 shown]
	s_wait_dscnt 0x3
	;;#ASMSTART
	v_dot2_f32_f16 v0, v8, v12, v0
	;;#ASMEND
	;;#ASMSTART
	v_dot2_f32_f16 v0, v9, v13, v0
	;;#ASMEND
	;;#ASMSTART
	v_dot2_f32_f16 v0, v10, v14, v0
	;;#ASMEND
	;;#ASMSTART
	v_dot2_f32_f16 v0, v11, v15, v0
	;;#ASMEND
	s_wait_dscnt 0x2
	;;#ASMSTART
	v_dot2_f32_f16 v1, v8, v16, v1
	;;#ASMEND
	;;#ASMSTART
	v_dot2_f32_f16 v1, v9, v17, v1
	;;#ASMEND
	;;#ASMSTART
	v_dot2_f32_f16 v1, v10, v18, v1
	;;#ASMEND
	;;#ASMSTART
	v_dot2_f32_f16 v1, v11, v19, v1
	;;#ASMEND
	;; [unrolled: 13-line block ×4, first 2 shown]
	ds_load_b128 v[8:11], v87 offset:6208
	ds_load_b128 v[12:15], v89 offset:160
	;; [unrolled: 1-line block ×5, first 2 shown]
	s_wait_dscnt 0x3
	;;#ASMSTART
	v_dot2_f32_f16 v0, v8, v12, v0
	;;#ASMEND
	;;#ASMSTART
	v_dot2_f32_f16 v0, v9, v13, v0
	;;#ASMEND
	;;#ASMSTART
	v_dot2_f32_f16 v0, v10, v14, v0
	;;#ASMEND
	;;#ASMSTART
	v_dot2_f32_f16 v0, v11, v15, v0
	;;#ASMEND
	s_wait_dscnt 0x2
	;;#ASMSTART
	v_dot2_f32_f16 v1, v8, v16, v1
	;;#ASMEND
	;;#ASMSTART
	v_dot2_f32_f16 v1, v9, v17, v1
	;;#ASMEND
	;;#ASMSTART
	v_dot2_f32_f16 v1, v10, v18, v1
	;;#ASMEND
	;;#ASMSTART
	v_dot2_f32_f16 v1, v11, v19, v1
	;;#ASMEND
	;; [unrolled: 13-line block ×4, first 2 shown]
	ds_load_b128 v[8:11], v87 offset:6224
	ds_load_b128 v[12:15], v89 offset:176
	v_add_nc_u32_e32 v24, s18, v71
	ds_load_b128 v[16:19], v89 offset:368
	ds_load_b128 v[20:23], v89 offset:560
	v_ashrrev_i32_e32 v25, 31, v24
	s_delay_alu instid0(VALU_DEP_1)
	v_lshlrev_b64_e32 v[28:29], 1, v[24:25]
	ds_load_b128 v[24:27], v89 offset:752
	s_wait_dscnt 0x3
	;;#ASMSTART
	v_dot2_f32_f16 v0, v8, v12, v0
	;;#ASMEND
	;;#ASMSTART
	v_dot2_f32_f16 v0, v9, v13, v0
	;;#ASMEND
	;; [unrolled: 3-line block ×4, first 2 shown]
	s_wait_dscnt 0x2
	;;#ASMSTART
	v_dot2_f32_f16 v1, v8, v16, v1
	;;#ASMEND
	;;#ASMSTART
	v_dot2_f32_f16 v1, v9, v17, v1
	;;#ASMEND
	v_add_co_u32 v28, s6, s34, v28
	;;#ASMSTART
	v_dot2_f32_f16 v1, v10, v18, v1
	;;#ASMEND
	;;#ASMSTART
	v_dot2_f32_f16 v1, v11, v19, v1
	;;#ASMEND
	s_wait_dscnt 0x1
	;;#ASMSTART
	v_dot2_f32_f16 v2, v8, v20, v2
	;;#ASMEND
	s_wait_alu 0xf1ff
	v_add_co_ci_u32_e64 v29, null, s35, v29, s6
	;;#ASMSTART
	v_dot2_f32_f16 v2, v9, v21, v2
	;;#ASMEND
	;;#ASMSTART
	v_dot2_f32_f16 v2, v10, v22, v2
	;;#ASMEND
	;; [unrolled: 3-line block ×3, first 2 shown]
	s_wait_dscnt 0x0
	;;#ASMSTART
	v_dot2_f32_f16 v3, v8, v24, v3
	;;#ASMEND
	;;#ASMSTART
	v_dot2_f32_f16 v3, v9, v25, v3
	;;#ASMEND
	;; [unrolled: 3-line block ×4, first 2 shown]
	global_load_u16 v8, v[28:29], off
	v_cmp_gt_i32_e64 s6, 32, v101
	v_dual_max_num_f32 v9, v5, v5 :: v_dual_max_num_f32 v10, v7, v7
	v_max_num_f32_e32 v11, v6, v6
	s_wait_loadcnt 0x0
	s_barrier_signal -1
	s_barrier_wait -1
	global_inv scope:SCOPE_SE
	v_cvt_f32_f16_e32 v8, v8
	s_delay_alu instid0(VALU_DEP_1)
	v_add_f32_e32 v15, v2, v8
	v_add_f32_e32 v14, v1, v8
	v_add_f32_e32 v13, v0, v8
	s_wait_alu 0xf1ff
	v_cndmask_b32_e64 v0, v82, v101, s6
	v_dual_add_f32 v8, v3, v8 :: v_dual_add_f32 v3, 0x40051340, v15
	v_add_f32_e32 v2, 0x40051340, v14
	v_dual_max_num_f32 v12, v4, v4 :: v_dual_add_f32 v1, 0x40051340, v13
	s_delay_alu instid0(VALU_DEP_3) | instskip(NEXT) | instid1(VALU_DEP_3)
	v_dual_max_num_f32 v3, v11, v3 :: v_dual_lshlrev_b32 v0, 2, v0
	v_max_num_f32_e32 v2, v10, v2
	v_cmp_gt_i32_e64 s6, 32, v106
	s_delay_alu instid0(VALU_DEP_4)
	v_max_num_f32_e32 v1, v9, v1
	ds_bpermute_b32 v11, v0, v2
	v_add_f32_e32 v16, 0x40051340, v8
	ds_bpermute_b32 v10, v0, v1
	s_wait_dscnt 0x1
	v_max_num_f32_e32 v11, v11, v11
	v_max_num_f32_e32 v9, v12, v16
	ds_bpermute_b32 v12, v0, v3
	s_wait_alu 0xf1ff
	v_cndmask_b32_e64 v16, v82, v106, s6
	v_cmp_gt_i32_e64 s6, 32, v107
	ds_bpermute_b32 v0, v0, v9
	s_wait_dscnt 0x1
	v_max_num_f32_e32 v12, v12, v12
	s_delay_alu instid0(VALU_DEP_1) | instskip(NEXT) | instid1(VALU_DEP_1)
	v_dual_max_num_f32 v10, v10, v10 :: v_dual_max_num_f32 v3, v3, v12
	v_dual_max_num_f32 v1, v1, v10 :: v_dual_lshlrev_b32 v16, 2, v16
	v_max_num_f32_e32 v2, v2, v11
	ds_bpermute_b32 v11, v16, v3
	s_wait_dscnt 0x0
	v_dual_max_num_f32 v0, v0, v0 :: v_dual_max_num_f32 v11, v11, v11
	s_delay_alu instid0(VALU_DEP_1)
	v_max_num_f32_e32 v0, v9, v0
	ds_bpermute_b32 v9, v16, v1
	v_max_num_f32_e32 v3, v3, v11
	ds_bpermute_b32 v12, v16, v0
	s_wait_dscnt 0x1
	v_max_num_f32_e32 v9, v9, v9
	s_delay_alu instid0(VALU_DEP_1) | instskip(SKIP_4) | instid1(VALU_DEP_2)
	v_max_num_f32_e32 v1, v1, v9
	ds_bpermute_b32 v10, v16, v2
	s_wait_alu 0xf1ff
	v_cndmask_b32_e64 v16, v82, v107, s6
	v_cmp_gt_i32_e64 s6, 32, v108
	v_lshlrev_b32_e32 v16, 2, v16
	ds_bpermute_b32 v9, v16, v1
	s_wait_dscnt 0x0
	v_max_num_f32_e32 v9, v9, v9
	ds_bpermute_b32 v11, v16, v3
	v_max_num_f32_e32 v10, v10, v10
	v_dual_max_num_f32 v12, v12, v12 :: v_dual_max_num_f32 v1, v1, v9
	s_delay_alu instid0(VALU_DEP_1) | instskip(SKIP_3) | instid1(VALU_DEP_1)
	v_max_num_f32_e32 v0, v0, v12
	ds_bpermute_b32 v12, v16, v0
	s_wait_dscnt 0x1
	v_dual_max_num_f32 v11, v11, v11 :: v_dual_max_num_f32 v2, v2, v10
	v_max_num_f32_e32 v3, v3, v11
	ds_bpermute_b32 v10, v16, v2
	s_wait_alu 0xf1ff
	v_cndmask_b32_e64 v16, v82, v108, s6
	v_cmp_gt_i32_e64 s6, 32, v109
	s_delay_alu instid0(VALU_DEP_2)
	v_lshlrev_b32_e32 v16, 2, v16
	ds_bpermute_b32 v11, v16, v3
	s_wait_dscnt 0x0
	v_max_num_f32_e32 v11, v11, v11
	ds_bpermute_b32 v9, v16, v1
	v_dual_max_num_f32 v12, v12, v12 :: v_dual_max_num_f32 v3, v3, v11
	s_wait_dscnt 0x0
	s_delay_alu instid0(VALU_DEP_1) | instskip(NEXT) | instid1(VALU_DEP_1)
	v_dual_max_num_f32 v9, v9, v9 :: v_dual_max_num_f32 v0, v0, v12
	v_dual_max_num_f32 v10, v10, v10 :: v_dual_max_num_f32 v1, v1, v9
	ds_bpermute_b32 v12, v16, v0
	s_wait_dscnt 0x0
	v_max_num_f32_e32 v12, v12, v12
	s_delay_alu instid0(VALU_DEP_1)
	v_dual_max_num_f32 v2, v2, v10 :: v_dual_max_num_f32 v9, v0, v12
	ds_bpermute_b32 v10, v16, v2
	s_wait_alu 0xf1ff
	v_cndmask_b32_e64 v16, v82, v109, s6
	s_wait_dscnt 0x0
	v_max_num_f32_e32 v10, v10, v10
	s_delay_alu instid0(VALU_DEP_1) | instskip(NEXT) | instid1(VALU_DEP_3)
	v_max_num_f32_e32 v2, v2, v10
	v_lshlrev_b32_e32 v16, 2, v16
	ds_bpermute_b32 v0, v16, v1
	s_wait_dscnt 0x0
	v_max_num_f32_e32 v0, v0, v0
	s_delay_alu instid0(VALU_DEP_1) | instskip(NEXT) | instid1(VALU_DEP_1)
	v_max_num_f32_e32 v0, v1, v0
	v_sub_f32_e32 v118, v5, v0
	v_sub_f32_e32 v5, v13, v0
	ds_bpermute_b32 v10, v16, v2
	v_cmp_ngt_f32_e64 s9, 0xc2ce8ed0, v5
	s_wait_dscnt 0x0
	v_max_num_f32_e32 v10, v10, v10
	s_delay_alu instid0(VALU_DEP_1) | instskip(SKIP_4) | instid1(VALU_DEP_2)
	v_max_num_f32_e32 v1, v2, v10
	ds_bpermute_b32 v11, v16, v3
	ds_bpermute_b32 v12, v16, v9
	v_dual_sub_f32 v119, v7, v1 :: v_dual_add_nc_u32 v16, v93, v80
	v_sub_f32_e32 v7, v14, v1
	v_cmp_ngt_f32_e64 s8, 0xc2ce8ed0, v119
	s_wait_dscnt 0x1
	v_max_num_f32_e32 v11, v11, v11
	s_delay_alu instid0(VALU_DEP_1) | instskip(SKIP_1) | instid1(VALU_DEP_1)
	v_max_num_f32_e32 v2, v3, v11
	s_wait_dscnt 0x0
	v_dual_max_num_f32 v12, v12, v12 :: v_dual_sub_f32 v117, v6, v2
	s_delay_alu instid0(VALU_DEP_1) | instskip(SKIP_1) | instid1(VALU_DEP_3)
	v_max_num_f32_e32 v3, v9, v12
	v_sub_f32_e32 v9, v15, v2
	v_cmp_ngt_f32_e64 s11, 0xc2ce8ed0, v117
	s_delay_alu instid0(VALU_DEP_2) | instskip(SKIP_2) | instid1(VALU_DEP_3)
	v_dual_sub_f32 v8, v8, v3 :: v_dual_mul_f32 v11, 0x3fb8aa3b, v9
	v_sub_f32_e32 v120, v4, v3
	v_cmp_nlt_f32_e64 s10, 0x42b17218, v117
	v_mul_f32_e32 v12, 0x3fb8aa3b, v8
	s_delay_alu instid0(VALU_DEP_4)
	v_rndne_f32_e32 v19, v11
	v_mul_f32_e32 v10, 0x3fb8aa3b, v5
	v_fma_f32 v18, 0x3fb8aa3b, v9, -v11
	v_cmp_ngt_f32_e64 s13, 0xc2ce8ed0, v120
	v_fma_f32 v20, 0x3fb8aa3b, v8, -v12
	v_rndne_f32_e32 v21, v12
	v_sub_f32_e32 v11, v11, v19
	v_fma_f32 v13, 0x3fb8aa3b, v5, -v10
	v_rndne_f32_e32 v14, v10
	v_fmac_f32_e32 v18, 0x32a5705f, v9
	v_fmac_f32_e32 v20, 0x32a5705f, v8
	v_sub_f32_e32 v12, v12, v21
	v_mul_f32_e32 v6, 0x3fb8aa3b, v7
	v_dual_fmac_f32 v13, 0x32a5705f, v5 :: v_dual_sub_f32 v10, v10, v14
	v_cmp_nlt_f32_e64 s12, 0x42b17218, v120
	s_delay_alu instid0(VALU_DEP_2) | instskip(SKIP_3) | instid1(VALU_DEP_4)
	v_add_f32_e32 v4, v10, v13
	v_dual_add_f32 v10, v11, v18 :: v_dual_add_f32 v11, v12, v20
	v_fma_f32 v15, 0x3fb8aa3b, v7, -v6
	v_rndne_f32_e32 v17, v6
	v_exp_f32_e32 v4, v4
	v_cvt_i32_f32_e32 v12, v14
	v_exp_f32_e32 v10, v10
	s_delay_alu instid0(VALU_DEP_2)
	v_dual_fmac_f32 v15, 0x32a5705f, v7 :: v_dual_sub_f32 v6, v6, v17
	v_cvt_i32_f32_e32 v13, v17
	v_exp_f32_e32 v11, v11
	v_cvt_i32_f32_e32 v14, v19
	v_cmp_ngt_f32_e64 s6, 0xc2ce8ed0, v118
	v_add_f32_e32 v6, v6, v15
	s_delay_alu instid0(TRANS32_DEP_3) | instskip(SKIP_1) | instid1(TRANS32_DEP_2)
	v_ldexp_f32 v4, v4, v12
	v_cvt_i32_f32_e32 v15, v21
	v_ldexp_f32 v10, v10, v14
	v_cmp_nlt_f32_e64 s7, 0x42b17218, v118
	v_exp_f32_e32 v6, v6
	s_wait_alu 0xf1ff
	v_cndmask_b32_e64 v4, 0, v4, s9
	v_cmp_ngt_f32_e64 s9, 0xc2ce8ed0, v7
	v_ldexp_f32 v11, v11, v15
	s_delay_alu instid0(TRANS32_DEP_1) | instskip(SKIP_1) | instid1(VALU_DEP_1)
	v_ldexp_f32 v6, v6, v13
	s_wait_alu 0xf1ff
	v_cndmask_b32_e64 v6, 0, v6, s9
	v_cmp_ngt_f32_e64 s9, 0xc2ce8ed0, v9
	s_wait_alu 0xf1ff
	s_delay_alu instid0(VALU_DEP_1) | instskip(SKIP_2) | instid1(VALU_DEP_1)
	v_cndmask_b32_e64 v10, 0, v10, s9
	v_cmp_ngt_f32_e64 s9, 0xc2ce8ed0, v8
	s_wait_alu 0xf1ff
	v_cndmask_b32_e64 v11, 0, v11, s9
	v_cmp_nlt_f32_e64 s9, 0x42b17218, v5
	s_wait_alu 0xf1ff
	s_delay_alu instid0(VALU_DEP_1) | instskip(SKIP_1) | instid1(VALU_DEP_2)
	v_cndmask_b32_e64 v112, 0x7f800000, v4, s9
	v_cmp_nlt_f32_e64 s9, 0x42b17218, v9
	v_cvt_f16_f32_e32 v4, v112
	s_wait_alu 0xf1ff
	s_delay_alu instid0(VALU_DEP_2) | instskip(SKIP_1) | instid1(VALU_DEP_2)
	v_cndmask_b32_e64 v111, 0x7f800000, v10, s9
	v_cmp_nlt_f32_e64 s9, 0x42b17218, v8
	v_cvt_f16_f32_e32 v5, v111
	s_wait_alu 0xf1ff
	s_delay_alu instid0(VALU_DEP_2) | instskip(SKIP_2) | instid1(VALU_DEP_1)
	v_cndmask_b32_e64 v110, 0x7f800000, v11, s9
	v_cmp_nlt_f32_e64 s9, 0x42b17218, v7
	s_wait_alu 0xf1ff
	v_cndmask_b32_e64 v113, 0x7f800000, v6, s9
	s_delay_alu instid0(VALU_DEP_3) | instskip(SKIP_1) | instid1(VALU_DEP_3)
	v_cvt_f16_f32_e32 v6, v110
	v_cmp_nlt_f32_e64 s9, 0x42b17218, v119
	v_cvt_f16_f32_e32 v7, v113
	s_delay_alu instid0(VALU_DEP_3) | instskip(NEXT) | instid1(VALU_DEP_2)
	v_pack_b32_f16 v5, v5, v6
	v_pack_b32_f16 v4, v4, v7
	ds_store_b64 v16, v[4:5]
	s_and_saveexec_b32 s19, s4
	s_cbranch_execz .LBB21_21
; %bb.20:                               ;   in Loop: Header=BB21_11 Depth=1
	s_wait_alu 0xfffe
	v_add_co_u32 v4, s14, s46, v76
	s_wait_alu 0xf1ff
	v_add_co_ci_u32_e64 v5, null, s47, v77, s14
	s_delay_alu instid0(VALU_DEP_2) | instskip(SKIP_1) | instid1(VALU_DEP_2)
	v_add_co_u32 v4, s14, v4, v98
	s_wait_alu 0xf1ff
	v_add_co_ci_u32_e64 v5, null, 0, v5, s14
	global_load_b128 v[4:7], v[4:5], off offset:128
	s_wait_loadcnt 0x0
	ds_store_b128 v95, v[4:7]
.LBB21_21:                              ;   in Loop: Header=BB21_11 Depth=1
	s_wait_alu 0xfffe
	s_or_b32 exec_lo, exec_lo, s19
	v_lshlrev_b32_e32 v121, 2, v94
	s_and_saveexec_b32 s19, s5
	s_cbranch_execz .LBB21_23
; %bb.22:                               ;   in Loop: Header=BB21_11 Depth=1
	v_add_co_u32 v4, s14, s46, v78
	s_wait_alu 0xf1ff
	v_add_co_ci_u32_e64 v5, null, s47, v79, s14
	s_delay_alu instid0(VALU_DEP_2) | instskip(SKIP_1) | instid1(VALU_DEP_2)
	v_add_co_u32 v4, s14, v4, v121
	s_wait_alu 0xf1ff
	v_add_co_ci_u32_e64 v5, null, 0, v5, s14
	global_load_b128 v[4:7], v[4:5], off
	s_wait_loadcnt 0x0
	ds_store_b128 v96, v[4:7]
.LBB21_23:                              ;   in Loop: Header=BB21_11 Depth=1
	s_wait_alu 0xfffe
	s_or_b32 exec_lo, exec_lo, s19
	v_add_nc_u32_e32 v116, 0x1800, v80
	v_add_nc_u32_e32 v115, 0x1c00, v80
	;; [unrolled: 1-line block ×3, first 2 shown]
	s_wait_loadcnt_dscnt 0x0
	s_barrier_signal -1
	s_barrier_wait -1
	global_inv scope:SCOPE_SE
	ds_load_2addr_b64 v[32:35], v116 offset1:24
	ds_load_b128 v[64:67], v93
	ds_load_b128 v[60:63], v93 offset:16
	ds_load_b128 v[56:59], v93 offset:32
	;; [unrolled: 1-line block ×3, first 2 shown]
	ds_load_2addr_b64 v[28:31], v116 offset0:48 offset1:72
	ds_load_2addr_b64 v[24:27], v116 offset0:96 offset1:120
	;; [unrolled: 1-line block ×5, first 2 shown]
	ds_load_b128 v[48:51], v93 offset:64
	ds_load_b128 v[44:47], v93 offset:80
	ds_load_2addr_b64 v[8:11], v114 offset0:32 offset1:56
	ds_load_2addr_b64 v[4:7], v114 offset0:80 offset1:104
	ds_load_b128 v[40:43], v93 offset:96
	ds_load_b128 v[36:39], v93 offset:112
	s_or_b32 s46, s18, 16
	s_wait_loadcnt_dscnt 0x0
	s_wait_alu 0xfffe
	s_ashr_i32 s47, s46, 31
	s_barrier_signal -1
	s_wait_alu 0xfffe
	s_mul_u64 s[46:47], s[46:47], s[36:37]
	s_barrier_wait -1
	s_wait_alu 0xfffe
	s_lshl_b64 s[46:47], s[46:47], 2
	global_inv scope:SCOPE_SE
	s_wait_alu 0xfffe
	s_add_nc_u64 s[46:47], s[42:43], s[46:47]
	s_and_saveexec_b32 s19, s4
	s_cbranch_execz .LBB21_25
; %bb.24:                               ;   in Loop: Header=BB21_11 Depth=1
	s_wait_alu 0xfffe
	v_add_co_u32 v122, s14, s46, v76
	s_wait_alu 0xf1ff
	v_add_co_ci_u32_e64 v123, null, s47, v77, s14
	s_delay_alu instid0(VALU_DEP_2) | instskip(SKIP_1) | instid1(VALU_DEP_2)
	v_add_co_u32 v122, s14, v122, v98
	s_wait_alu 0xf1ff
	v_add_co_ci_u32_e64 v123, null, 0, v123, s14
	global_load_b128 v[122:125], v[122:123], off offset:128
	s_wait_loadcnt 0x0
	ds_store_b128 v95, v[122:125]
.LBB21_25:                              ;   in Loop: Header=BB21_11 Depth=1
	s_wait_alu 0xfffe
	s_or_b32 exec_lo, exec_lo, s19
	s_and_saveexec_b32 s19, s5
	s_cbranch_execz .LBB21_27
; %bb.26:                               ;   in Loop: Header=BB21_11 Depth=1
	v_add_co_u32 v122, s14, s46, v78
	s_wait_alu 0xf1ff
	v_add_co_ci_u32_e64 v123, null, s47, v79, s14
	s_delay_alu instid0(VALU_DEP_2) | instskip(SKIP_1) | instid1(VALU_DEP_2)
	v_add_co_u32 v121, s14, v122, v121
	s_wait_alu 0xf1ff
	v_add_co_ci_u32_e64 v122, null, 0, v123, s14
	global_load_b128 v[121:124], v[121:122], off
	s_wait_loadcnt 0x0
	ds_store_b128 v96, v[121:124]
.LBB21_27:                              ;   in Loop: Header=BB21_11 Depth=1
	s_wait_alu 0xfffe
	s_or_b32 exec_lo, exec_lo, s19
	v_dual_mul_f32 v121, 0x3fb8aa3b, v118 :: v_dual_mul_f32 v122, 0x3fb8aa3b, v119
	v_and_b32_e32 v131, 0xffff, v54
	v_lshrrev_b32_e32 v54, 16, v54
	v_and_b32_e32 v132, 0xffff, v55
	s_delay_alu instid0(VALU_DEP_4)
	v_fma_f32 v124, 0x3fb8aa3b, v118, -v121
	v_rndne_f32_e32 v125, v121
	v_fma_f32 v126, 0x3fb8aa3b, v119, -v122
	v_mul_f32_e32 v127, 0x3fb8aa3b, v120
	v_rndne_f32_e32 v128, v122
	v_mul_f32_e32 v123, 0x3fb8aa3b, v117
	v_lshrrev_b32_e32 v55, 16, v55
	v_mul_u32_u24_e32 v131, 0x10001, v131
	v_mul_u32_u24_e32 v54, 0x10001, v54
	v_sub_f32_e32 v122, v122, v128
	v_fmac_f32_e32 v126, 0x32a5705f, v119
	v_fma_f32 v119, 0x3fb8aa3b, v117, -v123
	v_fmac_f32_e32 v124, 0x32a5705f, v118
	v_sub_f32_e32 v118, v121, v125
	v_rndne_f32_e32 v121, v123
	v_fma_f32 v129, 0x3fb8aa3b, v120, -v127
	v_rndne_f32_e32 v130, v127
	v_fmac_f32_e32 v119, 0x32a5705f, v117
	v_mul_u32_u24_e32 v132, 0x10001, v132
	v_sub_f32_e32 v117, v123, v121
	s_delay_alu instid0(VALU_DEP_4) | instskip(SKIP_1) | instid1(VALU_DEP_3)
	v_dual_fmac_f32 v129, 0x32a5705f, v120 :: v_dual_sub_f32 v120, v127, v130
	v_add_f32_e32 v118, v118, v124
	v_dual_add_f32 v122, v122, v126 :: v_dual_add_f32 v117, v117, v119
	v_cvt_i32_f32_e32 v123, v128
	s_delay_alu instid0(VALU_DEP_4) | instskip(NEXT) | instid1(VALU_DEP_4)
	v_add_f32_e32 v119, v120, v129
	v_exp_f32_e32 v118, v118
	s_delay_alu instid0(VALU_DEP_3)
	v_exp_f32_e32 v120, v122
	v_exp_f32_e32 v117, v117
	v_cvt_i32_f32_e32 v122, v125
	v_exp_f32_e32 v119, v119
	v_cvt_i32_f32_e32 v121, v121
	v_cvt_i32_f32_e32 v124, v130
	v_and_b32_e32 v125, 0xffff, v56
	v_lshrrev_b32_e32 v56, 16, v56
	v_and_b32_e32 v126, 0xffff, v57
	v_ldexp_f32 v118, v118, v122
	v_ldexp_f32 v120, v120, v123
	v_ldexp_f32 v117, v117, v121
	v_and_b32_e32 v121, 0xffff, v60
	v_ldexp_f32 v119, v119, v124
	v_cndmask_b32_e64 v118, 0, v118, s6
	v_cndmask_b32_e64 v120, 0, v120, s8
	;; [unrolled: 1-line block ×3, first 2 shown]
	v_lshrrev_b32_e32 v60, 16, v60
	v_cndmask_b32_e64 v119, 0, v119, s13
	v_cndmask_b32_e64 v118, 0x7f800000, v118, s7
	;; [unrolled: 1-line block ×4, first 2 shown]
	v_and_b32_e32 v122, 0xffff, v61
	v_cndmask_b32_e64 v119, 0x7f800000, v119, s12
	s_delay_alu instid0(VALU_DEP_4)
	v_dual_fmac_f32 v112, v105, v118 :: v_dual_fmac_f32 v113, v104, v120
	v_cvt_f16_f32_e32 v105, v118
	v_cvt_f16_f32_e32 v118, v120
	;; [unrolled: 1-line block ×3, first 2 shown]
	v_fmac_f32_e32 v111, v103, v117
	v_cvt_f16_f32_e32 v117, v119
	v_dual_fmac_f32 v110, v102, v119 :: v_dual_and_b32 v103, 0xffff, v105
	v_and_b32_e32 v105, 0xffff, v118
	v_and_b32_e32 v118, 0xffff, v65
	;; [unrolled: 1-line block ×3, first 2 shown]
	s_delay_alu instid0(VALU_DEP_4)
	v_mul_u32_u24_e32 v102, 0x10001, v103
	v_lshrrev_b32_e32 v65, 16, v65
	v_mul_u32_u24_e32 v103, 0x10001, v105
	v_and_b32_e32 v105, 0xffff, v117
	v_and_b32_e32 v117, 0xffff, v64
	v_lshrrev_b32_e32 v64, 16, v64
	v_mul_u32_u24_e32 v118, 0x10001, v118
	v_mul_u32_u24_e32 v104, 0x10001, v104
	;; [unrolled: 1-line block ×5, first 2 shown]
	v_and_b32_e32 v119, 0xffff, v66
	v_lshrrev_b32_e32 v66, 16, v66
	v_and_b32_e32 v120, 0xffff, v67
	v_mul_u32_u24_e32 v65, 0x10001, v65
	v_lshrrev_b32_e32 v67, 16, v67
	v_pk_mul_f16 v100, v100, v102
	v_pk_mul_f16 v92, v92, v103
	;; [unrolled: 1-line block ×6, first 2 shown]
	v_mul_u32_u24_e32 v119, 0x10001, v119
	v_mul_u32_u24_e32 v66, 0x10001, v66
	;; [unrolled: 1-line block ×4, first 2 shown]
	v_lshrrev_b32_e32 v61, 16, v61
	v_pk_mul_f16 v86, v86, v104
	v_pk_mul_f16 v81, v81, v105
	v_pk_fma_f16 v99, v99, v102, v149
	v_pk_fma_f16 v88, v88, v103, v150
	;; [unrolled: 1-line block ×6, first 2 shown]
	v_mul_u32_u24_e32 v121, 0x10001, v121
	v_mul_u32_u24_e32 v60, 0x10001, v60
	;; [unrolled: 1-line block ×3, first 2 shown]
	v_and_b32_e32 v123, 0xffff, v62
	v_lshrrev_b32_e32 v62, 16, v62
	v_and_b32_e32 v124, 0xffff, v63
	v_mul_u32_u24_e32 v61, 0x10001, v61
	v_lshrrev_b32_e32 v63, 16, v63
	v_pk_fma_f16 v86, v33, v118, v86
	v_pk_fma_f16 v33, v33, v65, v81
	v_pk_fma_f16 v65, v34, v119, v99
	v_pk_fma_f16 v81, v34, v66, v88
	v_pk_fma_f16 v85, v34, v120, v85
	v_pk_fma_f16 v32, v34, v67, v32
	v_pk_fma_f16 v34, v35, v119, v83
	v_pk_fma_f16 v64, v35, v66, v64
	v_mul_u32_u24_e32 v123, 0x10001, v123
	v_mul_u32_u24_e32 v62, 0x10001, v62
	;; [unrolled: 1-line block ×4, first 2 shown]
	v_lshrrev_b32_e32 v57, 16, v57
	v_pk_fma_f16 v66, v35, v120, v86
	v_pk_fma_f16 v33, v35, v67, v33
	;; [unrolled: 1-line block ×8, first 2 shown]
	v_mul_u32_u24_e32 v125, 0x10001, v125
	v_mul_u32_u24_e32 v56, 0x10001, v56
	;; [unrolled: 1-line block ×3, first 2 shown]
	v_and_b32_e32 v127, 0xffff, v58
	v_lshrrev_b32_e32 v58, 16, v58
	v_and_b32_e32 v128, 0xffff, v59
	v_mul_u32_u24_e32 v57, 0x10001, v57
	v_lshrrev_b32_e32 v59, 16, v59
	v_pk_fma_f16 v60, v29, v122, v66
	v_pk_fma_f16 v29, v29, v61, v33
	;; [unrolled: 1-line block ×8, first 2 shown]
	v_mul_u32_u24_e32 v127, 0x10001, v127
	v_mul_u32_u24_e32 v58, 0x10001, v58
	;; [unrolled: 1-line block ×3, first 2 shown]
	v_and_b32_e32 v129, 0xffff, v52
	v_lshrrev_b32_e32 v52, 16, v52
	v_and_b32_e32 v130, 0xffff, v53
	v_mul_u32_u24_e32 v59, 0x10001, v59
	v_lshrrev_b32_e32 v53, 16, v53
	v_pk_fma_f16 v34, v31, v124, v60
	v_pk_fma_f16 v29, v31, v63, v29
	;; [unrolled: 1-line block ×8, first 2 shown]
	v_mul_u32_u24_e32 v129, 0x10001, v129
	v_mul_u32_u24_e32 v52, 0x10001, v52
	;; [unrolled: 1-line block ×4, first 2 shown]
	v_pk_fma_f16 v32, v25, v126, v34
	v_pk_fma_f16 v25, v25, v57, v29
	;; [unrolled: 1-line block ×8, first 2 shown]
	v_and_b32_e32 v133, 0xffff, v48
	v_lshrrev_b32_e32 v48, 16, v48
	v_and_b32_e32 v134, 0xffff, v49
	v_mul_u32_u24_e32 v55, 0x10001, v55
	v_lshrrev_b32_e32 v49, 16, v49
	v_pk_fma_f16 v30, v27, v128, v32
	v_pk_fma_f16 v25, v27, v59, v25
	v_pk_fma_f16 v27, v20, v129, v29
	v_pk_fma_f16 v29, v20, v52, v31
	v_pk_fma_f16 v31, v20, v130, v33
	v_pk_fma_f16 v20, v20, v53, v24
	v_pk_fma_f16 v24, v21, v129, v26
	v_pk_fma_f16 v26, v21, v52, v28
	v_mul_u32_u24_e32 v133, 0x10001, v133
	v_mul_u32_u24_e32 v48, 0x10001, v48
	v_mul_u32_u24_e32 v134, 0x10001, v134
	v_and_b32_e32 v135, 0xffff, v50
	v_lshrrev_b32_e32 v50, 16, v50
	v_and_b32_e32 v136, 0xffff, v51
	v_mul_u32_u24_e32 v49, 0x10001, v49
	v_lshrrev_b32_e32 v51, 16, v51
	v_pk_fma_f16 v28, v21, v130, v30
	v_pk_fma_f16 v21, v21, v53, v25
	v_pk_fma_f16 v25, v22, v131, v27
	v_pk_fma_f16 v27, v22, v54, v29
	v_pk_fma_f16 v29, v22, v132, v31
	v_pk_fma_f16 v20, v22, v55, v20
	v_pk_fma_f16 v22, v23, v131, v24
	v_pk_fma_f16 v24, v23, v54, v26
	v_mul_u32_u24_e32 v135, 0x10001, v135
	v_mul_u32_u24_e32 v50, 0x10001, v50
	v_mul_u32_u24_e32 v136, 0x10001, v136
	;; [unrolled: 16-line block ×6, first 2 shown]
	v_mul_u32_u24_e32 v43, 0x10001, v43
	v_pk_fma_f16 v18, v15, v140, v20
	v_pk_fma_f16 v13, v15, v47, v13
	;; [unrolled: 1-line block ×8, first 2 shown]
	v_and_b32_e32 v145, 0xffff, v36
	v_lshrrev_b32_e32 v36, 16, v36
	v_and_b32_e32 v146, 0xffff, v37
	v_lshrrev_b32_e32 v37, 16, v37
	v_pk_fma_f16 v16, v9, v142, v18
	v_pk_fma_f16 v9, v9, v41, v13
	;; [unrolled: 1-line block ×8, first 2 shown]
	s_wait_loadcnt_dscnt 0x0
	s_barrier_signal -1
	s_barrier_wait -1
	global_inv scope:SCOPE_SE
	ds_load_b128 v[12:15], v93 offset:128
	v_mul_u32_u24_e32 v145, 0x10001, v145
	v_mul_u32_u24_e32 v36, 0x10001, v36
	;; [unrolled: 1-line block ×4, first 2 shown]
	v_pk_fma_f16 v16, v11, v144, v16
	v_pk_fma_f16 v9, v11, v43, v9
	v_and_b32_e32 v147, 0xffff, v38
	v_lshrrev_b32_e32 v38, 16, v38
	v_and_b32_e32 v148, 0xffff, v39
	v_lshrrev_b32_e32 v39, 16, v39
	v_pk_fma_f16 v18, v4, v145, v18
	v_pk_fma_f16 v17, v4, v36, v17
	;; [unrolled: 1-line block ×8, first 2 shown]
	ds_load_2addr_b64 v[8:11], v116 offset1:24
	v_mul_u32_u24_e32 v147, 0x10001, v147
	v_mul_u32_u24_e32 v38, 0x10001, v38
	;; [unrolled: 1-line block ×4, first 2 shown]
	s_delay_alu instid0(VALU_DEP_4) | instskip(NEXT) | instid1(VALU_DEP_4)
	v_pk_fma_f16 v24, v6, v147, v18
	v_pk_fma_f16 v25, v6, v38, v17
	s_delay_alu instid0(VALU_DEP_4) | instskip(NEXT) | instid1(VALU_DEP_4)
	v_pk_fma_f16 v26, v6, v148, v19
	v_pk_fma_f16 v27, v6, v39, v4
	;; [unrolled: 1-line block ×3, first 2 shown]
	ds_load_b128 v[16:19], v93 offset:144
	s_wait_dscnt 0x2
	v_and_b32_e32 v4, 0xffff, v12
	v_lshrrev_b32_e32 v6, 16, v12
	v_and_b32_e32 v12, 0xffff, v13
	v_lshrrev_b32_e32 v13, 16, v13
	v_pk_fma_f16 v28, v7, v147, v21
	v_pk_fma_f16 v29, v7, v38, v20
	v_mul_u32_u24_e32 v32, 0x10001, v4
	v_mul_u32_u24_e32 v33, 0x10001, v6
	;; [unrolled: 1-line block ×4, first 2 shown]
	v_and_b32_e32 v13, 0xffff, v14
	v_lshrrev_b32_e32 v14, 16, v14
	v_pk_fma_f16 v31, v7, v39, v5
	ds_load_b128 v[4:7], v93 offset:160
	ds_load_b128 v[20:23], v93 offset:176
	s_wait_dscnt 0x3
	v_pk_fma_f16 v24, v8, v32, v24
	v_pk_fma_f16 v25, v8, v33, v25
	;; [unrolled: 1-line block ×7, first 2 shown]
	v_and_b32_e32 v30, 0xffff, v15
	v_lshrrev_b32_e32 v32, 16, v15
	v_mul_u32_u24_e32 v33, 0x10001, v13
	v_mul_u32_u24_e32 v35, 0x10001, v14
	ds_load_2addr_b64 v[12:15], v116 offset0:48 offset1:72
	v_mul_u32_u24_e32 v30, 0x10001, v30
	v_mul_u32_u24_e32 v32, 0x10001, v32
	v_pk_fma_f16 v9, v9, v34, v31
	v_pk_fma_f16 v24, v10, v33, v24
	v_pk_fma_f16 v25, v10, v35, v25
	v_pk_fma_f16 v26, v10, v30, v26
	v_pk_fma_f16 v8, v10, v32, v8
	v_pk_fma_f16 v10, v11, v33, v27
	v_pk_fma_f16 v27, v11, v35, v28
	s_wait_dscnt 0x3
	v_and_b32_e32 v28, 0xffff, v16
	v_lshrrev_b32_e32 v16, 16, v16
	v_and_b32_e32 v31, 0xffff, v17
	v_lshrrev_b32_e32 v17, 16, v17
	v_pk_fma_f16 v29, v11, v30, v29
	v_mul_u32_u24_e32 v28, 0x10001, v28
	v_mul_u32_u24_e32 v16, 0x10001, v16
	;; [unrolled: 1-line block ×4, first 2 shown]
	v_pk_fma_f16 v31, v11, v32, v9
	s_wait_dscnt 0x0
	v_pk_fma_f16 v24, v12, v28, v24
	v_pk_fma_f16 v25, v12, v16, v25
	;; [unrolled: 1-line block ×4, first 2 shown]
	v_and_b32_e32 v8, 0xffff, v18
	v_lshrrev_b32_e32 v9, 16, v18
	v_pk_fma_f16 v28, v13, v28, v10
	v_pk_fma_f16 v16, v13, v16, v27
	;; [unrolled: 1-line block ×3, first 2 shown]
	v_and_b32_e32 v27, 0xffff, v19
	v_lshrrev_b32_e32 v19, 16, v19
	v_mul_u32_u24_e32 v29, 0x10001, v8
	v_mul_u32_u24_e32 v30, 0x10001, v9
	ds_load_2addr_b64 v[8:11], v116 offset0:96 offset1:120
	v_mul_u32_u24_e32 v27, 0x10001, v27
	v_mul_u32_u24_e32 v19, 0x10001, v19
	v_pk_fma_f16 v13, v13, v17, v31
	v_pk_fma_f16 v17, v14, v29, v24
	;; [unrolled: 1-line block ×6, first 2 shown]
	v_and_b32_e32 v26, 0xffff, v4
	v_lshrrev_b32_e32 v4, 16, v4
	v_and_b32_e32 v28, 0xffff, v5
	v_lshrrev_b32_e32 v5, 16, v5
	v_pk_fma_f16 v16, v15, v30, v16
	v_pk_fma_f16 v18, v15, v27, v18
	v_mul_u32_u24_e32 v26, 0x10001, v26
	v_mul_u32_u24_e32 v4, 0x10001, v4
	v_mul_u32_u24_e32 v27, 0x10001, v28
	v_mul_u32_u24_e32 v28, 0x10001, v5
	v_pk_fma_f16 v13, v15, v19, v13
	s_wait_dscnt 0x0
	v_pk_fma_f16 v15, v8, v26, v17
	v_pk_fma_f16 v17, v8, v4, v24
	v_pk_fma_f16 v19, v8, v27, v25
	v_pk_fma_f16 v8, v8, v28, v12
	v_pk_fma_f16 v12, v9, v26, v14
	v_pk_fma_f16 v14, v9, v4, v16
	v_and_b32_e32 v4, 0xffff, v6
	v_lshrrev_b32_e32 v5, 16, v6
	v_pk_fma_f16 v16, v9, v27, v18
	v_and_b32_e32 v18, 0xffff, v7
	v_lshrrev_b32_e32 v24, 16, v7
	v_mul_u32_u24_e32 v25, 0x10001, v4
	v_mul_u32_u24_e32 v26, 0x10001, v5
	ds_load_2addr_b64 v[4:7], v116 offset0:144 offset1:168
	v_mul_u32_u24_e32 v18, 0x10001, v18
	v_mul_u32_u24_e32 v24, 0x10001, v24
	v_pk_fma_f16 v9, v9, v28, v13
	v_pk_fma_f16 v13, v10, v25, v15
	;; [unrolled: 1-line block ×7, first 2 shown]
	v_and_b32_e32 v14, 0xffff, v20
	v_lshrrev_b32_e32 v19, 16, v20
	v_and_b32_e32 v20, 0xffff, v21
	v_lshrrev_b32_e32 v21, 16, v21
	v_pk_fma_f16 v16, v11, v18, v16
	v_mul_u32_u24_e32 v14, 0x10001, v14
	v_mul_u32_u24_e32 v18, 0x10001, v19
	v_mul_u32_u24_e32 v19, 0x10001, v20
	v_mul_u32_u24_e32 v20, 0x10001, v21
	v_pk_fma_f16 v21, v11, v24, v9
	s_wait_dscnt 0x0
	v_pk_fma_f16 v24, v4, v14, v13
	v_pk_fma_f16 v25, v4, v18, v15
	v_pk_fma_f16 v17, v4, v19, v17
	v_pk_fma_f16 v4, v4, v20, v8
	v_pk_fma_f16 v26, v5, v14, v10
	ds_load_b128 v[8:11], v93 offset:192
	v_pk_fma_f16 v18, v5, v18, v12
	v_and_b32_e32 v12, 0xffff, v22
	v_lshrrev_b32_e32 v13, 16, v22
	v_and_b32_e32 v14, 0xffff, v23
	v_pk_fma_f16 v22, v5, v19, v16
	v_lshrrev_b32_e32 v16, 16, v23
	v_mul_u32_u24_e32 v19, 0x10001, v12
	v_mul_u32_u24_e32 v23, 0x10001, v13
	;; [unrolled: 1-line block ×3, first 2 shown]
	ds_load_2addr_b64 v[12:15], v116 offset0:192 offset1:216
	v_mul_u32_u24_e32 v28, 0x10001, v16
	v_pk_fma_f16 v5, v5, v20, v21
	v_pk_fma_f16 v20, v6, v19, v24
	;; [unrolled: 1-line block ×7, first 2 shown]
	ds_load_b128 v[16:19], v93 offset:208
	s_wait_dscnt 0x2
	v_and_b32_e32 v25, 0xffff, v8
	v_lshrrev_b32_e32 v8, 16, v8
	v_and_b32_e32 v26, 0xffff, v9
	v_lshrrev_b32_e32 v9, 16, v9
	v_pk_fma_f16 v22, v7, v27, v22
	v_mul_u32_u24_e32 v25, 0x10001, v25
	v_mul_u32_u24_e32 v8, 0x10001, v8
	;; [unrolled: 1-line block ×4, first 2 shown]
	v_pk_fma_f16 v27, v7, v28, v5
	s_wait_dscnt 0x1
	v_pk_fma_f16 v20, v12, v25, v20
	v_pk_fma_f16 v21, v12, v8, v21
	;; [unrolled: 1-line block ×4, first 2 shown]
	v_and_b32_e32 v4, 0xffff, v10
	v_lshrrev_b32_e32 v5, 16, v10
	v_pk_fma_f16 v25, v13, v25, v6
	v_pk_fma_f16 v8, v13, v8, v23
	;; [unrolled: 1-line block ×3, first 2 shown]
	v_and_b32_e32 v22, 0xffff, v11
	v_lshrrev_b32_e32 v11, 16, v11
	v_mul_u32_u24_e32 v23, 0x10001, v4
	v_mul_u32_u24_e32 v26, 0x10001, v5
	ds_load_2addr_b64 v[4:7], v115 offset0:112 offset1:136
	v_mul_u32_u24_e32 v22, 0x10001, v22
	v_mul_u32_u24_e32 v11, 0x10001, v11
	v_pk_fma_f16 v9, v13, v9, v27
	v_pk_fma_f16 v13, v14, v23, v20
	;; [unrolled: 1-line block ×7, first 2 shown]
	s_wait_dscnt 0x1
	v_and_b32_e32 v8, 0xffff, v16
	v_lshrrev_b32_e32 v16, 16, v16
	v_and_b32_e32 v24, 0xffff, v17
	v_lshrrev_b32_e32 v17, 16, v17
	v_pk_fma_f16 v22, v15, v22, v10
	v_mul_u32_u24_e32 v8, 0x10001, v8
	v_mul_u32_u24_e32 v16, 0x10001, v16
	v_mul_u32_u24_e32 v24, 0x10001, v24
	v_mul_u32_u24_e32 v17, 0x10001, v17
	v_pk_fma_f16 v25, v15, v11, v9
	s_wait_dscnt 0x0
	v_pk_fma_f16 v26, v4, v8, v13
	v_pk_fma_f16 v27, v5, v8, v14
	ds_load_b128 v[8:11], v93 offset:224
	v_pk_fma_f16 v20, v4, v16, v20
	v_pk_fma_f16 v21, v4, v24, v21
	;; [unrolled: 1-line block ×3, first 2 shown]
	v_and_b32_e32 v12, 0xffff, v18
	v_lshrrev_b32_e32 v13, 16, v18
	v_and_b32_e32 v14, 0xffff, v19
	v_pk_fma_f16 v16, v5, v16, v23
	v_pk_fma_f16 v22, v5, v24, v22
	v_lshrrev_b32_e32 v18, 16, v19
	v_mul_u32_u24_e32 v19, 0x10001, v12
	v_mul_u32_u24_e32 v23, 0x10001, v13
	;; [unrolled: 1-line block ×3, first 2 shown]
	ds_load_2addr_b64 v[12:15], v114 offset0:32 offset1:56
	v_mul_u32_u24_e32 v28, 0x10001, v18
	v_pk_fma_f16 v5, v5, v17, v25
	v_pk_fma_f16 v25, v6, v19, v26
	;; [unrolled: 1-line block ×7, first 2 shown]
	ds_load_b128 v[16:19], v93 offset:240
	s_wait_dscnt 0x2
	v_and_b32_e32 v26, 0xffff, v8
	v_lshrrev_b32_e32 v8, 16, v8
	v_and_b32_e32 v27, 0xffff, v9
	v_lshrrev_b32_e32 v9, 16, v9
	v_pk_fma_f16 v22, v7, v24, v22
	v_mul_u32_u24_e32 v24, 0x10001, v26
	v_mul_u32_u24_e32 v8, 0x10001, v8
	;; [unrolled: 1-line block ×4, first 2 shown]
	v_pk_fma_f16 v27, v7, v28, v5
	s_wait_dscnt 0x1
	v_pk_fma_f16 v25, v12, v24, v25
	v_pk_fma_f16 v20, v12, v8, v20
	;; [unrolled: 1-line block ×4, first 2 shown]
	v_and_b32_e32 v4, 0xffff, v10
	v_lshrrev_b32_e32 v5, 16, v10
	v_pk_fma_f16 v24, v13, v24, v6
	v_pk_fma_f16 v8, v13, v8, v23
	;; [unrolled: 1-line block ×3, first 2 shown]
	v_and_b32_e32 v22, 0xffff, v11
	v_lshrrev_b32_e32 v11, 16, v11
	v_mul_u32_u24_e32 v23, 0x10001, v4
	v_mul_u32_u24_e32 v26, 0x10001, v5
	ds_load_2addr_b64 v[4:7], v114 offset0:80 offset1:104
	v_mul_u32_u24_e32 v22, 0x10001, v22
	v_mul_u32_u24_e32 v11, 0x10001, v11
	s_wait_loadcnt_dscnt 0x0
	s_barrier_signal -1
	s_barrier_wait -1
	global_inv scope:SCOPE_SE
	s_load_b32 s6, s[44:45], 0x4
	v_pk_fma_f16 v9, v13, v9, v27
	v_pk_fma_f16 v13, v14, v23, v25
	;; [unrolled: 1-line block ×6, first 2 shown]
	v_and_b32_e32 v23, 0xffff, v16
	v_lshrrev_b32_e32 v16, 16, v16
	v_and_b32_e32 v24, 0xffff, v17
	v_lshrrev_b32_e32 v17, 16, v17
	v_pk_fma_f16 v8, v15, v26, v8
	v_pk_fma_f16 v10, v15, v22, v10
	v_mul_u32_u24_e32 v22, 0x10001, v23
	v_mul_u32_u24_e32 v16, 0x10001, v16
	v_mul_u32_u24_e32 v23, 0x10001, v24
	v_mul_u32_u24_e32 v17, 0x10001, v17
	v_pk_fma_f16 v9, v15, v11, v9
	v_pk_fma_f16 v11, v4, v22, v13
	;; [unrolled: 1-line block ×7, first 2 shown]
	v_and_b32_e32 v14, 0xffff, v18
	v_lshrrev_b32_e32 v16, 16, v18
	v_and_b32_e32 v18, 0xffff, v19
	v_lshrrev_b32_e32 v19, 16, v19
	v_pk_fma_f16 v10, v5, v23, v10
	v_mul_u32_u24_e32 v14, 0x10001, v14
	v_mul_u32_u24_e32 v16, 0x10001, v16
	;; [unrolled: 1-line block ×4, first 2 shown]
	v_pk_fma_f16 v5, v5, v17, v9
	s_wait_kmcnt 0x0
	s_lshl_b32 s6, s6, 5
	v_pk_fma_f16 v99, v6, v14, v11
	v_pk_fma_f16 v88, v6, v16, v13
	;; [unrolled: 1-line block ×8, first 2 shown]
	s_wait_alu 0xfffe
	s_add_co_i32 s18, s6, s18
	s_wait_alu 0xfffe
	s_cmp_ge_i32 s18, s30
	s_cbranch_scc1 .LBB21_29
; %bb.28:                               ;   in Loop: Header=BB21_11 Depth=1
	v_dual_mov_b32 v5, v0 :: v_dual_mov_b32 v6, v2
	v_dual_mov_b32 v7, v1 :: v_dual_mov_b32 v4, v3
	;; [unrolled: 1-line block ×4, first 2 shown]
	s_branch .LBB21_11
.LBB21_29:
	v_mov_b32_e32 v4, v82
.LBB21_30:
	v_cmp_lt_i32_e32 vcc_lo, v101, v84
	s_cmp_lg_u64 s[16:17], 0
	s_cselect_b32 s3, -1, 0
	s_cmp_eq_u32 s15, 0
	s_wait_alu 0xfffd
	v_cndmask_b32_e32 v5, v4, v101, vcc_lo
	v_cmp_lt_i32_e32 vcc_lo, v106, v84
	s_cselect_b32 s4, -1, 0
	s_wait_alu 0xfffe
	s_and_b32 s3, s4, s3
	v_lshlrev_b32_e32 v5, 2, v5
	s_wait_alu 0xfffd
	v_cndmask_b32_e32 v9, v4, v106, vcc_lo
	v_cmp_lt_i32_e32 vcc_lo, v107, v84
	ds_bpermute_b32 v6, v5, v112
	s_wait_dscnt 0x0
	v_add_f32_e32 v6, v112, v6
	ds_bpermute_b32 v8, v5, v111
	v_lshlrev_b32_e32 v9, 2, v9
	ds_bpermute_b32 v7, v5, v113
	ds_bpermute_b32 v5, v5, v110
	;; [unrolled: 1-line block ×3, first 2 shown]
	s_wait_dscnt 0x3
	v_add_f32_e32 v8, v111, v8
	s_wait_dscnt 0x0
	v_add_f32_e32 v6, v6, v10
	ds_bpermute_b32 v12, v9, v8
	v_add_f32_e32 v7, v113, v7
	s_wait_alu 0xfffd
	v_cndmask_b32_e32 v13, v4, v107, vcc_lo
	v_cmp_lt_i32_e32 vcc_lo, v108, v84
	s_wait_dscnt 0x0
	s_delay_alu instid0(VALU_DEP_2)
	v_dual_add_f32 v8, v8, v12 :: v_dual_lshlrev_b32 v13, 2, v13
	ds_bpermute_b32 v11, v9, v7
	s_wait_dscnt 0x0
	v_add_f32_e32 v7, v7, v11
	ds_bpermute_b32 v11, v13, v8
	v_add_f32_e32 v5, v110, v5
	ds_bpermute_b32 v10, v13, v7
	s_wait_dscnt 0x1
	v_add_f32_e32 v8, v8, v11
	ds_bpermute_b32 v9, v9, v5
	s_wait_dscnt 0x0
	v_add_f32_e32 v5, v5, v9
	ds_bpermute_b32 v9, v13, v6
	ds_bpermute_b32 v12, v13, v5
	s_wait_dscnt 0x1
	s_wait_alu 0xfffd
	v_dual_add_f32 v6, v6, v9 :: v_dual_cndmask_b32 v13, v4, v108
	v_cmp_lt_i32_e32 vcc_lo, v109, v84
	s_wait_dscnt 0x0
	v_add_f32_e32 v5, v5, v12
	s_delay_alu instid0(VALU_DEP_3)
	v_lshlrev_b32_e32 v13, 2, v13
	s_wait_alu 0xfffd
	v_cndmask_b32_e32 v4, v4, v109, vcc_lo
	s_wait_alu 0xfffe
	s_and_b32 vcc_lo, exec_lo, s3
	ds_bpermute_b32 v9, v13, v6
	ds_bpermute_b32 v12, v13, v5
	v_lshlrev_b32_e32 v4, 2, v4
	ds_bpermute_b32 v11, v13, v8
	s_wait_dscnt 0x1
	v_dual_add_f32 v6, v6, v9 :: v_dual_add_f32 v9, v5, v12
	s_wait_dscnt 0x0
	v_add_f32_e32 v8, v8, v11
	ds_bpermute_b32 v5, v4, v6
	v_add_f32_e32 v7, v7, v10
	ds_bpermute_b32 v12, v4, v9
	ds_bpermute_b32 v11, v4, v8
	;; [unrolled: 1-line block ×3, first 2 shown]
	s_wait_dscnt 0x0
	v_add_f32_e32 v7, v7, v10
	ds_bpermute_b32 v10, v4, v7
	v_add_f32_e32 v4, v6, v5
	s_wait_dscnt 0x0
	v_dual_add_f32 v6, v8, v11 :: v_dual_add_f32 v5, v7, v10
	v_add_f32_e32 v7, v9, v12
	s_wait_alu 0xfffe
	s_cbranch_vccz .LBB21_33
; %bb.31:
	s_ashr_i32 s25, s24, 31
	v_dual_mov_b32 v8, 0 :: v_dual_max_num_f32 v13, v1, v1
	s_wait_alu 0xfffe
	s_lshl_b64 s[4:5], s[24:25], 2
	s_wait_alu 0xfffe
	s_add_nc_u64 s[4:5], s[16:17], s[4:5]
	global_load_b128 v[8:11], v8, s[4:5]
	v_max_num_f32_e32 v12, v0, v0
	s_wait_loadcnt 0x0
	v_dual_max_num_f32 v14, v2, v2 :: v_dual_max_num_f32 v15, v8, v8
	v_dual_max_num_f32 v17, v9, v9 :: v_dual_max_num_f32 v16, v3, v3
	;; [unrolled: 1-line block ×3, first 2 shown]
	s_delay_alu instid0(VALU_DEP_2) | instskip(NEXT) | instid1(VALU_DEP_2)
	v_dual_max_num_f32 v13, v13, v17 :: v_dual_max_num_f32 v12, v12, v15
	v_dual_max_num_f32 v14, v14, v18 :: v_dual_max_num_f32 v15, v16, v19
	s_delay_alu instid0(VALU_DEP_2) | instskip(SKIP_1) | instid1(VALU_DEP_3)
	v_dual_sub_f32 v17, v1, v13 :: v_dual_sub_f32 v16, v0, v12
	v_dual_sub_f32 v9, v9, v13 :: v_dual_sub_f32 v8, v8, v12
	;; [unrolled: 1-line block ×3, first 2 shown]
	v_dual_sub_f32 v11, v11, v15 :: v_dual_mov_b32 v0, v12
	v_dual_mov_b32 v3, v15 :: v_dual_sub_f32 v10, v10, v14
	v_dual_mov_b32 v1, v13 :: v_dual_mov_b32 v2, v14
	v_mul_f32_e32 v13, 0x3fb8aa3b, v8
	v_dual_mul_f32 v12, 0x3fb8aa3b, v16 :: v_dual_mul_f32 v15, 0x3fb8aa3b, v9
	s_delay_alu instid0(VALU_DEP_4) | instskip(NEXT) | instid1(VALU_DEP_3)
	v_dual_mul_f32 v14, 0x3fb8aa3b, v17 :: v_dual_mul_f32 v21, 0x3fb8aa3b, v10
	v_fma_f32 v26, 0x3fb8aa3b, v8, -v13
	s_delay_alu instid0(VALU_DEP_3)
	v_fma_f32 v24, 0x3fb8aa3b, v16, -v12
	v_rndne_f32_e32 v25, v12
	v_rndne_f32_e32 v27, v13
	;; [unrolled: 1-line block ×3, first 2 shown]
	v_fma_f32 v30, 0x3fb8aa3b, v9, -v15
	v_fmac_f32_e32 v24, 0x32a5705f, v16
	v_sub_f32_e32 v12, v12, v25
	v_fma_f32 v34, 0x3fb8aa3b, v10, -v21
	v_rndne_f32_e32 v35, v21
	v_dual_fmac_f32 v26, 0x32a5705f, v8 :: v_dual_sub_f32 v13, v13, v27
	s_delay_alu instid0(VALU_DEP_4)
	v_dual_sub_f32 v15, v15, v31 :: v_dual_add_f32 v12, v12, v24
	v_dual_mul_f32 v20, 0x3fb8aa3b, v18 :: v_dual_mul_f32 v23, 0x3fb8aa3b, v11
	v_fma_f32 v28, 0x3fb8aa3b, v17, -v14
	v_rndne_f32_e32 v29, v14
	v_dual_fmac_f32 v34, 0x32a5705f, v10 :: v_dual_sub_f32 v21, v21, v35
	v_dual_mul_f32 v22, 0x3fb8aa3b, v19 :: v_dual_add_f32 v13, v13, v26
	v_exp_f32_e32 v12, v12
	v_rndne_f32_e32 v39, v23
	v_cvt_i32_f32_e32 v25, v25
	v_fmac_f32_e32 v28, 0x32a5705f, v17
	v_dual_fmac_f32 v30, 0x32a5705f, v9 :: v_dual_add_f32 v21, v21, v34
	v_sub_f32_e32 v14, v14, v29
	v_exp_f32_e32 v13, v13
	v_fma_f32 v32, 0x3fb8aa3b, v18, -v20
	v_rndne_f32_e32 v33, v20
	v_fma_f32 v38, 0x3fb8aa3b, v11, -v23
	v_cvt_i32_f32_e32 v27, v27
	v_sub_f32_e32 v23, v23, v39
	v_dual_add_f32 v15, v15, v30 :: v_dual_add_f32 v14, v14, v28
	v_ldexp_f32 v12, v12, v25
	v_cmp_ngt_f32_e32 vcc_lo, 0xc2ce8ed0, v16
	v_fmac_f32_e32 v38, 0x32a5705f, v11
	v_sub_f32_e32 v20, v20, v33
	v_exp_f32_e32 v14, v14
	v_ldexp_f32 v13, v13, v27
	s_wait_alu 0xfffd
	v_cndmask_b32_e32 v12, 0, v12, vcc_lo
	v_cmp_ngt_f32_e32 vcc_lo, 0xc2ce8ed0, v8
	v_fmac_f32_e32 v32, 0x32a5705f, v18
	v_cvt_i32_f32_e32 v29, v29
	v_add_f32_e32 v23, v23, v38
	v_exp_f32_e32 v15, v15
	s_wait_alu 0xfffd
	v_dual_cndmask_b32 v13, 0, v13 :: v_dual_add_f32 v20, v20, v32
	v_cvt_i32_f32_e32 v31, v31
	v_ldexp_f32 v14, v14, v29
	v_cmp_ngt_f32_e32 vcc_lo, 0xc2ce8ed0, v17
	v_cvt_i32_f32_e32 v33, v33
	v_exp_f32_e32 v20, v20
	v_exp_f32_e32 v21, v21
	;; [unrolled: 1-line block ×3, first 2 shown]
	v_ldexp_f32 v15, v15, v31
	s_wait_alu 0xfffd
	v_cndmask_b32_e32 v14, 0, v14, vcc_lo
	v_cmp_ngt_f32_e32 vcc_lo, 0xc2ce8ed0, v9
	v_fma_f32 v36, 0x3fb8aa3b, v19, -v22
	v_rndne_f32_e32 v37, v22
	v_cvt_i32_f32_e32 v35, v35
	v_cvt_i32_f32_e32 v26, v39
	v_ldexp_f32 v20, v20, v33
	s_wait_alu 0xfffd
	v_cndmask_b32_e32 v15, 0, v15, vcc_lo
	v_cmp_ngt_f32_e32 vcc_lo, 0xc2ce8ed0, v18
	v_ldexp_f32 v21, v21, v35
	v_ldexp_f32 v23, v23, v26
	v_sub_f32_e32 v22, v22, v37
	v_cvt_i32_f32_e32 v24, v37
	s_wait_alu 0xfffd
	v_cndmask_b32_e32 v20, 0, v20, vcc_lo
	v_cmp_ngt_f32_e32 vcc_lo, 0xc2ce8ed0, v10
	s_wait_alu 0xfffd
	v_dual_fmac_f32 v36, 0x32a5705f, v19 :: v_dual_cndmask_b32 v21, 0, v21
	s_delay_alu instid0(VALU_DEP_1) | instskip(SKIP_1) | instid1(VALU_DEP_2)
	v_add_f32_e32 v22, v22, v36
	v_cmp_ngt_f32_e32 vcc_lo, 0xc2ce8ed0, v19
	v_exp_f32_e32 v22, v22
	s_delay_alu instid0(TRANS32_DEP_1) | instskip(SKIP_1) | instid1(VALU_DEP_1)
	v_ldexp_f32 v22, v22, v24
	s_wait_alu 0xfffd
	v_cndmask_b32_e32 v22, 0, v22, vcc_lo
	v_cmp_ngt_f32_e32 vcc_lo, 0xc2ce8ed0, v11
	s_wait_alu 0xfffd
	v_cndmask_b32_e32 v23, 0, v23, vcc_lo
	v_cmp_nlt_f32_e32 vcc_lo, 0x42b17218, v16
	s_wait_alu 0xfffd
	v_cndmask_b32_e32 v12, 0x7f800000, v12, vcc_lo
	v_cmp_nlt_f32_e32 vcc_lo, 0x42b17218, v8
	s_wait_alu 0xfffd
	v_cndmask_b32_e32 v8, 0x7f800000, v13, vcc_lo
	v_cmp_nlt_f32_e32 vcc_lo, 0x42b17218, v17
	s_wait_alu 0xfffd
	s_delay_alu instid0(VALU_DEP_2)
	v_dual_fmac_f32 v8, v4, v12 :: v_dual_cndmask_b32 v13, 0x7f800000, v14
	v_cmp_nlt_f32_e32 vcc_lo, 0x42b17218, v9
	v_cvt_f16_f32_e32 v4, v12
	s_wait_alu 0xfffd
	v_cndmask_b32_e32 v9, 0x7f800000, v15, vcc_lo
	v_cmp_nlt_f32_e32 vcc_lo, 0x42b17218, v18
	s_delay_alu instid0(VALU_DEP_2) | instskip(SKIP_1) | instid1(VALU_DEP_1)
	v_fmac_f32_e32 v9, v5, v13
	v_cvt_f16_f32_e32 v5, v13
	v_and_b32_e32 v13, 0xffff, v5
	s_wait_alu 0xfffd
	v_cndmask_b32_e32 v14, 0x7f800000, v20, vcc_lo
	v_cmp_nlt_f32_e32 vcc_lo, 0x42b17218, v10
	v_mov_b32_e32 v5, v9
	v_mul_u32_u24_e32 v13, 0x10001, v13
	s_wait_alu 0xfffd
	v_cndmask_b32_e32 v10, 0x7f800000, v21, vcc_lo
	v_cmp_nlt_f32_e32 vcc_lo, 0x42b17218, v19
	s_delay_alu instid0(VALU_DEP_3) | instskip(SKIP_1) | instid1(VALU_DEP_4)
	v_pk_mul_f16 v88, v88, v13
	v_pk_mul_f16 v92, v92, v13
	v_fmac_f32_e32 v10, v6, v14
	s_wait_alu 0xfffd
	v_cndmask_b32_e32 v15, 0x7f800000, v22, vcc_lo
	v_cmp_nlt_f32_e32 vcc_lo, 0x42b17218, v11
	v_cvt_f16_f32_e32 v6, v14
	s_delay_alu instid0(VALU_DEP_3) | instskip(SKIP_2) | instid1(VALU_DEP_3)
	v_cvt_f16_f32_e32 v12, v15
	s_wait_alu 0xfffd
	v_cndmask_b32_e32 v11, 0x7f800000, v23, vcc_lo
	v_and_b32_e32 v14, 0xffff, v6
	v_mov_b32_e32 v6, v10
	s_delay_alu instid0(VALU_DEP_3) | instskip(SKIP_1) | instid1(VALU_DEP_4)
	v_dual_fmac_f32 v11, v7, v15 :: v_dual_and_b32 v12, 0xffff, v12
	v_and_b32_e32 v7, 0xffff, v4
	v_mul_u32_u24_e32 v14, 0x10001, v14
	v_mov_b32_e32 v4, v8
	s_delay_alu instid0(VALU_DEP_4) | instskip(NEXT) | instid1(VALU_DEP_4)
	v_mul_u32_u24_e32 v12, 0x10001, v12
	v_mul_u32_u24_e32 v7, 0x10001, v7
	s_delay_alu instid0(VALU_DEP_4) | instskip(SKIP_1) | instid1(VALU_DEP_4)
	v_pk_mul_f16 v85, v85, v14
	v_pk_mul_f16 v86, v86, v14
	;; [unrolled: 1-line block ×6, first 2 shown]
	v_mov_b32_e32 v7, v11
	s_mov_b32 s3, exec_lo
	v_cmpx_gt_i32_e64 s26, v70
	s_cbranch_execnz .LBB21_34
.LBB21_32:
	s_nop 0
	s_sendmsg sendmsg(MSG_DEALLOC_VGPRS)
	s_endpgm
.LBB21_33:
	s_delay_alu instid0(VALU_DEP_1)
	v_dual_mov_b32 v11, v7 :: v_dual_mov_b32 v10, v6
	v_dual_mov_b32 v9, v5 :: v_dual_mov_b32 v8, v4
	s_mov_b32 s3, exec_lo
	v_cmpx_gt_i32_e64 s26, v70
	s_cbranch_execz .LBB21_32
.LBB21_34:
	s_load_b32 s0, s[0:1], 0xd4
	v_mov_b32_e32 v13, 1.0
	s_wait_kmcnt 0x0
	s_cmp_lg_u32 s0, 1
	s_cselect_b32 s1, -1, 0
	s_cmp_eq_u32 s0, 1
	s_cselect_b32 s3, -1, 0
	s_wait_alu 0xfffe
	s_and_b32 vcc_lo, exec_lo, s1
	s_wait_alu 0xfffe
	s_cbranch_vccnz .LBB21_36
; %bb.35:
	v_div_scale_f32 v12, null, v4, v4, 1.0
	s_delay_alu instid0(VALU_DEP_1) | instskip(NEXT) | instid1(TRANS32_DEP_1)
	v_rcp_f32_e32 v13, v12
	v_fma_f32 v14, -v12, v13, 1.0
	s_delay_alu instid0(VALU_DEP_1) | instskip(SKIP_1) | instid1(VALU_DEP_1)
	v_fmac_f32_e32 v13, v14, v13
	v_div_scale_f32 v14, vcc_lo, 1.0, v4, 1.0
	v_mul_f32_e32 v15, v14, v13
	s_delay_alu instid0(VALU_DEP_1) | instskip(NEXT) | instid1(VALU_DEP_1)
	v_fma_f32 v16, -v12, v15, v14
	v_fmac_f32_e32 v15, v16, v13
	s_delay_alu instid0(VALU_DEP_1) | instskip(SKIP_1) | instid1(VALU_DEP_1)
	v_fma_f32 v12, -v12, v15, v14
	s_wait_alu 0xfffd
	v_div_fmas_f32 v12, v12, v13, v15
	s_delay_alu instid0(VALU_DEP_1)
	v_div_fixup_f32 v13, v12, v4, 1.0
.LBB21_36:
	v_mad_co_u64_u32 v[14:15], null, s28, s26, v[70:71]
	s_delay_alu instid0(VALU_DEP_1) | instskip(NEXT) | instid1(VALU_DEP_1)
	v_mad_co_u64_u32 v[14:15], null, v14, s27, s[24:25]
	v_mul_lo_u32 v4, s0, v14
	s_delay_alu instid0(VALU_DEP_1)
	v_add_nc_u32_e32 v12, s15, v4
	s_and_saveexec_b32 s4, s2
	s_cbranch_execz .LBB21_38
; %bb.37:
	v_lshrrev_b32_e32 v16, 16, v100
	s_delay_alu instid0(VALU_DEP_2) | instskip(SKIP_2) | instid1(VALU_DEP_4)
	v_mad_co_u64_u32 v[14:15], null, 0x60, v12, v[68:69]
	v_lshrrev_b32_e32 v17, 16, v99
	v_cvt_f32_f16_e32 v19, v100
	v_cvt_f32_f16_e32 v16, v16
	v_mov_b32_e32 v15, 0
	v_cvt_f32_f16_e32 v20, v99
	v_cvt_f32_f16_e32 v21, v17
	s_delay_alu instid0(VALU_DEP_4) | instskip(NEXT) | instid1(VALU_DEP_4)
	v_mul_f32_e32 v16, v13, v16
	v_lshlrev_b64_e32 v[14:15], 2, v[14:15]
	s_delay_alu instid0(VALU_DEP_1) | instskip(SKIP_1) | instid1(VALU_DEP_2)
	v_add_co_u32 v17, vcc_lo, s20, v14
	s_wait_alu 0xfffd
	v_add_co_ci_u32_e64 v18, null, s21, v15, vcc_lo
	v_mul_f32_e32 v15, v13, v19
	v_mul_f32_e32 v14, v13, v21
	;; [unrolled: 1-line block ×3, first 2 shown]
	global_store_b128 v[17:18], v[13:16], off
.LBB21_38:
	s_wait_alu 0xfffe
	s_or_b32 exec_lo, exec_lo, s4
	v_cmp_eq_u32_e32 vcc_lo, 0, v69
	s_and_b32 s1, vcc_lo, s1
	s_wait_alu 0xfffe
	s_and_saveexec_b32 s4, s1
	s_cbranch_execz .LBB21_40
; %bb.39:
	v_ashrrev_i32_e32 v13, 31, v12
	v_dual_mov_b32 v14, v0 :: v_dual_mov_b32 v15, v8
	s_delay_alu instid0(VALU_DEP_2) | instskip(NEXT) | instid1(VALU_DEP_1)
	v_lshlrev_b64_e32 v[12:13], 3, v[12:13]
	v_add_co_u32 v12, vcc_lo, s22, v12
	s_wait_alu 0xfffd
	s_delay_alu instid0(VALU_DEP_2)
	v_add_co_ci_u32_e64 v13, null, s23, v13, vcc_lo
	global_store_b64 v[12:13], v[14:15], off
.LBB21_40:
	s_wait_alu 0xfffe
	s_or_b32 exec_lo, exec_lo, s4
	v_cndmask_b32_e64 v12, 0, 1, s3
	v_mov_b32_e32 v8, 1.0
	s_and_not1_b32 vcc_lo, exec_lo, s3
	s_wait_alu 0xfffe
	s_cbranch_vccz .LBB21_51
; %bb.41:
	v_add_nc_u32_e32 v0, s0, v4
	s_delay_alu instid0(VALU_DEP_1)
	v_add_nc_u32_e32 v4, s15, v0
	s_and_saveexec_b32 s3, s2
	s_cbranch_execnz .LBB21_52
.LBB21_42:
	s_wait_alu 0xfffe
	s_or_b32 exec_lo, exec_lo, s3
	s_and_saveexec_b32 s3, s1
	s_cbranch_execz .LBB21_44
.LBB21_43:
	v_ashrrev_i32_e32 v5, 31, v4
	v_mov_b32_e32 v8, v1
	s_delay_alu instid0(VALU_DEP_2) | instskip(NEXT) | instid1(VALU_DEP_1)
	v_lshlrev_b64_e32 v[4:5], 3, v[4:5]
	v_add_co_u32 v4, vcc_lo, s22, v4
	s_wait_alu 0xfffd
	s_delay_alu instid0(VALU_DEP_2)
	v_add_co_ci_u32_e64 v5, null, s23, v5, vcc_lo
	global_store_b64 v[4:5], v[8:9], off
.LBB21_44:
	s_wait_alu 0xfffe
	s_or_b32 exec_lo, exec_lo, s3
	v_cmp_ne_u32_e32 vcc_lo, 1, v12
	v_mov_b32_e32 v1, 1.0
	s_cbranch_vccz .LBB21_53
; %bb.45:
	v_add_nc_u32_e32 v4, s0, v0
	s_delay_alu instid0(VALU_DEP_1)
	v_add_nc_u32_e32 v0, s15, v4
	s_and_saveexec_b32 s3, s2
	s_cbranch_execnz .LBB21_54
.LBB21_46:
	s_wait_alu 0xfffe
	s_or_b32 exec_lo, exec_lo, s3
	s_and_saveexec_b32 s3, s1
	s_cbranch_execz .LBB21_48
.LBB21_47:
	v_ashrrev_i32_e32 v1, 31, v0
	v_mov_b32_e32 v9, v2
	s_delay_alu instid0(VALU_DEP_2) | instskip(NEXT) | instid1(VALU_DEP_1)
	v_lshlrev_b64_e32 v[0:1], 3, v[0:1]
	v_add_co_u32 v0, vcc_lo, s22, v0
	s_wait_alu 0xfffd
	s_delay_alu instid0(VALU_DEP_2)
	v_add_co_ci_u32_e64 v1, null, s23, v1, vcc_lo
	global_store_b64 v[0:1], v[9:10], off
.LBB21_48:
	s_wait_alu 0xfffe
	s_or_b32 exec_lo, exec_lo, s3
	v_cmp_ne_u32_e32 vcc_lo, 1, v12
	v_mov_b32_e32 v1, 1.0
	s_cbranch_vccz .LBB21_55
; %bb.49:
	v_add3_u32 v0, s15, s0, v4
	s_and_saveexec_b32 s0, s2
	s_cbranch_execnz .LBB21_56
.LBB21_50:
	s_wait_alu 0xfffe
	s_or_b32 exec_lo, exec_lo, s0
	s_delay_alu instid0(SALU_CYCLE_1)
	s_and_b32 exec_lo, exec_lo, s1
	s_cbranch_execz .LBB21_32
	s_branch .LBB21_57
.LBB21_51:
	v_div_scale_f32 v0, null, v5, v5, 1.0
	s_delay_alu instid0(VALU_DEP_1) | instskip(NEXT) | instid1(TRANS32_DEP_1)
	v_rcp_f32_e32 v8, v0
	v_fma_f32 v13, -v0, v8, 1.0
	s_delay_alu instid0(VALU_DEP_1) | instskip(SKIP_1) | instid1(VALU_DEP_1)
	v_fmac_f32_e32 v8, v13, v8
	v_div_scale_f32 v13, vcc_lo, 1.0, v5, 1.0
	v_mul_f32_e32 v14, v13, v8
	s_delay_alu instid0(VALU_DEP_1) | instskip(NEXT) | instid1(VALU_DEP_1)
	v_fma_f32 v15, -v0, v14, v13
	v_fmac_f32_e32 v14, v15, v8
	s_delay_alu instid0(VALU_DEP_1) | instskip(SKIP_1) | instid1(VALU_DEP_1)
	v_fma_f32 v0, -v0, v14, v13
	s_wait_alu 0xfffd
	v_div_fmas_f32 v0, v0, v8, v14
	s_delay_alu instid0(VALU_DEP_1) | instskip(SKIP_1) | instid1(VALU_DEP_1)
	v_div_fixup_f32 v8, v0, v5, 1.0
	v_add_nc_u32_e32 v0, s0, v4
	v_add_nc_u32_e32 v4, s15, v0
	s_and_saveexec_b32 s3, s2
	s_cbranch_execz .LBB21_42
.LBB21_52:
	s_delay_alu instid0(VALU_DEP_1)
	v_mad_co_u64_u32 v[13:14], null, 0x60, v4, v[68:69]
	v_lshrrev_b32_e32 v15, 16, v88
	v_cvt_f32_f16_e32 v19, v92
	v_mov_b32_e32 v14, 0
	v_lshrrev_b32_e32 v5, 16, v92
	v_cvt_f32_f16_e32 v20, v88
	v_cvt_f32_f16_e32 v21, v15
	v_mul_f32_e32 v15, v8, v19
	v_lshlrev_b64_e32 v[13:14], 2, v[13:14]
	v_cvt_f32_f16_e32 v5, v5
	s_delay_alu instid0(VALU_DEP_1) | instskip(NEXT) | instid1(VALU_DEP_3)
	v_mul_f32_e32 v16, v8, v5
	v_add_co_u32 v17, vcc_lo, s20, v13
	s_wait_alu 0xfffd
	s_delay_alu instid0(VALU_DEP_4)
	v_add_co_ci_u32_e64 v18, null, s21, v14, vcc_lo
	v_mul_f32_e32 v14, v8, v21
	v_mul_f32_e32 v13, v8, v20
	global_store_b128 v[17:18], v[13:16], off
	s_wait_alu 0xfffe
	s_or_b32 exec_lo, exec_lo, s3
	s_and_saveexec_b32 s3, s1
	s_cbranch_execnz .LBB21_43
	s_branch .LBB21_44
.LBB21_53:
	v_div_scale_f32 v1, null, v6, v6, 1.0
	s_delay_alu instid0(VALU_DEP_1) | instskip(NEXT) | instid1(TRANS32_DEP_1)
	v_rcp_f32_e32 v4, v1
	v_fma_f32 v5, -v1, v4, 1.0
	s_delay_alu instid0(VALU_DEP_1) | instskip(SKIP_1) | instid1(VALU_DEP_1)
	v_fmac_f32_e32 v4, v5, v4
	v_div_scale_f32 v5, vcc_lo, 1.0, v6, 1.0
	v_mul_f32_e32 v8, v5, v4
	s_delay_alu instid0(VALU_DEP_1) | instskip(NEXT) | instid1(VALU_DEP_1)
	v_fma_f32 v9, -v1, v8, v5
	v_fmac_f32_e32 v8, v9, v4
	s_delay_alu instid0(VALU_DEP_1) | instskip(SKIP_1) | instid1(VALU_DEP_1)
	v_fma_f32 v1, -v1, v8, v5
	s_wait_alu 0xfffd
	v_div_fmas_f32 v1, v1, v4, v8
	s_delay_alu instid0(VALU_DEP_1) | instskip(SKIP_1) | instid1(VALU_DEP_1)
	v_div_fixup_f32 v1, v1, v6, 1.0
	v_add_nc_u32_e32 v4, s0, v0
	v_add_nc_u32_e32 v0, s15, v4
	s_and_saveexec_b32 s3, s2
	s_cbranch_execz .LBB21_46
.LBB21_54:
	s_delay_alu instid0(VALU_DEP_1)
	v_mad_co_u64_u32 v[5:6], null, 0x60, v0, v[68:69]
	v_cvt_f32_f16_e32 v13, v86
	v_mov_b32_e32 v6, 0
	v_lshrrev_b32_e32 v8, 16, v86
	v_lshrrev_b32_e32 v9, 16, v85
	v_cvt_f32_f16_e32 v17, v85
	v_mul_f32_e32 v15, v1, v13
	v_lshlrev_b64_e32 v[5:6], 2, v[5:6]
	v_cvt_f32_f16_e32 v8, v8
	v_cvt_f32_f16_e32 v9, v9
	v_mul_f32_e32 v13, v1, v17
	s_delay_alu instid0(VALU_DEP_3)
	v_mul_f32_e32 v16, v1, v8
	v_add_co_u32 v5, vcc_lo, s20, v5
	s_wait_alu 0xfffd
	v_add_co_ci_u32_e64 v6, null, s21, v6, vcc_lo
	v_mul_f32_e32 v14, v1, v9
	global_store_b128 v[5:6], v[13:16], off
	s_wait_alu 0xfffe
	s_or_b32 exec_lo, exec_lo, s3
	s_and_saveexec_b32 s3, s1
	s_cbranch_execnz .LBB21_47
	s_branch .LBB21_48
.LBB21_55:
	v_div_scale_f32 v0, null, v7, v7, 1.0
	s_delay_alu instid0(VALU_DEP_1) | instskip(NEXT) | instid1(TRANS32_DEP_1)
	v_rcp_f32_e32 v1, v0
	v_fma_f32 v2, -v0, v1, 1.0
	s_delay_alu instid0(VALU_DEP_1) | instskip(SKIP_1) | instid1(VALU_DEP_1)
	v_fmac_f32_e32 v1, v2, v1
	v_div_scale_f32 v2, vcc_lo, 1.0, v7, 1.0
	v_mul_f32_e32 v5, v2, v1
	s_delay_alu instid0(VALU_DEP_1) | instskip(NEXT) | instid1(VALU_DEP_1)
	v_fma_f32 v6, -v0, v5, v2
	v_fmac_f32_e32 v5, v6, v1
	s_delay_alu instid0(VALU_DEP_1) | instskip(SKIP_1) | instid1(VALU_DEP_1)
	v_fma_f32 v0, -v0, v5, v2
	s_wait_alu 0xfffd
	v_div_fmas_f32 v0, v0, v1, v5
	s_delay_alu instid0(VALU_DEP_1)
	v_div_fixup_f32 v1, v0, v7, 1.0
	v_add3_u32 v0, s15, s0, v4
	s_and_saveexec_b32 s0, s2
	s_cbranch_execz .LBB21_50
.LBB21_56:
	s_delay_alu instid0(VALU_DEP_1)
	v_mad_co_u64_u32 v[4:5], null, 0x60, v0, v[68:69]
	v_lshrrev_b32_e32 v6, 16, v83
	v_cvt_f32_f16_e32 v10, v81
	v_mov_b32_e32 v5, 0
	v_lshrrev_b32_e32 v2, 16, v81
	v_cvt_f32_f16_e32 v12, v83
	v_cvt_f32_f16_e32 v13, v6
	v_mul_f32_e32 v6, v1, v10
	v_lshlrev_b64_e32 v[4:5], 2, v[4:5]
	v_cvt_f32_f16_e32 v2, v2
	s_delay_alu instid0(VALU_DEP_1) | instskip(NEXT) | instid1(VALU_DEP_3)
	v_mul_f32_e32 v7, v1, v2
	v_add_co_u32 v8, vcc_lo, s20, v4
	s_wait_alu 0xfffd
	s_delay_alu instid0(VALU_DEP_4)
	v_add_co_ci_u32_e64 v9, null, s21, v5, vcc_lo
	v_mul_f32_e32 v5, v1, v13
	v_mul_f32_e32 v4, v1, v12
	global_store_b128 v[8:9], v[4:7], off
	s_wait_alu 0xfffe
	s_or_b32 exec_lo, exec_lo, s0
	s_delay_alu instid0(SALU_CYCLE_1)
	s_and_b32 exec_lo, exec_lo, s1
	s_cbranch_execz .LBB21_32
.LBB21_57:
	v_ashrrev_i32_e32 v1, 31, v0
	v_mov_b32_e32 v10, v3
	s_delay_alu instid0(VALU_DEP_2) | instskip(NEXT) | instid1(VALU_DEP_1)
	v_lshlrev_b64_e32 v[0:1], 3, v[0:1]
	v_add_co_u32 v0, vcc_lo, s22, v0
	s_wait_alu 0xfffd
	s_delay_alu instid0(VALU_DEP_2)
	v_add_co_ci_u32_e64 v1, null, s23, v1, vcc_lo
	global_store_b64 v[0:1], v[10:11], off
	s_nop 0
	s_sendmsg sendmsg(MSG_DEALLOC_VGPRS)
	s_endpgm
	.section	.rodata,"a",@progbits
	.p2align	6, 0x0
	.amdhsa_kernel _ZL15flash_attn_tileILi96ELi96ELi8ELi4ELb0EEvPKcS1_S1_S1_S1_PKiPfP15HIP_vector_typeIfLj2EEffffjfiS5_IjLj3EEiiiiiiiiiiiliiliiiiil
		.amdhsa_group_segment_fixed_size 11904
		.amdhsa_private_segment_fixed_size 0
		.amdhsa_kernarg_size 464
		.amdhsa_user_sgpr_count 2
		.amdhsa_user_sgpr_dispatch_ptr 0
		.amdhsa_user_sgpr_queue_ptr 0
		.amdhsa_user_sgpr_kernarg_segment_ptr 1
		.amdhsa_user_sgpr_dispatch_id 0
		.amdhsa_user_sgpr_private_segment_size 0
		.amdhsa_wavefront_size32 1
		.amdhsa_uses_dynamic_stack 0
		.amdhsa_enable_private_segment 0
		.amdhsa_system_sgpr_workgroup_id_x 1
		.amdhsa_system_sgpr_workgroup_id_y 1
		.amdhsa_system_sgpr_workgroup_id_z 1
		.amdhsa_system_sgpr_workgroup_info 0
		.amdhsa_system_vgpr_workitem_id 1
		.amdhsa_next_free_vgpr 152
		.amdhsa_next_free_sgpr 48
		.amdhsa_reserve_vcc 1
		.amdhsa_float_round_mode_32 0
		.amdhsa_float_round_mode_16_64 0
		.amdhsa_float_denorm_mode_32 3
		.amdhsa_float_denorm_mode_16_64 3
		.amdhsa_fp16_overflow 0
		.amdhsa_workgroup_processor_mode 1
		.amdhsa_memory_ordered 1
		.amdhsa_forward_progress 1
		.amdhsa_inst_pref_size 101
		.amdhsa_round_robin_scheduling 0
		.amdhsa_exception_fp_ieee_invalid_op 0
		.amdhsa_exception_fp_denorm_src 0
		.amdhsa_exception_fp_ieee_div_zero 0
		.amdhsa_exception_fp_ieee_overflow 0
		.amdhsa_exception_fp_ieee_underflow 0
		.amdhsa_exception_fp_ieee_inexact 0
		.amdhsa_exception_int_div_zero 0
	.end_amdhsa_kernel
	.section	.text._ZL15flash_attn_tileILi96ELi96ELi8ELi4ELb0EEvPKcS1_S1_S1_S1_PKiPfP15HIP_vector_typeIfLj2EEffffjfiS5_IjLj3EEiiiiiiiiiiiliiliiiiil,"axG",@progbits,_ZL15flash_attn_tileILi96ELi96ELi8ELi4ELb0EEvPKcS1_S1_S1_S1_PKiPfP15HIP_vector_typeIfLj2EEffffjfiS5_IjLj3EEiiiiiiiiiiiliiliiiiil,comdat
.Lfunc_end21:
	.size	_ZL15flash_attn_tileILi96ELi96ELi8ELi4ELb0EEvPKcS1_S1_S1_S1_PKiPfP15HIP_vector_typeIfLj2EEffffjfiS5_IjLj3EEiiiiiiiiiiiliiliiiiil, .Lfunc_end21-_ZL15flash_attn_tileILi96ELi96ELi8ELi4ELb0EEvPKcS1_S1_S1_S1_PKiPfP15HIP_vector_typeIfLj2EEffffjfiS5_IjLj3EEiiiiiiiiiiiliiliiiiil
                                        ; -- End function
	.set _ZL15flash_attn_tileILi96ELi96ELi8ELi4ELb0EEvPKcS1_S1_S1_S1_PKiPfP15HIP_vector_typeIfLj2EEffffjfiS5_IjLj3EEiiiiiiiiiiiliiliiiiil.num_vgpr, 152
	.set _ZL15flash_attn_tileILi96ELi96ELi8ELi4ELb0EEvPKcS1_S1_S1_S1_PKiPfP15HIP_vector_typeIfLj2EEffffjfiS5_IjLj3EEiiiiiiiiiiiliiliiiiil.num_agpr, 0
	.set _ZL15flash_attn_tileILi96ELi96ELi8ELi4ELb0EEvPKcS1_S1_S1_S1_PKiPfP15HIP_vector_typeIfLj2EEffffjfiS5_IjLj3EEiiiiiiiiiiiliiliiiiil.numbered_sgpr, 48
	.set _ZL15flash_attn_tileILi96ELi96ELi8ELi4ELb0EEvPKcS1_S1_S1_S1_PKiPfP15HIP_vector_typeIfLj2EEffffjfiS5_IjLj3EEiiiiiiiiiiiliiliiiiil.num_named_barrier, 0
	.set _ZL15flash_attn_tileILi96ELi96ELi8ELi4ELb0EEvPKcS1_S1_S1_S1_PKiPfP15HIP_vector_typeIfLj2EEffffjfiS5_IjLj3EEiiiiiiiiiiiliiliiiiil.private_seg_size, 0
	.set _ZL15flash_attn_tileILi96ELi96ELi8ELi4ELb0EEvPKcS1_S1_S1_S1_PKiPfP15HIP_vector_typeIfLj2EEffffjfiS5_IjLj3EEiiiiiiiiiiiliiliiiiil.uses_vcc, 1
	.set _ZL15flash_attn_tileILi96ELi96ELi8ELi4ELb0EEvPKcS1_S1_S1_S1_PKiPfP15HIP_vector_typeIfLj2EEffffjfiS5_IjLj3EEiiiiiiiiiiiliiliiiiil.uses_flat_scratch, 0
	.set _ZL15flash_attn_tileILi96ELi96ELi8ELi4ELb0EEvPKcS1_S1_S1_S1_PKiPfP15HIP_vector_typeIfLj2EEffffjfiS5_IjLj3EEiiiiiiiiiiiliiliiiiil.has_dyn_sized_stack, 0
	.set _ZL15flash_attn_tileILi96ELi96ELi8ELi4ELb0EEvPKcS1_S1_S1_S1_PKiPfP15HIP_vector_typeIfLj2EEffffjfiS5_IjLj3EEiiiiiiiiiiiliiliiiiil.has_recursion, 0
	.set _ZL15flash_attn_tileILi96ELi96ELi8ELi4ELb0EEvPKcS1_S1_S1_S1_PKiPfP15HIP_vector_typeIfLj2EEffffjfiS5_IjLj3EEiiiiiiiiiiiliiliiiiil.has_indirect_call, 0
	.section	.AMDGPU.csdata,"",@progbits
; Kernel info:
; codeLenInByte = 12888
; TotalNumSgprs: 50
; NumVgprs: 152
; ScratchSize: 0
; MemoryBound: 0
; FloatMode: 240
; IeeeMode: 1
; LDSByteSize: 11904 bytes/workgroup (compile time only)
; SGPRBlocks: 0
; VGPRBlocks: 18
; NumSGPRsForWavesPerEU: 50
; NumVGPRsForWavesPerEU: 152
; Occupancy: 9
; WaveLimiterHint : 1
; COMPUTE_PGM_RSRC2:SCRATCH_EN: 0
; COMPUTE_PGM_RSRC2:USER_SGPR: 2
; COMPUTE_PGM_RSRC2:TRAP_HANDLER: 0
; COMPUTE_PGM_RSRC2:TGID_X_EN: 1
; COMPUTE_PGM_RSRC2:TGID_Y_EN: 1
; COMPUTE_PGM_RSRC2:TGID_Z_EN: 1
; COMPUTE_PGM_RSRC2:TIDIG_COMP_CNT: 1
	.section	.text._ZL33flash_attn_stream_k_fixup_uniformILi96ELi8ELi4EEvPfPK15HIP_vector_typeIfLj2EEiiiiiiS1_IjLj3EES5_S5_,"axG",@progbits,_ZL33flash_attn_stream_k_fixup_uniformILi96ELi8ELi4EEvPfPK15HIP_vector_typeIfLj2EEiiiiiiS1_IjLj3EES5_S5_,comdat
	.globl	_ZL33flash_attn_stream_k_fixup_uniformILi96ELi8ELi4EEvPfPK15HIP_vector_typeIfLj2EEiiiiiiS1_IjLj3EES5_S5_ ; -- Begin function _ZL33flash_attn_stream_k_fixup_uniformILi96ELi8ELi4EEvPfPK15HIP_vector_typeIfLj2EEiiiiiiS1_IjLj3EES5_S5_
	.p2align	8
	.type	_ZL33flash_attn_stream_k_fixup_uniformILi96ELi8ELi4EEvPfPK15HIP_vector_typeIfLj2EEiiiiiiS1_IjLj3EES5_S5_,@function
_ZL33flash_attn_stream_k_fixup_uniformILi96ELi8ELi4EEvPfPK15HIP_vector_typeIfLj2EEiiiiiiS1_IjLj3EES5_S5_: ; @_ZL33flash_attn_stream_k_fixup_uniformILi96ELi8ELi4EEvPfPK15HIP_vector_typeIfLj2EEiiiiiiS1_IjLj3EES5_S5_
; %bb.0:
	s_clause 0x1
	s_load_b256 s[4:11], s[0:1], 0x1c
	s_load_b128 s[12:15], s[0:1], 0x3c
	s_wait_kmcnt 0x0
	s_mul_hi_u32 s2, s7, ttmp9
	s_delay_alu instid0(SALU_CYCLE_1) | instskip(NEXT) | instid1(SALU_CYCLE_1)
	s_add_co_i32 s2, ttmp9, s2
	s_lshr_b32 s2, s2, s8
	s_delay_alu instid0(SALU_CYCLE_1) | instskip(SKIP_2) | instid1(SALU_CYCLE_1)
	s_mul_i32 s3, s2, s9
	s_load_b64 s[8:9], s[0:1], 0x10
	s_sub_co_i32 s3, ttmp9, s3
	s_mul_hi_u32 s7, s3, s10
	s_delay_alu instid0(SALU_CYCLE_1) | instskip(NEXT) | instid1(SALU_CYCLE_1)
	s_add_co_i32 s7, s3, s7
	s_lshr_b32 s7, s7, s11
	s_lshr_b32 s11, ttmp7, 16
	s_mul_i32 s10, s7, s12
	s_delay_alu instid0(SALU_CYCLE_1) | instskip(NEXT) | instid1(SALU_CYCLE_1)
	s_sub_co_i32 s3, s3, s10
	s_mul_hi_u32 s10, s3, s13
	s_delay_alu instid0(SALU_CYCLE_1) | instskip(NEXT) | instid1(SALU_CYCLE_1)
	s_add_co_i32 s10, s3, s10
	s_lshr_b32 s13, s10, s14
	s_delay_alu instid0(SALU_CYCLE_1) | instskip(SKIP_4) | instid1(SALU_CYCLE_1)
	s_mul_i32 s10, s13, s15
	s_lshl_b32 s13, s13, 2
	s_sub_co_i32 s12, s3, s10
	s_and_b32 s10, ttmp7, 0xffff
	s_lshl_b32 s3, s12, 3
	s_add_co_i32 s3, s3, s10
	s_wait_kmcnt 0x0
	s_cmp_lt_i32 s3, s8
	s_cselect_b32 s3, -1, 0
	s_add_co_i32 s13, s13, s11
	s_delay_alu instid0(SALU_CYCLE_1) | instskip(SKIP_1) | instid1(SALU_CYCLE_1)
	s_cmp_lt_i32 s13, s5
	s_cselect_b32 s14, -1, 0
	s_and_b32 s3, s3, s14
	s_delay_alu instid0(SALU_CYCLE_1)
	s_and_not1_b32 vcc_lo, exec_lo, s3
	s_cbranch_vccnz .LBB22_6
; %bb.1:
	s_mul_i32 s8, s2, s8
	s_mul_i32 s7, s7, s5
	s_add_co_i32 s8, s8, s10
	s_add_co_i32 s5, s13, s7
	s_mul_i32 s8, s8, s9
	s_load_b128 s[0:3], s[0:1], 0x0
	s_mul_i32 s7, s9, s12
	s_add_co_i32 s5, s5, s8
	s_mulk_i32 s7, 0x300
	s_mulk_i32 s5, 0x60
	s_mul_i32 s8, s6, ttmp9
	v_add3_u32 v1, s5, s7, v0
	s_lshl_b32 s5, s10, 2
	s_add_co_i32 s9, s8, s6
	s_delay_alu instid0(SALU_CYCLE_1) | instskip(NEXT) | instid1(VALU_DEP_1)
	s_add_co_i32 s7, s9, -2
	v_ashrrev_i32_e32 v2, 31, v1
	s_delay_alu instid0(VALU_DEP_1) | instskip(SKIP_1) | instid1(VALU_DEP_1)
	v_lshlrev_b64_e32 v[1:2], 2, v[1:2]
	s_wait_kmcnt 0x0
	v_add_co_u32 v1, vcc_lo, s0, v1
	s_delay_alu instid0(VALU_DEP_1)
	v_add_co_ci_u32_e64 v2, null, s1, v2, vcc_lo
	s_wait_alu 0xfffe
	s_add_co_i32 s0, s5, s11
	s_lshl_b32 s1, s9, 5
	global_load_b32 v5, v[1:2], off
	s_wait_alu 0xfffe
	s_add_co_i32 s0, s0, s1
	s_wait_alu 0xfffe
	s_sub_co_i32 s0, s0, 32
	s_wait_alu 0xfffe
	s_ashr_i32 s1, s0, 31
	s_wait_alu 0xfffe
	s_lshl_b64 s[0:1], s[0:1], 3
	s_cmp_lt_i32 s7, s8
	s_wait_alu 0xfffe
	s_add_nc_u64 s[0:1], s[2:3], s[0:1]
	s_load_b32 s12, s[0:1], 0x4
	s_cbranch_scc1 .LBB22_4
; %bb.2:
	s_load_b32 s0, s[0:1], 0x0
	s_add_co_i32 s1, ttmp9, 1
	s_mulk_i32 s10, 0x180
	s_wait_alu 0xfffe
	s_mul_i32 s1, s6, s1
	s_lshl_b32 s14, s4, 7
	s_wait_alu 0xfffe
	s_lshl_b32 s13, s1, 5
	s_mulk_i32 s1, 0xc00
	s_add_co_i32 s13, s11, s13
	s_mulk_i32 s11, 0x60
	s_lshl_b32 s4, s4, 5
	s_add_co_i32 s10, s11, s10
	s_ashr_i32 s15, s14, 31
	s_wait_alu 0xfffe
	s_add_co_i32 s10, s10, s1
	s_add_co_i32 s1, s13, s4
	v_add3_u32 v3, s10, v0, 0xffffe800
	s_wait_kmcnt 0x0
	v_mov_b32_e32 v6, s12
	s_lshl_b64 s[6:7], s[14:15], 2
	s_wait_alu 0xfffe
	s_add_co_i32 s4, s1, s5
	s_add_nc_u64 s[6:7], s[2:3], s[6:7]
	s_add_co_i32 s1, s9, -1
	s_wait_alu 0xfffe
	s_sub_co_i32 s4, s4, 64
.LBB22_3:                               ; =>This Inner Loop Header: Depth=1
	v_ashrrev_i32_e32 v4, 31, v3
	s_wait_alu 0xfffe
	s_ashr_i32 s5, s4, 31
	v_mov_b32_e32 v10, v6
	s_wait_alu 0xfffe
	s_lshl_b64 s[10:11], s[4:5], 3
	s_wait_loadcnt 0x0
	v_mov_b32_e32 v9, v5
	v_lshlrev_b64_e32 v[7:8], 2, v[3:4]
	s_wait_alu 0xfffe
	s_add_nc_u64 s[10:11], s[2:3], s[10:11]
	v_max_num_f32_e64 v4, s0, s0
	s_load_b64 s[10:11], s[10:11], 0x0
	v_add_nc_u32_e32 v3, 0xfffff400, v3
	v_add_co_u32 v7, vcc_lo, s6, v7
	s_wait_alu 0xfffd
	v_add_co_ci_u32_e64 v8, null, s7, v8, vcc_lo
	v_readfirstlane_b32 s5, v4
	global_load_b32 v0, v[7:8], off
	s_wait_kmcnt 0x0
	v_max_num_f32_e64 v4, s10, s10
	s_delay_alu instid0(VALU_DEP_1) | instskip(SKIP_2) | instid1(SALU_CYCLE_2)
	v_readfirstlane_b32 s9, v4
	s_max_num_f32 s5, s5, s9
	s_wait_alu 0xfffe
	s_sub_f32 s0, s0, s5
	s_sub_f32 s9, s10, s5
	s_wait_alu 0xfffe
	s_delay_alu instid0(SALU_CYCLE_1) | instskip(NEXT) | instid1(SALU_CYCLE_1)
	s_mul_f32 s10, s0, 0x3fb8aa3b
	s_mul_f32 s12, s9, 0x3fb8aa3b
	s_wait_alu 0xfffe
	s_delay_alu instid0(SALU_CYCLE_1)
	s_xor_b32 s13, s10, 0x80000000
	s_rndne_f32 s14, s10
	s_wait_alu 0xfffe
	s_fmamk_f32 s13, s0, 0x3fb8aa3b, s13
	s_cmp_nlt_f32 s0, 0xc2ce8ed0
	s_rndne_f32 s15, s12
	s_sub_f32 s10, s10, s14
	s_wait_alu 0xfffe
	s_fmamk_f32 s13, s0, 0x32a5705f, s13
	s_cvt_i32_f32 s14, s14
	s_cselect_b32 vcc_lo, -1, 0
	s_cmp_ngt_f32 s0, 0x42b17218
	s_wait_alu 0xfffe
	s_add_f32 s10, s10, s13
	s_sub_f32 s13, s12, s15
	s_wait_alu 0xfffe
	s_delay_alu instid0(SALU_CYCLE_1) | instskip(SKIP_1) | instid1(TRANS32_DEP_1)
	v_s_exp_f32 s10, s10
	s_wait_alu 0xf1ff
	v_ldexp_f32 v4, s10, s14
	s_cvt_i32_f32 s10, s15
	s_delay_alu instid0(VALU_DEP_1) | instskip(SKIP_3) | instid1(VALU_DEP_1)
	v_cndmask_b32_e32 v4, 0, v4, vcc_lo
	s_cselect_b32 vcc_lo, -1, 0
	s_cmp_ge_f32 s0, 0xc1a00000
	s_wait_alu 0xfffe
	v_cndmask_b32_e32 v4, 0x7f800000, v4, vcc_lo
	s_cselect_b32 vcc_lo, -1, 0
	s_xor_b32 s0, s12, 0x80000000
	s_cmp_nlt_f32 s9, 0xc2ce8ed0
	s_wait_alu 0xfffe
	s_fmamk_f32 s0, s9, 0x3fb8aa3b, s0
	s_wait_alu 0xfffe
	s_delay_alu instid0(SALU_CYCLE_2) | instskip(SKIP_1) | instid1(SALU_CYCLE_2)
	s_fmamk_f32 s0, s9, 0x32a5705f, s0
	s_wait_alu 0xfffe
	s_add_f32 s0, s13, s0
	s_wait_alu 0xfffe
	s_delay_alu instid0(SALU_CYCLE_2) | instskip(SKIP_1) | instid1(TRANS32_DEP_1)
	v_s_exp_f32 s0, s0
	s_wait_alu 0xf1ff
	v_ldexp_f32 v7, s0, s10
	s_cselect_b32 s0, -1, 0
	s_cmp_ngt_f32 s9, 0x42b17218
	s_wait_alu 0xfffe
	s_delay_alu instid0(VALU_DEP_1) | instskip(SKIP_3) | instid1(VALU_DEP_1)
	v_cndmask_b32_e64 v7, 0, v7, s0
	s_cselect_b32 s0, -1, 0
	s_cmp_ge_f32 s9, 0xc1a00000
	s_wait_alu 0xfffe
	v_cndmask_b32_e64 v7, 0x7f800000, v7, s0
	s_cselect_b32 s0, -1, 0
	s_add_co_i32 s1, s1, -1
	s_sub_co_i32 s4, s4, 32
	s_wait_alu 0xfffe
	s_cmp_le_i32 s1, s8
	v_cndmask_b32_e64 v7, 0, v7, s0
	s_mov_b32 s0, s5
	s_wait_loadcnt 0x0
	s_delay_alu instid0(VALU_DEP_1) | instskip(NEXT) | instid1(VALU_DEP_1)
	v_dual_mul_f32 v5, v0, v7 :: v_dual_cndmask_b32 v4, 0, v4
	v_dual_mul_f32 v8, s11, v7 :: v_dual_fmac_f32 v5, v9, v4
	s_delay_alu instid0(VALU_DEP_1) | instskip(NEXT) | instid1(VALU_DEP_1)
	v_mov_b32_e32 v6, v8
	v_fmac_f32_e32 v6, v10, v4
	s_cbranch_scc0 .LBB22_3
	s_branch .LBB22_5
.LBB22_4:
	s_wait_kmcnt 0x0
	v_mov_b32_e32 v6, s12
.LBB22_5:
	s_wait_loadcnt 0x0
	s_delay_alu instid0(VALU_DEP_1) | instskip(NEXT) | instid1(VALU_DEP_1)
	v_div_scale_f32 v0, null, v6, v6, v5
	v_rcp_f32_e32 v3, v0
	s_delay_alu instid0(TRANS32_DEP_1) | instskip(NEXT) | instid1(VALU_DEP_1)
	v_fma_f32 v4, -v0, v3, 1.0
	v_fmac_f32_e32 v3, v4, v3
	v_div_scale_f32 v4, vcc_lo, v5, v6, v5
	s_delay_alu instid0(VALU_DEP_1) | instskip(NEXT) | instid1(VALU_DEP_1)
	v_mul_f32_e32 v7, v4, v3
	v_fma_f32 v8, -v0, v7, v4
	s_delay_alu instid0(VALU_DEP_1) | instskip(NEXT) | instid1(VALU_DEP_1)
	v_fmac_f32_e32 v7, v8, v3
	v_fma_f32 v0, -v0, v7, v4
	s_wait_alu 0xfffd
	s_delay_alu instid0(VALU_DEP_1) | instskip(NEXT) | instid1(VALU_DEP_1)
	v_div_fmas_f32 v0, v0, v3, v7
	v_div_fixup_f32 v0, v0, v6, v5
	global_store_b32 v[1:2], v0, off
.LBB22_6:
	s_endpgm
	.section	.rodata,"a",@progbits
	.p2align	6, 0x0
	.amdhsa_kernel _ZL33flash_attn_stream_k_fixup_uniformILi96ELi8ELi4EEvPfPK15HIP_vector_typeIfLj2EEiiiiiiS1_IjLj3EES5_S5_
		.amdhsa_group_segment_fixed_size 0
		.amdhsa_private_segment_fixed_size 0
		.amdhsa_kernarg_size 76
		.amdhsa_user_sgpr_count 2
		.amdhsa_user_sgpr_dispatch_ptr 0
		.amdhsa_user_sgpr_queue_ptr 0
		.amdhsa_user_sgpr_kernarg_segment_ptr 1
		.amdhsa_user_sgpr_dispatch_id 0
		.amdhsa_user_sgpr_private_segment_size 0
		.amdhsa_wavefront_size32 1
		.amdhsa_uses_dynamic_stack 0
		.amdhsa_enable_private_segment 0
		.amdhsa_system_sgpr_workgroup_id_x 1
		.amdhsa_system_sgpr_workgroup_id_y 1
		.amdhsa_system_sgpr_workgroup_id_z 1
		.amdhsa_system_sgpr_workgroup_info 0
		.amdhsa_system_vgpr_workitem_id 0
		.amdhsa_next_free_vgpr 11
		.amdhsa_next_free_sgpr 16
		.amdhsa_reserve_vcc 1
		.amdhsa_float_round_mode_32 0
		.amdhsa_float_round_mode_16_64 0
		.amdhsa_float_denorm_mode_32 3
		.amdhsa_float_denorm_mode_16_64 3
		.amdhsa_fp16_overflow 0
		.amdhsa_workgroup_processor_mode 1
		.amdhsa_memory_ordered 1
		.amdhsa_forward_progress 1
		.amdhsa_inst_pref_size 9
		.amdhsa_round_robin_scheduling 0
		.amdhsa_exception_fp_ieee_invalid_op 0
		.amdhsa_exception_fp_denorm_src 0
		.amdhsa_exception_fp_ieee_div_zero 0
		.amdhsa_exception_fp_ieee_overflow 0
		.amdhsa_exception_fp_ieee_underflow 0
		.amdhsa_exception_fp_ieee_inexact 0
		.amdhsa_exception_int_div_zero 0
	.end_amdhsa_kernel
	.section	.text._ZL33flash_attn_stream_k_fixup_uniformILi96ELi8ELi4EEvPfPK15HIP_vector_typeIfLj2EEiiiiiiS1_IjLj3EES5_S5_,"axG",@progbits,_ZL33flash_attn_stream_k_fixup_uniformILi96ELi8ELi4EEvPfPK15HIP_vector_typeIfLj2EEiiiiiiS1_IjLj3EES5_S5_,comdat
.Lfunc_end22:
	.size	_ZL33flash_attn_stream_k_fixup_uniformILi96ELi8ELi4EEvPfPK15HIP_vector_typeIfLj2EEiiiiiiS1_IjLj3EES5_S5_, .Lfunc_end22-_ZL33flash_attn_stream_k_fixup_uniformILi96ELi8ELi4EEvPfPK15HIP_vector_typeIfLj2EEiiiiiiS1_IjLj3EES5_S5_
                                        ; -- End function
	.set _ZL33flash_attn_stream_k_fixup_uniformILi96ELi8ELi4EEvPfPK15HIP_vector_typeIfLj2EEiiiiiiS1_IjLj3EES5_S5_.num_vgpr, 11
	.set _ZL33flash_attn_stream_k_fixup_uniformILi96ELi8ELi4EEvPfPK15HIP_vector_typeIfLj2EEiiiiiiS1_IjLj3EES5_S5_.num_agpr, 0
	.set _ZL33flash_attn_stream_k_fixup_uniformILi96ELi8ELi4EEvPfPK15HIP_vector_typeIfLj2EEiiiiiiS1_IjLj3EES5_S5_.numbered_sgpr, 16
	.set _ZL33flash_attn_stream_k_fixup_uniformILi96ELi8ELi4EEvPfPK15HIP_vector_typeIfLj2EEiiiiiiS1_IjLj3EES5_S5_.num_named_barrier, 0
	.set _ZL33flash_attn_stream_k_fixup_uniformILi96ELi8ELi4EEvPfPK15HIP_vector_typeIfLj2EEiiiiiiS1_IjLj3EES5_S5_.private_seg_size, 0
	.set _ZL33flash_attn_stream_k_fixup_uniformILi96ELi8ELi4EEvPfPK15HIP_vector_typeIfLj2EEiiiiiiS1_IjLj3EES5_S5_.uses_vcc, 1
	.set _ZL33flash_attn_stream_k_fixup_uniformILi96ELi8ELi4EEvPfPK15HIP_vector_typeIfLj2EEiiiiiiS1_IjLj3EES5_S5_.uses_flat_scratch, 0
	.set _ZL33flash_attn_stream_k_fixup_uniformILi96ELi8ELi4EEvPfPK15HIP_vector_typeIfLj2EEiiiiiiS1_IjLj3EES5_S5_.has_dyn_sized_stack, 0
	.set _ZL33flash_attn_stream_k_fixup_uniformILi96ELi8ELi4EEvPfPK15HIP_vector_typeIfLj2EEiiiiiiS1_IjLj3EES5_S5_.has_recursion, 0
	.set _ZL33flash_attn_stream_k_fixup_uniformILi96ELi8ELi4EEvPfPK15HIP_vector_typeIfLj2EEiiiiiiS1_IjLj3EES5_S5_.has_indirect_call, 0
	.section	.AMDGPU.csdata,"",@progbits
; Kernel info:
; codeLenInByte = 1148
; TotalNumSgprs: 18
; NumVgprs: 11
; ScratchSize: 0
; MemoryBound: 0
; FloatMode: 240
; IeeeMode: 1
; LDSByteSize: 0 bytes/workgroup (compile time only)
; SGPRBlocks: 0
; VGPRBlocks: 1
; NumSGPRsForWavesPerEU: 18
; NumVGPRsForWavesPerEU: 11
; Occupancy: 16
; WaveLimiterHint : 0
; COMPUTE_PGM_RSRC2:SCRATCH_EN: 0
; COMPUTE_PGM_RSRC2:USER_SGPR: 2
; COMPUTE_PGM_RSRC2:TRAP_HANDLER: 0
; COMPUTE_PGM_RSRC2:TGID_X_EN: 1
; COMPUTE_PGM_RSRC2:TGID_Y_EN: 1
; COMPUTE_PGM_RSRC2:TGID_Z_EN: 1
; COMPUTE_PGM_RSRC2:TIDIG_COMP_CNT: 0
	.section	.text._ZL33flash_attn_stream_k_fixup_generalILi96ELi8ELi4EEvPfPK15HIP_vector_typeIfLj2EEiiiiS1_IjLj3EES5_S5_S5_,"axG",@progbits,_ZL33flash_attn_stream_k_fixup_generalILi96ELi8ELi4EEvPfPK15HIP_vector_typeIfLj2EEiiiiS1_IjLj3EES5_S5_S5_,comdat
	.globl	_ZL33flash_attn_stream_k_fixup_generalILi96ELi8ELi4EEvPfPK15HIP_vector_typeIfLj2EEiiiiS1_IjLj3EES5_S5_S5_ ; -- Begin function _ZL33flash_attn_stream_k_fixup_generalILi96ELi8ELi4EEvPfPK15HIP_vector_typeIfLj2EEiiiiS1_IjLj3EES5_S5_S5_
	.p2align	8
	.type	_ZL33flash_attn_stream_k_fixup_generalILi96ELi8ELi4EEvPfPK15HIP_vector_typeIfLj2EEiiiiS1_IjLj3EES5_S5_S5_,@function
_ZL33flash_attn_stream_k_fixup_generalILi96ELi8ELi4EEvPfPK15HIP_vector_typeIfLj2EEiiiiS1_IjLj3EES5_S5_S5_: ; @_ZL33flash_attn_stream_k_fixup_generalILi96ELi8ELi4EEvPfPK15HIP_vector_typeIfLj2EEiiiiS1_IjLj3EES5_S5_S5_
; %bb.0:
	s_clause 0x1
	s_load_b128 s[4:7], s[0:1], 0x10
	s_load_b32 s16, s[0:1], 0x50
	s_mov_b32 s2, ttmp9
	s_ashr_i32 s3, ttmp9, 31
	s_mov_b32 s17, 0
	s_delay_alu instid0(SALU_CYCLE_1) | instskip(SKIP_3) | instid1(SALU_CYCLE_1)
	s_mov_b32 s8, s17
	s_wait_kmcnt 0x0
	s_ashr_i32 s19, s7, 31
	s_mov_b32 s18, s7
	s_mul_u64 s[2:3], s[18:19], s[2:3]
	s_delay_alu instid0(SALU_CYCLE_1) | instskip(NEXT) | instid1(SALU_CYCLE_1)
	s_mov_b32 s9, s3
	s_cmp_lg_u64 s[8:9], 0
	s_cbranch_scc0 .LBB23_21
; %bb.1:
	s_add_nc_u64 s[8:9], s[16:17], 0
	s_mov_b32 s15, s17
	s_xor_b64 s[8:9], s[8:9], 0
	s_mov_b32 s23, s17
	s_cvt_f32_u32 s7, s8
	s_cvt_f32_u32 s10, s9
	s_sub_nc_u64 s[12:13], 0, s[8:9]
	s_delay_alu instid0(SALU_CYCLE_2) | instskip(NEXT) | instid1(SALU_CYCLE_3)
	s_fmamk_f32 s7, s10, 0x4f800000, s7
	v_s_rcp_f32 s7, s7
	s_delay_alu instid0(TRANS32_DEP_1) | instskip(SKIP_1) | instid1(SALU_CYCLE_2)
	s_mul_f32 s7, s7, 0x5f7ffffc
	s_wait_alu 0xfffe
	s_mul_f32 s10, s7, 0x2f800000
	s_delay_alu instid0(SALU_CYCLE_3) | instskip(NEXT) | instid1(SALU_CYCLE_3)
	s_trunc_f32 s10, s10
	s_fmamk_f32 s7, s10, 0xcf800000, s7
	s_cvt_u32_f32 s11, s10
	s_wait_alu 0xfffe
	s_delay_alu instid0(SALU_CYCLE_1) | instskip(NEXT) | instid1(SALU_CYCLE_3)
	s_cvt_u32_f32 s10, s7
	s_mul_u64 s[20:21], s[12:13], s[10:11]
	s_delay_alu instid0(SALU_CYCLE_1)
	s_mul_hi_u32 s25, s10, s21
	s_mul_i32 s24, s10, s21
	s_mul_hi_u32 s14, s10, s20
	s_mul_i32 s22, s11, s20
	s_add_nc_u64 s[14:15], s[14:15], s[24:25]
	s_mul_hi_u32 s7, s11, s20
	s_mul_hi_u32 s26, s11, s21
	s_add_co_u32 s14, s14, s22
	s_wait_alu 0xfffe
	s_add_co_ci_u32 s22, s15, s7
	s_mul_i32 s20, s11, s21
	s_add_co_ci_u32 s21, s26, 0
	s_delay_alu instid0(SALU_CYCLE_1)
	s_add_nc_u64 s[14:15], s[22:23], s[20:21]
	s_mov_b32 s21, s17
	s_add_co_u32 s10, s10, s14
	s_cselect_b32 s7, -1, 0
	s_wait_alu 0xfffe
	s_cmp_lg_u32 s7, 0
	s_add_co_ci_u32 s11, s11, s15
	s_mov_b32 s15, s17
	s_mul_u64 s[12:13], s[12:13], s[10:11]
	s_delay_alu instid0(SALU_CYCLE_1)
	s_mul_hi_u32 s23, s10, s13
	s_mul_i32 s22, s10, s13
	s_mul_hi_u32 s14, s10, s12
	s_mul_i32 s20, s11, s12
	s_add_nc_u64 s[14:15], s[14:15], s[22:23]
	s_mul_hi_u32 s7, s11, s12
	s_mul_hi_u32 s24, s11, s13
	s_mul_i32 s12, s11, s13
	s_add_co_u32 s13, s14, s20
	s_wait_alu 0xfffe
	s_add_co_ci_u32 s20, s15, s7
	s_add_co_ci_u32 s13, s24, 0
	s_mov_b32 s15, s17
	s_add_nc_u64 s[12:13], s[20:21], s[12:13]
	s_delay_alu instid0(SALU_CYCLE_1) | instskip(SKIP_1) | instid1(SALU_CYCLE_1)
	s_add_co_u32 s7, s10, s12
	s_cselect_b32 s10, -1, 0
	s_cmp_lg_u32 s10, 0
	s_add_co_ci_u32 s20, s11, s13
	s_ashr_i32 s10, s3, 31
	s_delay_alu instid0(SALU_CYCLE_1) | instskip(NEXT) | instid1(SALU_CYCLE_1)
	s_mov_b32 s11, s10
	s_add_nc_u64 s[12:13], s[2:3], s[10:11]
	s_delay_alu instid0(SALU_CYCLE_1) | instskip(NEXT) | instid1(SALU_CYCLE_1)
	s_xor_b64 s[12:13], s[12:13], s[10:11]
	s_mul_hi_u32 s23, s12, s20
	s_mul_i32 s22, s12, s20
	s_wait_alu 0xfffe
	s_mul_hi_u32 s14, s12, s7
	s_mul_hi_u32 s24, s13, s7
	s_mul_i32 s7, s13, s7
	s_add_nc_u64 s[14:15], s[14:15], s[22:23]
	s_mul_hi_u32 s3, s13, s20
	s_wait_alu 0xfffe
	s_add_co_u32 s7, s14, s7
	s_mul_i32 s22, s13, s20
	s_add_co_ci_u32 s20, s15, s24
	s_add_co_ci_u32 s23, s3, 0
	s_delay_alu instid0(SALU_CYCLE_1) | instskip(NEXT) | instid1(SALU_CYCLE_1)
	s_add_nc_u64 s[14:15], s[20:21], s[22:23]
	s_mul_u64 s[20:21], s[8:9], s[14:15]
	s_delay_alu instid0(SALU_CYCLE_1)
	s_sub_co_u32 s3, s12, s20
	s_cselect_b32 s7, -1, 0
	s_sub_co_i32 s12, s13, s21
	s_wait_alu 0xfffe
	s_cmp_lg_u32 s7, 0
	s_sub_co_ci_u32 s12, s12, s9
	s_sub_co_u32 s20, s3, s8
	s_cselect_b32 s22, -1, 0
	s_delay_alu instid0(SALU_CYCLE_1) | instskip(SKIP_2) | instid1(SALU_CYCLE_1)
	s_cmp_lg_u32 s22, 0
	s_add_nc_u64 s[22:23], s[14:15], 1
	s_sub_co_ci_u32 s12, s12, 0
	s_cmp_ge_u32 s12, s9
	s_cselect_b32 s24, -1, 0
	s_cmp_ge_u32 s20, s8
	s_cselect_b32 s20, -1, 0
	s_cmp_eq_u32 s12, s9
	s_cselect_b32 s12, s20, s24
	s_add_nc_u64 s[24:25], s[14:15], 2
	s_cmp_lg_u32 s12, 0
	s_cselect_b32 s12, s24, s22
	s_cselect_b32 s20, s25, s23
	s_cmp_lg_u32 s7, 0
	s_sub_co_ci_u32 s7, s13, s21
	s_wait_alu 0xfffe
	s_cmp_ge_u32 s7, s9
	s_cselect_b32 s13, -1, 0
	s_cmp_ge_u32 s3, s8
	s_cselect_b32 s3, -1, 0
	s_cmp_eq_u32 s7, s9
	s_cselect_b32 s3, s3, s13
	s_delay_alu instid0(SALU_CYCLE_1) | instskip(SKIP_4) | instid1(SALU_CYCLE_1)
	s_cmp_lg_u32 s3, 0
	s_mov_b32 s3, s17
	s_cselect_b32 s9, s20, s15
	s_cselect_b32 s8, s12, s14
	s_xor_b64 s[10:11], s[10:11], 0
	s_xor_b64 s[8:9], s[8:9], s[10:11]
	s_delay_alu instid0(SALU_CYCLE_1)
	s_sub_nc_u64 s[20:21], s[8:9], s[10:11]
	s_and_not1_b32 vcc_lo, exec_lo, s3
	s_cbranch_vccnz .LBB23_3
.LBB23_2:
	v_cvt_f32_u32_e32 v1, s16
	s_sub_co_i32 s7, 0, s16
	s_delay_alu instid0(VALU_DEP_1) | instskip(NEXT) | instid1(TRANS32_DEP_1)
	v_rcp_iflag_f32_e32 v1, v1
	v_mul_f32_e32 v1, 0x4f7ffffe, v1
	s_delay_alu instid0(VALU_DEP_1) | instskip(NEXT) | instid1(VALU_DEP_1)
	v_cvt_u32_f32_e32 v1, v1
	v_readfirstlane_b32 s3, v1
	s_wait_alu 0xfffe
	s_mul_i32 s7, s7, s3
	s_wait_alu 0xfffe
	s_mul_hi_u32 s7, s3, s7
	s_wait_alu 0xfffe
	s_add_co_i32 s3, s3, s7
	s_delay_alu instid0(SALU_CYCLE_1) | instskip(NEXT) | instid1(SALU_CYCLE_1)
	s_mul_hi_u32 s3, s2, s3
	s_mul_i32 s7, s3, s16
	s_wait_alu 0xfffe
	s_sub_co_i32 s2, s2, s7
	s_add_co_i32 s7, s3, 1
	s_sub_co_i32 s8, s2, s16
	s_cmp_ge_u32 s2, s16
	s_wait_alu 0xfffe
	s_cselect_b32 s3, s7, s3
	s_cselect_b32 s2, s8, s2
	s_add_co_i32 s7, s3, 1
	s_cmp_ge_u32 s2, s16
	s_wait_alu 0xfffe
	s_cselect_b32 s20, s7, s3
.LBB23_3:
	s_add_co_i32 s2, ttmp9, 1
	s_mov_b32 s8, 0
	s_ashr_i32 s3, s2, 31
	s_delay_alu instid0(SALU_CYCLE_1) | instskip(NEXT) | instid1(SALU_CYCLE_1)
	s_mul_u64 s[2:3], s[18:19], s[2:3]
	s_mov_b32 s9, s3
	s_delay_alu instid0(SALU_CYCLE_1)
	s_cmp_lg_u64 s[8:9], 0
	s_cbranch_scc0 .LBB23_22
; %bb.4:
	s_add_nc_u64 s[10:11], s[16:17], 0
	s_mov_b32 s23, s8
	s_xor_b64 s[10:11], s[10:11], 0
	s_mov_b32 s27, s8
	s_cvt_f32_u32 s7, s10
	s_cvt_f32_u32 s9, s11
	s_sub_nc_u64 s[14:15], 0, s[10:11]
	s_wait_alu 0xfffe
	s_delay_alu instid0(SALU_CYCLE_1) | instskip(SKIP_1) | instid1(SALU_CYCLE_2)
	s_fmamk_f32 s7, s9, 0x4f800000, s7
	s_wait_alu 0xfffe
	v_s_rcp_f32 s7, s7
	s_delay_alu instid0(TRANS32_DEP_1) | instskip(SKIP_1) | instid1(SALU_CYCLE_2)
	s_mul_f32 s7, s7, 0x5f7ffffc
	s_wait_alu 0xfffe
	s_mul_f32 s9, s7, 0x2f800000
	s_delay_alu instid0(SALU_CYCLE_3) | instskip(NEXT) | instid1(SALU_CYCLE_3)
	s_trunc_f32 s9, s9
	s_fmamk_f32 s7, s9, 0xcf800000, s7
	s_cvt_u32_f32 s13, s9
	s_wait_alu 0xfffe
	s_delay_alu instid0(SALU_CYCLE_1) | instskip(NEXT) | instid1(SALU_CYCLE_3)
	s_cvt_u32_f32 s12, s7
	s_mul_u64 s[24:25], s[14:15], s[12:13]
	s_delay_alu instid0(SALU_CYCLE_1)
	s_mul_hi_u32 s29, s12, s25
	s_mul_i32 s28, s12, s25
	s_mul_hi_u32 s22, s12, s24
	s_mul_i32 s9, s13, s24
	s_add_nc_u64 s[22:23], s[22:23], s[28:29]
	s_mul_hi_u32 s7, s13, s24
	s_mul_hi_u32 s21, s13, s25
	s_add_co_u32 s9, s22, s9
	s_wait_alu 0xfffe
	s_add_co_ci_u32 s26, s23, s7
	s_mul_i32 s24, s13, s25
	s_add_co_ci_u32 s25, s21, 0
	s_delay_alu instid0(SALU_CYCLE_1)
	s_add_nc_u64 s[22:23], s[26:27], s[24:25]
	s_mov_b32 s25, s8
	s_add_co_u32 s12, s12, s22
	s_cselect_b32 s7, -1, 0
	s_wait_alu 0xfffe
	s_cmp_lg_u32 s7, 0
	s_add_co_ci_u32 s13, s13, s23
	s_mov_b32 s23, s8
	s_mul_u64 s[14:15], s[14:15], s[12:13]
	s_delay_alu instid0(SALU_CYCLE_1)
	s_mul_hi_u32 s27, s12, s15
	s_mul_i32 s26, s12, s15
	s_mul_hi_u32 s22, s12, s14
	s_mul_i32 s9, s13, s14
	s_add_nc_u64 s[22:23], s[22:23], s[26:27]
	s_mul_hi_u32 s7, s13, s14
	s_mul_hi_u32 s21, s13, s15
	s_add_co_u32 s9, s22, s9
	s_wait_alu 0xfffe
	s_add_co_ci_u32 s24, s23, s7
	s_mul_i32 s14, s13, s15
	s_add_co_ci_u32 s15, s21, 0
	s_mov_b32 s23, s8
	s_add_nc_u64 s[14:15], s[24:25], s[14:15]
	s_delay_alu instid0(SALU_CYCLE_1) | instskip(SKIP_1) | instid1(SALU_CYCLE_1)
	s_add_co_u32 s7, s12, s14
	s_cselect_b32 s9, -1, 0
	s_cmp_lg_u32 s9, 0
	s_add_co_ci_u32 s9, s13, s15
	s_ashr_i32 s12, s3, 31
	s_delay_alu instid0(SALU_CYCLE_1) | instskip(NEXT) | instid1(SALU_CYCLE_1)
	s_mov_b32 s13, s12
	s_add_nc_u64 s[14:15], s[2:3], s[12:13]
	s_delay_alu instid0(SALU_CYCLE_1) | instskip(NEXT) | instid1(SALU_CYCLE_1)
	s_xor_b64 s[14:15], s[14:15], s[12:13]
	s_mul_hi_u32 s27, s14, s9
	s_mul_i32 s26, s14, s9
	s_wait_alu 0xfffe
	s_mul_hi_u32 s22, s14, s7
	s_mul_hi_u32 s21, s15, s7
	s_mul_i32 s7, s15, s7
	s_add_nc_u64 s[22:23], s[22:23], s[26:27]
	s_mul_hi_u32 s3, s15, s9
	s_wait_alu 0xfffe
	s_add_co_u32 s7, s22, s7
	s_add_co_ci_u32 s24, s23, s21
	s_mul_i32 s26, s15, s9
	s_add_co_ci_u32 s27, s3, 0
	s_delay_alu instid0(SALU_CYCLE_1) | instskip(NEXT) | instid1(SALU_CYCLE_1)
	s_add_nc_u64 s[22:23], s[24:25], s[26:27]
	s_mul_u64 s[24:25], s[10:11], s[22:23]
	s_add_nc_u64 s[26:27], s[22:23], 1
	s_sub_co_u32 s3, s14, s24
	s_cselect_b32 s7, -1, 0
	s_sub_co_i32 s9, s15, s25
	s_wait_alu 0xfffe
	s_cmp_lg_u32 s7, 0
	s_add_nc_u64 s[28:29], s[22:23], 2
	s_sub_co_ci_u32 s9, s9, s11
	s_sub_co_u32 s14, s3, s10
	s_cselect_b32 s21, -1, 0
	s_delay_alu instid0(SALU_CYCLE_1) | instskip(SKIP_1) | instid1(SALU_CYCLE_1)
	s_cmp_lg_u32 s21, 0
	s_sub_co_ci_u32 s9, s9, 0
	s_cmp_ge_u32 s9, s11
	s_cselect_b32 s21, -1, 0
	s_cmp_ge_u32 s14, s10
	s_cselect_b32 s14, -1, 0
	s_cmp_eq_u32 s9, s11
	s_cselect_b32 s9, s14, s21
	s_delay_alu instid0(SALU_CYCLE_1)
	s_cmp_lg_u32 s9, 0
	s_cselect_b32 s9, s28, s26
	s_cselect_b32 s14, s29, s27
	s_cmp_lg_u32 s7, 0
	s_sub_co_ci_u32 s7, s15, s25
	s_wait_alu 0xfffe
	s_cmp_ge_u32 s7, s11
	s_cselect_b32 s15, -1, 0
	s_cmp_ge_u32 s3, s10
	s_cselect_b32 s3, -1, 0
	s_cmp_eq_u32 s7, s11
	s_cselect_b32 s3, s3, s15
	s_delay_alu instid0(SALU_CYCLE_1) | instskip(SKIP_3) | instid1(SALU_CYCLE_1)
	s_cmp_lg_u32 s3, 0
	s_cselect_b32 s11, s14, s23
	s_cselect_b32 s10, s9, s22
	s_xor_b64 s[12:13], s[12:13], 0
	s_xor_b64 s[10:11], s[10:11], s[12:13]
	s_delay_alu instid0(SALU_CYCLE_1)
	s_sub_nc_u64 s[10:11], s[10:11], s[12:13]
	s_load_b96 s[12:14], s[0:1], 0x44
	s_and_not1_b32 vcc_lo, exec_lo, s8
	s_cbranch_vccnz .LBB23_6
.LBB23_5:
	v_cvt_f32_u32_e32 v1, s16
	s_sub_co_i32 s7, 0, s16
	s_delay_alu instid0(VALU_DEP_1) | instskip(NEXT) | instid1(TRANS32_DEP_1)
	v_rcp_iflag_f32_e32 v1, v1
	v_mul_f32_e32 v1, 0x4f7ffffe, v1
	s_delay_alu instid0(VALU_DEP_1) | instskip(NEXT) | instid1(VALU_DEP_1)
	v_cvt_u32_f32_e32 v1, v1
	v_readfirstlane_b32 s3, v1
	s_wait_alu 0xfffe
	s_mul_i32 s7, s7, s3
	s_wait_alu 0xfffe
	s_mul_hi_u32 s7, s3, s7
	s_wait_alu 0xfffe
	s_add_co_i32 s3, s3, s7
	s_delay_alu instid0(SALU_CYCLE_1) | instskip(NEXT) | instid1(SALU_CYCLE_1)
	s_mul_hi_u32 s3, s2, s3
	s_mul_i32 s7, s3, s16
	s_wait_alu 0xfffe
	s_sub_co_i32 s2, s2, s7
	s_add_co_i32 s7, s3, 1
	s_sub_co_i32 s8, s2, s16
	s_cmp_ge_u32 s2, s16
	s_wait_alu 0xfffe
	s_cselect_b32 s3, s7, s3
	s_cselect_b32 s2, s8, s2
	s_add_co_i32 s7, s3, 1
	s_cmp_ge_u32 s2, s16
	s_wait_alu 0xfffe
	s_cselect_b32 s10, s7, s3
.LBB23_6:
	s_mov_b32 s21, 0
	s_wait_kmcnt 0x0
	s_mov_b32 s22, s12
	s_mov_b32 s23, s21
	s_cmp_eq_u32 s20, s10
	s_mul_u64 s[2:3], s[20:21], s[22:23]
	s_cselect_b32 s7, -1, 0
	s_add_co_i32 s2, s3, s20
	s_mov_b32 s11, s21
	s_lshr_b32 s12, s2, s13
	s_mul_u64 s[2:3], s[10:11], s[22:23]
	s_mul_i32 s2, s12, s14
	s_delay_alu instid0(SALU_CYCLE_1) | instskip(SKIP_2) | instid1(SALU_CYCLE_1)
	s_cmp_eq_u32 s2, s20
	s_cselect_b32 s2, -1, 0
	s_add_co_i32 s3, s3, s10
	s_lshr_b32 s3, s3, s13
	s_delay_alu instid0(SALU_CYCLE_1)
	s_cmp_eq_u32 s12, s3
	s_mul_i32 s3, s3, s14
	s_cselect_b32 s8, -1, 0
	s_cmp_lg_u32 s3, s10
	s_cselect_b32 s3, -1, 0
	s_wait_alu 0xfffe
	s_or_b32 s2, s7, s2
	s_and_b32 s3, s8, s3
	s_delay_alu instid0(SALU_CYCLE_1) | instskip(NEXT) | instid1(SALU_CYCLE_1)
	s_or_b32 s2, s2, s3
	s_and_b32 vcc_lo, exec_lo, s2
	s_cbranch_vccnz .LBB23_24
; %bb.7:
	s_load_b256 s[24:31], s[0:1], 0x20
	s_mov_b32 s3, s21
	s_wait_kmcnt 0x0
	s_mov_b32 s2, s24
	s_delay_alu instid0(SALU_CYCLE_1) | instskip(NEXT) | instid1(SALU_CYCLE_1)
	s_mul_u64 s[2:3], s[20:21], s[2:3]
	s_add_co_i32 s2, s3, s20
	s_delay_alu instid0(SALU_CYCLE_1) | instskip(SKIP_2) | instid1(SALU_CYCLE_1)
	s_lshr_b32 s7, s2, s25
	s_load_b32 s2, s[0:1], 0x40
	s_mul_i32 s3, s7, s26
	s_sub_co_i32 s3, s20, s3
	s_delay_alu instid0(SALU_CYCLE_1) | instskip(NEXT) | instid1(SALU_CYCLE_1)
	s_mul_hi_u32 s8, s3, s27
	s_add_co_i32 s8, s3, s8
	s_delay_alu instid0(SALU_CYCLE_1) | instskip(NEXT) | instid1(SALU_CYCLE_1)
	s_lshr_b32 s15, s8, s28
	s_mul_i32 s8, s15, s29
	s_delay_alu instid0(SALU_CYCLE_1) | instskip(NEXT) | instid1(SALU_CYCLE_1)
	s_sub_co_i32 s8, s3, s8
	s_mul_hi_u32 s3, s8, s30
	s_delay_alu instid0(SALU_CYCLE_1) | instskip(NEXT) | instid1(SALU_CYCLE_1)
	s_add_co_i32 s3, s8, s3
	s_lshr_b32 s10, s3, s31
	s_mov_b32 s3, s21
	s_wait_kmcnt 0x0
	s_mul_i32 s2, s10, s2
	s_lshl_b32 s24, s10, 2
	s_sub_co_i32 s2, s8, s2
	s_delay_alu instid0(SALU_CYCLE_1) | instskip(SKIP_2) | instid1(SALU_CYCLE_1)
	s_mul_u64 s[8:9], s[2:3], s[22:23]
	s_lshr_b32 s3, ttmp7, 16
	s_add_co_i32 s2, s2, s9
	s_lshr_b32 s21, s2, s13
	s_and_b32 s2, ttmp7, 0xffff
	s_lshl_b32 s8, s21, 3
	s_delay_alu instid0(SALU_CYCLE_1) | instskip(NEXT) | instid1(SALU_CYCLE_1)
	s_add_co_i32 s8, s8, s2
	s_cmp_lt_i32 s8, s4
	s_cselect_b32 s8, -1, 0
	s_add_co_i32 s24, s24, s3
	s_delay_alu instid0(SALU_CYCLE_1) | instskip(SKIP_1) | instid1(SALU_CYCLE_1)
	s_cmp_lt_i32 s24, s6
	s_cselect_b32 s9, -1, 0
	s_and_b32 s8, s8, s9
	s_delay_alu instid0(SALU_CYCLE_1)
	s_and_not1_b32 vcc_lo, exec_lo, s8
	s_cbranch_vccnz .LBB23_24
; %bb.8:
	s_mul_i32 s4, s7, s4
	s_load_b128 s[8:11], s[0:1], 0x0
	s_add_co_i32 s0, s4, s2
	s_mul_i32 s15, s15, s6
	s_mul_i32 s0, s0, s5
	s_add_co_i32 s1, s24, s15
	s_mul_i32 s4, s5, s21
	s_add_co_i32 s0, s1, s0
	s_mulk_i32 s4, 0x300
	s_mulk_i32 s0, 0x60
	s_lshl_b32 s15, s2, 2
	v_add3_u32 v1, s4, s0, v0
	s_add_nc_u64 s[0:1], s[16:17], 0
	s_add_co_i32 s15, s15, s3
	s_wait_alu 0xfffe
	s_xor_b64 s[6:7], s[0:1], 0
	s_lshl_b32 s0, ttmp9, 5
	v_ashrrev_i32_e32 v2, 31, v1
	s_wait_alu 0xfffe
	s_cvt_f32_u32 s1, s6
	s_cvt_f32_u32 s2, s7
	s_add_co_i32 s0, s15, s0
	v_cvt_f32_u32_e32 v3, s16
	v_lshlrev_b64_e32 v[1:2], 2, v[1:2]
	s_wait_alu 0xfffe
	s_fmamk_f32 s2, s2, 0x4f800000, s1
	s_ashr_i32 s1, s0, 31
	s_add_co_i32 s34, ttmp9, -1
	s_wait_alu 0xfffe
	s_lshl_b64 s[0:1], s[0:1], 3
	v_s_rcp_f32 s2, s2
	s_wait_kmcnt 0x0
	v_add_co_u32 v1, vcc_lo, s8, v1
	s_delay_alu instid0(VALU_DEP_1)
	v_add_co_ci_u32_e64 v2, null, s9, v2, vcc_lo
	s_wait_alu 0xfffe
	s_add_nc_u64 s[0:1], s[10:11], s[0:1]
	v_rcp_iflag_f32_e32 v3, v3
	s_load_b64 s[26:27], s[0:1], 0x0
	global_load_b32 v5, v[1:2], off
	s_mul_f32 s2, s2, 0x5f7ffffc
	s_mov_b32 s8, 0
	s_lshl_b32 s0, s16, 7
	s_wait_alu 0xfffe
	s_mov_b32 s1, s8
	s_mul_f32 s3, s2, 0x2f800000
	s_wait_alu 0xfffe
	s_lshl_b64 s[0:1], s[0:1], 2
	s_sub_nc_u64 s[30:31], 0, s[6:7]
	v_mul_f32_e32 v6, 0x4f7ffffe, v3
	s_trunc_f32 s3, s3
	s_wait_alu 0xfffe
	s_add_nc_u64 s[24:25], s[10:11], s[0:1]
	v_mad_co_u64_u32 v[3:4], null, 0x60, s15, v[0:1]
	s_fmamk_f32 s0, s3, 0xcf800000, s2
	v_cvt_u32_f32_e32 v0, v6
	s_cvt_u32_f32 s29, s3
	s_wait_alu 0xfffe
	s_cvt_u32_f32 s28, s0
	s_wait_kmcnt 0x0
	v_mov_b32_e32 v4, s27
.LBB23_9:                               ; =>This Inner Loop Header: Depth=1
	s_wait_alu 0xfffe
	s_ashr_i32 s35, s34, 31
	s_mov_b32 s2, -1
	s_wait_alu 0xfffe
	s_mul_u64 s[0:1], s[34:35], s[18:19]
                                        ; implicit-def: $sgpr38_sgpr39
	s_wait_alu 0xfffe
	s_mov_b32 s9, s1
	s_wait_alu 0xfffe
	s_cmp_lg_u64 s[8:9], 0
	s_cbranch_scc0 .LBB23_11
; %bb.10:                               ;   in Loop: Header=BB23_9 Depth=1
	s_mul_u64 s[2:3], s[30:31], s[28:29]
	s_mov_b32 s37, s8
	s_wait_alu 0xfffe
	s_mul_hi_u32 s5, s28, s3
	s_mul_i32 s4, s28, s3
	s_mul_hi_u32 s36, s28, s2
	s_mul_hi_u32 s9, s29, s2
	s_wait_alu 0xfffe
	s_add_nc_u64 s[4:5], s[36:37], s[4:5]
	s_mul_i32 s2, s29, s2
	s_mul_hi_u32 s17, s29, s3
	s_wait_alu 0xfffe
	s_add_co_u32 s2, s4, s2
	s_add_co_ci_u32 s2, s5, s9
	s_add_co_ci_u32 s5, s17, 0
	s_mul_i32 s4, s29, s3
	s_mov_b32 s3, s8
	s_mov_b32 s39, s8
	s_wait_alu 0xfffe
	s_add_nc_u64 s[2:3], s[2:3], s[4:5]
	s_wait_alu 0xfffe
	s_add_co_u32 s2, s28, s2
	s_cselect_b32 s4, -1, 0
	s_wait_alu 0xfffe
	s_cmp_lg_u32 s4, 0
	s_add_co_ci_u32 s3, s29, s3
	s_wait_alu 0xfffe
	s_mul_u64 s[4:5], s[30:31], s[2:3]
	s_wait_alu 0xfffe
	s_mul_hi_u32 s37, s2, s5
	s_mul_i32 s36, s2, s5
	s_mul_hi_u32 s38, s2, s4
	s_mul_hi_u32 s9, s3, s4
	s_mul_i32 s4, s3, s4
	s_wait_alu 0xfffe
	s_add_nc_u64 s[36:37], s[38:39], s[36:37]
	s_mul_hi_u32 s17, s3, s5
	s_wait_alu 0xfffe
	s_add_co_u32 s4, s36, s4
	s_add_co_ci_u32 s4, s37, s9
	s_add_co_ci_u32 s37, s17, 0
	s_mul_i32 s36, s3, s5
	s_mov_b32 s5, s8
	s_wait_alu 0xfffe
	s_add_nc_u64 s[4:5], s[4:5], s[36:37]
	s_mov_b32 s37, s8
	s_wait_alu 0xfffe
	s_add_co_u32 s9, s2, s4
	s_cselect_b32 s2, -1, 0
	s_wait_alu 0xfffe
	s_cmp_lg_u32 s2, 0
	s_add_co_ci_u32 s17, s3, s5
	s_ashr_i32 s2, s1, 31
	s_wait_alu 0xfffe
	s_mov_b32 s3, s2
	s_wait_alu 0xfffe
	s_add_nc_u64 s[4:5], s[0:1], s[2:3]
	s_wait_alu 0xfffe
	s_xor_b64 s[4:5], s[4:5], s[2:3]
	s_wait_alu 0xfffe
	s_mul_hi_u32 s39, s4, s17
	s_mul_i32 s38, s4, s17
	s_mul_hi_u32 s36, s4, s9
	s_mul_i32 s21, s5, s9
	s_wait_alu 0xfffe
	s_add_nc_u64 s[36:37], s[36:37], s[38:39]
	s_mul_hi_u32 s9, s5, s9
	s_mul_hi_u32 s1, s5, s17
	s_wait_alu 0xfffe
	s_add_co_u32 s21, s36, s21
	s_add_co_ci_u32 s36, s37, s9
	s_add_co_ci_u32 s39, s1, 0
	s_mul_i32 s38, s5, s17
	s_mov_b32 s37, s8
	s_wait_alu 0xfffe
	s_add_nc_u64 s[36:37], s[36:37], s[38:39]
	s_wait_alu 0xfffe
	s_mul_u64 s[38:39], s[6:7], s[36:37]
	s_add_nc_u64 s[40:41], s[36:37], 1
	s_sub_co_u32 s1, s4, s38
	s_cselect_b32 s4, -1, 0
	s_sub_co_i32 s9, s5, s39
	s_wait_alu 0xfffe
	s_cmp_lg_u32 s4, 0
	s_add_nc_u64 s[42:43], s[36:37], 2
	s_sub_co_ci_u32 s9, s9, s7
	s_sub_co_u32 s17, s1, s6
	s_cselect_b32 s21, -1, 0
	s_delay_alu instid0(SALU_CYCLE_1)
	s_cmp_lg_u32 s21, 0
	s_wait_alu 0xfffe
	s_sub_co_ci_u32 s9, s9, 0
	s_wait_alu 0xfffe
	s_cmp_ge_u32 s9, s7
	s_cselect_b32 s21, -1, 0
	s_cmp_ge_u32 s17, s6
	s_cselect_b32 s17, -1, 0
	s_cmp_eq_u32 s9, s7
	s_wait_alu 0xfffe
	s_cselect_b32 s9, s17, s21
	s_wait_alu 0xfffe
	s_cmp_lg_u32 s9, 0
	s_cselect_b32 s9, s42, s40
	s_cselect_b32 s17, s43, s41
	s_cmp_lg_u32 s4, 0
	s_sub_co_ci_u32 s4, s5, s39
	s_wait_alu 0xfffe
	s_cmp_ge_u32 s4, s7
	s_cselect_b32 s5, -1, 0
	s_cmp_ge_u32 s1, s6
	s_cselect_b32 s1, -1, 0
	s_cmp_eq_u32 s4, s7
	s_wait_alu 0xfffe
	s_cselect_b32 s1, s1, s5
	s_wait_alu 0xfffe
	s_cmp_lg_u32 s1, 0
	s_cselect_b32 s5, s17, s37
	s_cselect_b32 s4, s9, s36
	s_xor_b64 s[2:3], s[2:3], 0
	s_wait_alu 0xfffe
	s_xor_b64 s[4:5], s[4:5], s[2:3]
	s_wait_alu 0xfffe
	s_sub_nc_u64 s[38:39], s[4:5], s[2:3]
	s_mov_b32 s2, 0
.LBB23_11:                              ;   in Loop: Header=BB23_9 Depth=1
	s_wait_alu 0xfffe
	s_and_not1_b32 vcc_lo, exec_lo, s2
	s_wait_alu 0xfffe
	s_cbranch_vccnz .LBB23_13
; %bb.12:                               ;   in Loop: Header=BB23_9 Depth=1
	v_readfirstlane_b32 s1, v0
	s_sub_co_i32 s2, 0, s16
	s_wait_alu 0xfffe
	s_mul_i32 s2, s2, s1
	s_wait_alu 0xfffe
	s_mul_hi_u32 s2, s1, s2
	s_wait_alu 0xfffe
	s_add_co_i32 s1, s1, s2
	s_wait_alu 0xfffe
	s_mul_hi_u32 s1, s0, s1
	s_wait_alu 0xfffe
	s_mul_i32 s2, s1, s16
	s_wait_alu 0xfffe
	s_sub_co_i32 s0, s0, s2
	s_add_co_i32 s2, s1, 1
	s_wait_alu 0xfffe
	s_sub_co_i32 s3, s0, s16
	s_cmp_ge_u32 s0, s16
	s_cselect_b32 s1, s2, s1
	s_wait_alu 0xfffe
	s_cselect_b32 s0, s3, s0
	s_add_co_i32 s2, s1, 1
	s_wait_alu 0xfffe
	s_cmp_ge_u32 s0, s16
	s_cselect_b32 s38, s2, s1
.LBB23_13:                              ;   in Loop: Header=BB23_9 Depth=1
	v_readfirstlane_b32 s9, v0
	s_cmp_lg_u32 s20, s38
	s_mov_b32 s0, -1
                                        ; implicit-def: $sgpr21
                                        ; implicit-def: $vgpr6
                                        ; implicit-def: $vgpr7
                                        ; implicit-def: $sgpr17
                                        ; implicit-def: $sgpr27
	s_cbranch_scc1 .LBB23_16
; %bb.14:                               ;   in Loop: Header=BB23_9 Depth=1
	s_wait_alu 0xfffe
	s_and_not1_b32 vcc_lo, exec_lo, s0
	s_wait_alu 0xfffe
	s_cbranch_vccz .LBB23_19
.LBB23_15:                              ;   in Loop: Header=BB23_9 Depth=1
	s_and_not1_b32 vcc_lo, exec_lo, s21
	s_wait_alu 0xfffe
	s_cbranch_vccnz .LBB23_20
	s_branch .LBB23_23
.LBB23_16:                              ;   in Loop: Header=BB23_9 Depth=1
	s_add_co_i32 s0, s34, s16
	s_mov_b32 s1, s8
	s_wait_alu 0xfffe
	s_lshl_b32 s0, s0, 5
	v_max_num_f32_e64 v6, s26, s26
	s_wait_alu 0xfffe
	s_add_co_i32 s0, s0, s15
	s_mov_b32 s39, s8
	s_wait_alu 0xfffe
	s_lshl_b64 s[0:1], s[0:1], 3
	s_mul_u64 s[40:41], s[38:39], s[22:23]
	s_wait_alu 0xfffe
	s_add_nc_u64 s[0:1], s[10:11], s[0:1]
	s_mov_b32 s27, s20
	s_load_b64 s[36:37], s[0:1], 0x0
	v_readfirstlane_b32 s0, v6
	s_wait_kmcnt 0x0
	v_max_num_f32_e64 v7, s36, s36
	s_delay_alu instid0(VALU_DEP_1) | instskip(SKIP_2) | instid1(SALU_CYCLE_2)
	v_readfirstlane_b32 s1, v7
	s_max_num_f32 s9, s0, s1
	s_wait_alu 0xfffe
	s_sub_f32 s33, s26, s9
	s_sub_f32 s35, s36, s9
	s_wait_alu 0xfffe
	s_delay_alu instid0(SALU_CYCLE_1)
	s_cmp_nlt_f32 s33, 0xc2ce8ed0
	s_cselect_b32 s0, -1, 0
	s_cmp_ngt_f32 s33, 0x42b17218
	s_cselect_b32 s1, -1, 0
	s_cmp_ge_f32 s33, 0xc1a00000
	s_cselect_b32 s2, -1, 0
	s_cmp_nlt_f32 s35, 0xc2ce8ed0
	s_cselect_b32 s3, -1, 0
	s_cmp_ngt_f32 s35, 0x42b17218
	s_cselect_b32 s4, -1, 0
	s_cmp_ge_f32 s35, 0xc1a00000
	s_cselect_b32 s5, -1, 0
	s_add_co_i32 s17, s41, s38
	s_wait_alu 0xfffe
	s_lshr_b32 s17, s17, s13
	s_wait_alu 0xfffe
	s_mul_i32 s21, s17, s14
	s_delay_alu instid0(SALU_CYCLE_1)
	s_cmp_eq_u32 s21, s38
	s_cselect_b32 s21, -1, 0
	s_cmp_lt_u32 s17, s12
	s_cselect_b32 s17, -1, 0
	s_wait_alu 0xfffe
	s_or_b32 s17, s17, s21
	s_mov_b32 s21, -1
	s_wait_alu 0xfffe
	s_and_b32 vcc_lo, exec_lo, s17
	s_mov_b32 s17, s34
	s_wait_alu 0xfffe
	s_cbranch_vccnz .LBB23_18
; %bb.17:                               ;   in Loop: Header=BB23_9 Depth=1
	s_add_co_i32 s17, s34, -1
	s_mov_b32 s21, 0
	s_mov_b32 s27, s38
.LBB23_18:                              ;   in Loop: Header=BB23_9 Depth=1
	v_mad_co_u64_u32 v[6:7], null, 0xc00, s34, v[3:4]
	s_mul_f32 s36, s35, 0x3fb8aa3b
	s_mul_f32 s38, s33, 0x3fb8aa3b
	s_wait_alu 0xfffe
	s_delay_alu instid0(SALU_CYCLE_1)
	s_xor_b32 s39, s36, 0x80000000
	s_rndne_f32 s40, s36
	v_ashrrev_i32_e32 v7, 31, v6
	s_fmamk_f32 s39, s35, 0x3fb8aa3b, s39
	s_xor_b32 s41, s38, 0x80000000
	s_sub_f32 s36, s36, s40
	s_rndne_f32 s42, s38
	v_lshlrev_b64_e32 v[6:7], 2, v[6:7]
	s_fmamk_f32 s35, s35, 0x32a5705f, s39
	s_fmamk_f32 s39, s33, 0x3fb8aa3b, s41
	s_sub_f32 s38, s38, s42
	s_wait_alu 0xfffe
	s_add_f32 s35, s36, s35
	v_add_co_u32 v6, vcc_lo, s24, v6
	s_wait_alu 0xfffd
	v_add_co_ci_u32_e64 v7, null, s25, v7, vcc_lo
	s_fmamk_f32 s33, s33, 0x32a5705f, s39
	s_wait_alu 0xfffe
	v_s_exp_f32 s35, s35
	s_cvt_i32_f32 s36, s40
	global_load_b32 v6, v[6:7], off
	s_add_f32 s33, s38, s33
	s_wait_alu 0xfffe
	s_delay_alu instid0(SALU_CYCLE_2) | instskip(SKIP_2) | instid1(VALU_DEP_1)
	v_s_exp_f32 s33, s33
	v_ldexp_f32 v7, s35, s36
	s_cvt_i32_f32 s35, s42
	v_cndmask_b32_e64 v7, 0, v7, s3
	s_wait_alu 0xf1fe
	s_delay_alu instid0(TRANS32_DEP_1) | instid1(SALU_CYCLE_1)
	v_ldexp_f32 v8, s33, s35
	s_delay_alu instid0(VALU_DEP_2) | instskip(NEXT) | instid1(VALU_DEP_2)
	v_cndmask_b32_e64 v7, 0x7f800000, v7, s4
	v_cndmask_b32_e64 v8, 0, v8, s0
	s_delay_alu instid0(VALU_DEP_2) | instskip(NEXT) | instid1(VALU_DEP_2)
	v_cndmask_b32_e64 v7, 0, v7, s5
	v_cndmask_b32_e64 v8, 0x7f800000, v8, s1
	s_delay_alu instid0(VALU_DEP_1) | instskip(SKIP_1) | instid1(VALU_DEP_3)
	v_cndmask_b32_e64 v8, 0, v8, s2
	s_wait_loadcnt 0x0
	v_mul_f32_e32 v6, v6, v7
	v_mul_f32_e32 v7, s37, v7
	s_delay_alu instid0(VALU_DEP_1) | instskip(NEXT) | instid1(VALU_DEP_3)
	v_fmac_f32_e32 v7, v4, v8
	v_fmac_f32_e32 v6, v5, v8
	s_cbranch_execnz .LBB23_15
.LBB23_19:                              ;   in Loop: Header=BB23_9 Depth=1
	s_wait_loadcnt 0x0
	v_dual_mov_b32 v7, v4 :: v_dual_mov_b32 v6, v5
	s_add_co_i32 s17, s34, -1
	s_mov_b32 s27, s20
	s_mov_b32 s9, s26
	s_cbranch_execz .LBB23_23
.LBB23_20:                              ;   in Loop: Header=BB23_9 Depth=1
	s_wait_loadcnt 0x0
	v_dual_mov_b32 v4, v7 :: v_dual_mov_b32 v5, v6
	s_wait_alu 0xfffe
	s_mov_b32 s20, s27
	s_mov_b32 s34, s17
	;; [unrolled: 1-line block ×3, first 2 shown]
	s_branch .LBB23_9
.LBB23_21:
                                        ; implicit-def: $sgpr20_sgpr21
	s_branch .LBB23_2
.LBB23_22:
                                        ; implicit-def: $sgpr10_sgpr11
	s_load_b96 s[12:14], s[0:1], 0x44
	s_branch .LBB23_5
.LBB23_23:
	v_div_scale_f32 v0, null, v7, v7, v6
	s_delay_alu instid0(VALU_DEP_1) | instskip(NEXT) | instid1(TRANS32_DEP_1)
	v_rcp_f32_e32 v3, v0
	v_fma_f32 v4, -v0, v3, 1.0
	s_delay_alu instid0(VALU_DEP_1) | instskip(SKIP_2) | instid1(VALU_DEP_1)
	v_fmac_f32_e32 v3, v4, v3
	v_div_scale_f32 v4, vcc_lo, v6, v7, v6
	s_wait_loadcnt 0x0
	v_mul_f32_e32 v5, v4, v3
	s_delay_alu instid0(VALU_DEP_1) | instskip(NEXT) | instid1(VALU_DEP_1)
	v_fma_f32 v8, -v0, v5, v4
	v_fmac_f32_e32 v5, v8, v3
	s_delay_alu instid0(VALU_DEP_1) | instskip(SKIP_1) | instid1(VALU_DEP_1)
	v_fma_f32 v0, -v0, v5, v4
	s_wait_alu 0xfffd
	v_div_fmas_f32 v0, v0, v3, v5
	s_delay_alu instid0(VALU_DEP_1)
	v_div_fixup_f32 v0, v0, v7, v6
	global_store_b32 v[1:2], v0, off
.LBB23_24:
	s_endpgm
	.section	.rodata,"a",@progbits
	.p2align	6, 0x0
	.amdhsa_kernel _ZL33flash_attn_stream_k_fixup_generalILi96ELi8ELi4EEvPfPK15HIP_vector_typeIfLj2EEiiiiS1_IjLj3EES5_S5_S5_
		.amdhsa_group_segment_fixed_size 0
		.amdhsa_private_segment_fixed_size 0
		.amdhsa_kernarg_size 336
		.amdhsa_user_sgpr_count 2
		.amdhsa_user_sgpr_dispatch_ptr 0
		.amdhsa_user_sgpr_queue_ptr 0
		.amdhsa_user_sgpr_kernarg_segment_ptr 1
		.amdhsa_user_sgpr_dispatch_id 0
		.amdhsa_user_sgpr_private_segment_size 0
		.amdhsa_wavefront_size32 1
		.amdhsa_uses_dynamic_stack 0
		.amdhsa_enable_private_segment 0
		.amdhsa_system_sgpr_workgroup_id_x 1
		.amdhsa_system_sgpr_workgroup_id_y 1
		.amdhsa_system_sgpr_workgroup_id_z 1
		.amdhsa_system_sgpr_workgroup_info 0
		.amdhsa_system_vgpr_workitem_id 0
		.amdhsa_next_free_vgpr 9
		.amdhsa_next_free_sgpr 44
		.amdhsa_reserve_vcc 1
		.amdhsa_float_round_mode_32 0
		.amdhsa_float_round_mode_16_64 0
		.amdhsa_float_denorm_mode_32 3
		.amdhsa_float_denorm_mode_16_64 3
		.amdhsa_fp16_overflow 0
		.amdhsa_workgroup_processor_mode 1
		.amdhsa_memory_ordered 1
		.amdhsa_forward_progress 1
		.amdhsa_inst_pref_size 28
		.amdhsa_round_robin_scheduling 0
		.amdhsa_exception_fp_ieee_invalid_op 0
		.amdhsa_exception_fp_denorm_src 0
		.amdhsa_exception_fp_ieee_div_zero 0
		.amdhsa_exception_fp_ieee_overflow 0
		.amdhsa_exception_fp_ieee_underflow 0
		.amdhsa_exception_fp_ieee_inexact 0
		.amdhsa_exception_int_div_zero 0
	.end_amdhsa_kernel
	.section	.text._ZL33flash_attn_stream_k_fixup_generalILi96ELi8ELi4EEvPfPK15HIP_vector_typeIfLj2EEiiiiS1_IjLj3EES5_S5_S5_,"axG",@progbits,_ZL33flash_attn_stream_k_fixup_generalILi96ELi8ELi4EEvPfPK15HIP_vector_typeIfLj2EEiiiiS1_IjLj3EES5_S5_S5_,comdat
.Lfunc_end23:
	.size	_ZL33flash_attn_stream_k_fixup_generalILi96ELi8ELi4EEvPfPK15HIP_vector_typeIfLj2EEiiiiS1_IjLj3EES5_S5_S5_, .Lfunc_end23-_ZL33flash_attn_stream_k_fixup_generalILi96ELi8ELi4EEvPfPK15HIP_vector_typeIfLj2EEiiiiS1_IjLj3EES5_S5_S5_
                                        ; -- End function
	.set _ZL33flash_attn_stream_k_fixup_generalILi96ELi8ELi4EEvPfPK15HIP_vector_typeIfLj2EEiiiiS1_IjLj3EES5_S5_S5_.num_vgpr, 9
	.set _ZL33flash_attn_stream_k_fixup_generalILi96ELi8ELi4EEvPfPK15HIP_vector_typeIfLj2EEiiiiS1_IjLj3EES5_S5_S5_.num_agpr, 0
	.set _ZL33flash_attn_stream_k_fixup_generalILi96ELi8ELi4EEvPfPK15HIP_vector_typeIfLj2EEiiiiS1_IjLj3EES5_S5_S5_.numbered_sgpr, 44
	.set _ZL33flash_attn_stream_k_fixup_generalILi96ELi8ELi4EEvPfPK15HIP_vector_typeIfLj2EEiiiiS1_IjLj3EES5_S5_S5_.num_named_barrier, 0
	.set _ZL33flash_attn_stream_k_fixup_generalILi96ELi8ELi4EEvPfPK15HIP_vector_typeIfLj2EEiiiiS1_IjLj3EES5_S5_S5_.private_seg_size, 0
	.set _ZL33flash_attn_stream_k_fixup_generalILi96ELi8ELi4EEvPfPK15HIP_vector_typeIfLj2EEiiiiS1_IjLj3EES5_S5_S5_.uses_vcc, 1
	.set _ZL33flash_attn_stream_k_fixup_generalILi96ELi8ELi4EEvPfPK15HIP_vector_typeIfLj2EEiiiiS1_IjLj3EES5_S5_S5_.uses_flat_scratch, 0
	.set _ZL33flash_attn_stream_k_fixup_generalILi96ELi8ELi4EEvPfPK15HIP_vector_typeIfLj2EEiiiiS1_IjLj3EES5_S5_S5_.has_dyn_sized_stack, 0
	.set _ZL33flash_attn_stream_k_fixup_generalILi96ELi8ELi4EEvPfPK15HIP_vector_typeIfLj2EEiiiiS1_IjLj3EES5_S5_S5_.has_recursion, 0
	.set _ZL33flash_attn_stream_k_fixup_generalILi96ELi8ELi4EEvPfPK15HIP_vector_typeIfLj2EEiiiiS1_IjLj3EES5_S5_S5_.has_indirect_call, 0
	.section	.AMDGPU.csdata,"",@progbits
; Kernel info:
; codeLenInByte = 3540
; TotalNumSgprs: 46
; NumVgprs: 9
; ScratchSize: 0
; MemoryBound: 0
; FloatMode: 240
; IeeeMode: 1
; LDSByteSize: 0 bytes/workgroup (compile time only)
; SGPRBlocks: 0
; VGPRBlocks: 1
; NumSGPRsForWavesPerEU: 46
; NumVGPRsForWavesPerEU: 9
; Occupancy: 16
; WaveLimiterHint : 0
; COMPUTE_PGM_RSRC2:SCRATCH_EN: 0
; COMPUTE_PGM_RSRC2:USER_SGPR: 2
; COMPUTE_PGM_RSRC2:TRAP_HANDLER: 0
; COMPUTE_PGM_RSRC2:TGID_X_EN: 1
; COMPUTE_PGM_RSRC2:TGID_Y_EN: 1
; COMPUTE_PGM_RSRC2:TGID_Z_EN: 1
; COMPUTE_PGM_RSRC2:TIDIG_COMP_CNT: 0
	.section	.text._ZL15flash_attn_tileILi96ELi96ELi4ELi4ELb0EEvPKcS1_S1_S1_S1_PKiPfP15HIP_vector_typeIfLj2EEffffjfiS5_IjLj3EEiiiiiiiiiiiliiliiiiil,"axG",@progbits,_ZL15flash_attn_tileILi96ELi96ELi4ELi4ELb0EEvPKcS1_S1_S1_S1_PKiPfP15HIP_vector_typeIfLj2EEffffjfiS5_IjLj3EEiiiiiiiiiiiliiliiiiil,comdat
	.globl	_ZL15flash_attn_tileILi96ELi96ELi4ELi4ELb0EEvPKcS1_S1_S1_S1_PKiPfP15HIP_vector_typeIfLj2EEffffjfiS5_IjLj3EEiiiiiiiiiiiliiliiiiil ; -- Begin function _ZL15flash_attn_tileILi96ELi96ELi4ELi4ELb0EEvPKcS1_S1_S1_S1_PKiPfP15HIP_vector_typeIfLj2EEffffjfiS5_IjLj3EEiiiiiiiiiiiliiliiiiil
	.p2align	8
	.type	_ZL15flash_attn_tileILi96ELi96ELi4ELi4ELb0EEvPKcS1_S1_S1_S1_PKiPfP15HIP_vector_typeIfLj2EEffffjfiS5_IjLj3EEiiiiiiiiiiiliiliiiiil,@function
_ZL15flash_attn_tileILi96ELi96ELi4ELi4ELb0EEvPKcS1_S1_S1_S1_PKiPfP15HIP_vector_typeIfLj2EEffffjfiS5_IjLj3EEiiiiiiiiiiiliiliiiiil: ; @_ZL15flash_attn_tileILi96ELi96ELi4ELi4ELb0EEvPKcS1_S1_S1_S1_PKiPfP15HIP_vector_typeIfLj2EEffffjfiS5_IjLj3EEiiiiiiiiiiiliiliiiiil
; %bb.0:
	s_clause 0x1
	s_load_b128 s[20:23], s[0:1], 0x5c
	s_load_b64 s[30:31], s[0:1], 0x80
	s_lshr_b32 s5, ttmp7, 16
	s_mov_b32 s37, 0
	s_mov_b64 s[34:35], 0
	s_wait_kmcnt 0x0
	s_ashr_i32 s2, s23, 31
	s_delay_alu instid0(SALU_CYCLE_1) | instskip(NEXT) | instid1(SALU_CYCLE_1)
	s_lshr_b32 s2, s2, 30
	s_add_co_i32 s2, s23, s2
	s_delay_alu instid0(SALU_CYCLE_1) | instskip(NEXT) | instid1(SALU_CYCLE_1)
	s_ashr_i32 s2, s2, 2
	s_cvt_f32_u32 s3, s2
	s_sub_co_i32 s4, 0, s2
	s_delay_alu instid0(SALU_CYCLE_2) | instskip(NEXT) | instid1(TRANS32_DEP_1)
	v_rcp_iflag_f32_e32 v1, s3
	v_readfirstlane_b32 s3, v1
	s_mul_f32 s3, s3, 0x4f7ffffe
	s_wait_alu 0xfffe
	s_delay_alu instid0(SALU_CYCLE_2) | instskip(SKIP_1) | instid1(SALU_CYCLE_2)
	s_cvt_u32_f32 s3, s3
	s_wait_alu 0xfffe
	s_mul_i32 s4, s4, s3
	s_delay_alu instid0(SALU_CYCLE_1) | instskip(NEXT) | instid1(SALU_CYCLE_1)
	s_mul_hi_u32 s4, s3, s4
	s_add_co_i32 s3, s3, s4
	s_wait_alu 0xfffe
	s_mul_hi_u32 s3, s5, s3
	s_wait_alu 0xfffe
	s_mul_i32 s4, s3, s2
	s_add_co_i32 s6, s3, 1
	s_sub_co_i32 s4, s5, s4
	s_delay_alu instid0(SALU_CYCLE_1)
	s_sub_co_i32 s7, s4, s2
	s_cmp_ge_u32 s4, s2
	s_cselect_b32 s3, s6, s3
	s_cselect_b32 s4, s7, s4
	s_wait_alu 0xfffe
	s_add_co_i32 s6, s3, 1
	s_cmp_ge_u32 s4, s2
	s_cselect_b32 s28, s6, s3
	s_abs_i32 s2, s31
	s_abs_i32 s6, s23
	s_wait_alu 0xfffe
	s_cvt_f32_u32 s3, s2
	s_sub_co_i32 s4, 0, s2
	s_lshl_b32 s24, s5, 2
	s_wait_alu 0xfffe
	v_rcp_iflag_f32_e32 v1, s3
	s_delay_alu instid0(TRANS32_DEP_1) | instskip(SKIP_2) | instid1(SALU_CYCLE_2)
	v_readfirstlane_b32 s3, v1
	s_mul_f32 s3, s3, 0x4f7ffffe
	s_wait_alu 0xfffe
	s_cvt_u32_f32 s3, s3
	s_wait_alu 0xfffe
	s_delay_alu instid0(SALU_CYCLE_2) | instskip(NEXT) | instid1(SALU_CYCLE_1)
	s_mul_i32 s4, s4, s3
	s_mul_hi_u32 s4, s3, s4
	s_delay_alu instid0(SALU_CYCLE_1)
	s_add_co_i32 s3, s3, s4
	s_xor_b32 s4, s23, s31
	s_wait_alu 0xfffe
	s_mul_hi_u32 s3, s6, s3
	s_ashr_i32 s25, s4, 31
	s_wait_alu 0xfffe
	s_mul_i32 s5, s3, s2
	s_delay_alu instid0(SALU_CYCLE_1)
	s_sub_co_i32 s4, s6, s5
	s_add_co_i32 s5, s3, 1
	s_sub_co_i32 s6, s4, s2
	s_cmp_ge_u32 s4, s2
	s_cselect_b32 s3, s5, s3
	s_cselect_b32 s4, s6, s4
	s_wait_alu 0xfffe
	s_add_co_i32 s5, s3, 1
	s_cmp_ge_u32 s4, s2
	s_cselect_b32 s2, s5, s3
	s_load_b512 s[4:19], s[0:1], 0x0
	s_xor_b32 s2, s2, s25
	s_wait_alu 0xfffe
	s_sub_co_i32 s38, s2, s25
	s_load_b64 s[2:3], s[0:1], 0xb8
	s_abs_i32 s33, s38
	s_delay_alu instid0(SALU_CYCLE_1) | instskip(NEXT) | instid1(SALU_CYCLE_3)
	s_cvt_f32_u32 s25, s33
	v_rcp_iflag_f32_e32 v1, s25
	s_mul_i32 s25, s28, s23
	s_wait_kmcnt 0x0
	s_cmp_eq_u64 s[10:11], 0
	s_delay_alu instid0(TRANS32_DEP_1)
	v_readfirstlane_b32 s27, v1
	s_cbranch_scc1 .LBB24_2
; %bb.1:
	s_abs_i32 s2, s2
	s_load_b64 s[34:35], s[0:1], 0xc8
	s_cvt_f32_u32 s26, s2
	s_sub_co_i32 s29, 0, s2
	s_delay_alu instid0(SALU_CYCLE_2) | instskip(NEXT) | instid1(TRANS32_DEP_1)
	v_rcp_iflag_f32_e32 v1, s26
	v_readfirstlane_b32 s26, v1
	s_mul_f32 s26, s26, 0x4f7ffffe
	s_wait_alu 0xfffe
	s_delay_alu instid0(SALU_CYCLE_2) | instskip(SKIP_1) | instid1(SALU_CYCLE_2)
	s_cvt_u32_f32 s26, s26
	s_wait_alu 0xfffe
	s_mul_i32 s29, s29, s26
	s_delay_alu instid0(SALU_CYCLE_1) | instskip(NEXT) | instid1(SALU_CYCLE_1)
	s_mul_hi_u32 s29, s26, s29
	s_add_co_i32 s26, s26, s29
	s_wait_alu 0xfffe
	s_mul_hi_u32 s26, s28, s26
	s_wait_alu 0xfffe
	s_mul_i32 s26, s26, s2
	s_wait_alu 0xfffe
	s_sub_co_i32 s26, s28, s26
	s_wait_alu 0xfffe
	s_sub_co_i32 s29, s26, s2
	s_cmp_ge_u32 s26, s2
	s_cselect_b32 s26, s29, s26
	s_wait_alu 0xfffe
	s_sub_co_i32 s29, s26, s2
	s_cmp_ge_u32 s26, s2
	s_cselect_b32 s40, s29, s26
	s_delay_alu instid0(SALU_CYCLE_1) | instskip(SKIP_2) | instid1(SALU_CYCLE_1)
	s_ashr_i32 s41, s40, 31
	s_wait_kmcnt 0x0
	s_mul_u64 s[34:35], s[34:35], s[40:41]
	s_add_nc_u64 s[34:35], s[10:11], s[34:35]
.LBB24_2:
	v_lshrrev_b32_e32 v1, 10, v0
	v_and_b32_e32 v49, 0x3ff, v0
	s_wait_alu 0xfffe
	s_sub_co_i32 s11, s24, s25
	s_delay_alu instid0(VALU_DEP_2) | instskip(NEXT) | instid1(VALU_DEP_2)
	v_bfe_u32 v1, v1, 1, 9
	v_cmp_gt_u32_e64 s2, 24, v49
	v_lshlrev_b32_e32 v48, 2, v49
	v_lshlrev_b32_e32 v63, 3, v49
	s_delay_alu instid0(VALU_DEP_4) | instskip(NEXT) | instid1(VALU_DEP_1)
	v_lshl_add_u32 v50, ttmp9, 2, v1
	v_mul_hi_u32 v1, s20, v50
	s_delay_alu instid0(VALU_DEP_1) | instskip(NEXT) | instid1(VALU_DEP_1)
	v_add_nc_u32_e32 v1, v50, v1
	v_lshrrev_b32_e32 v2, s21, v1
	v_bfe_u32 v1, v0, 10, 10
	s_delay_alu instid0(VALU_DEP_2) | instskip(NEXT) | instid1(VALU_DEP_2)
	v_mul_lo_u32 v3, v2, s22
	v_lshlrev_b32_e32 v2, 1, v1
	s_delay_alu instid0(VALU_DEP_1) | instskip(NEXT) | instid1(VALU_DEP_3)
	v_and_b32_e32 v62, 2, v2
	v_sub_nc_u32_e32 v0, v50, v3
	s_and_saveexec_b32 s10, s2
	s_cbranch_execz .LBB24_4
; %bb.3:
	s_load_b96 s[24:26], s[0:1], 0x70
	v_or_b32_e32 v10, 1, v2
	v_add_nc_u32_e32 v11, 0xe80, v63
	s_delay_alu instid0(VALU_DEP_2) | instskip(NEXT) | instid1(VALU_DEP_2)
	v_and_b32_e32 v8, 3, v10
	v_mad_u32_u24 v12, 0x180, v1, v11
	s_wait_kmcnt 0x0
	s_ashr_i32 s21, s24, 31
	s_mov_b32 s20, s24
	s_wait_alu 0xfffe
	s_lshr_b32 s24, s21, 2
	s_lshr_b64 s[40:41], s[20:21], 2
	s_ashr_i32 s41, s25, 31
	v_mad_co_u64_u32 v[2:3], null, s40, v0, 0
	s_mov_b32 s40, s25
	s_lshr_b32 s29, s41, 2
	s_wait_alu 0xfffe
	s_lshr_b64 s[20:21], s[40:41], 2
	v_mul_lo_u32 v9, s29, v62
	s_wait_alu 0xfffe
	v_mad_co_u64_u32 v[6:7], null, s20, v62, 0
	v_mad_co_u64_u32 v[3:4], null, s24, v0, v[3:4]
	;; [unrolled: 1-line block ×3, first 2 shown]
	s_mul_i32 s20, s28, s26
	s_mul_i32 s24, s11, s25
	s_wait_alu 0xfffe
	s_ashr_i32 s21, s20, 31
	v_or_b32_e32 v7, v7, v9
	v_lshlrev_b64_e32 v[2:3], 2, v[2:3]
	s_ashr_i32 s25, s24, 31
	v_mad_co_u64_u32 v[8:9], null, s29, v8, v[5:6]
	s_wait_alu 0xfffe
	s_add_nc_u64 s[4:5], s[4:5], s[20:21]
	v_lshlrev_b32_e32 v9, 2, v48
	s_add_nc_u64 s[4:5], s[4:5], s[24:25]
	v_lshlrev_b64_e32 v[6:7], 2, v[6:7]
	v_add_co_u32 v2, vcc_lo, s4, v2
	s_delay_alu instid0(VALU_DEP_1) | instskip(SKIP_1) | instid1(VALU_DEP_3)
	v_add_co_ci_u32_e64 v3, null, s5, v3, vcc_lo
	v_mov_b32_e32 v5, v8
	v_add_co_u32 v8, vcc_lo, v2, v9
	s_wait_alu 0xfffd
	s_delay_alu instid0(VALU_DEP_3) | instskip(NEXT) | instid1(VALU_DEP_3)
	v_add_co_ci_u32_e64 v9, null, 0, v3, vcc_lo
	v_lshlrev_b64_e32 v[2:3], 2, v[4:5]
	s_delay_alu instid0(VALU_DEP_3) | instskip(SKIP_1) | instid1(VALU_DEP_3)
	v_add_co_u32 v4, vcc_lo, v8, v6
	s_wait_alu 0xfffd
	v_add_co_ci_u32_e64 v5, null, v9, v7, vcc_lo
	s_load_b32 s4, s[0:1], 0x40
	v_add_co_u32 v6, vcc_lo, v8, v2
	s_wait_alu 0xfffd
	v_add_co_ci_u32_e64 v7, null, v9, v3, vcc_lo
	s_clause 0x1
	global_load_b128 v[2:5], v[4:5], off
	global_load_b128 v[6:9], v[6:7], off
	s_wait_loadcnt 0x1
	s_wait_kmcnt 0x0
	v_fma_mixlo_f16 v2, s4, v2, 0
	v_fma_mixlo_f16 v3, s4, v3, 0
	s_wait_loadcnt 0x0
	v_fma_mixlo_f16 v6, s4, v6, 0
	v_fma_mixlo_f16 v7, s4, v7, 0
	;; [unrolled: 1-line block ×4, first 2 shown]
	v_lshlrev_b32_e32 v3, 16, v3
	v_and_b32_e32 v2, 0xffff, v2
	v_fma_mixlo_f16 v8, s4, v8, 0
	v_fma_mixlo_f16 v9, s4, v9, 0
	v_lshlrev_b32_e32 v7, 16, v7
	v_and_b32_e32 v6, 0xffff, v6
	v_lshlrev_b32_e32 v5, 16, v5
	v_and_b32_e32 v4, 0xffff, v4
	v_or_b32_e32 v2, v3, v2
	v_lshlrev_b32_e32 v9, 16, v9
	v_and_b32_e32 v8, 0xffff, v8
	v_or_b32_e32 v6, v7, v6
	v_or3_b32 v3, v5, v4, 0
	v_or3_b32 v2, 0, 0, v2
	v_mad_u32_u24 v7, 0xc0, v10, v11
	v_or3_b32 v5, v9, v8, 0
	v_or3_b32 v4, 0, 0, v6
	ds_store_b64 v12, v[2:3]
	ds_store_b64 v7, v[4:5]
.LBB24_4:
	s_or_b32 exec_lo, exec_lo, s10
	s_cmp_eq_u64 s[14:15], 0
	s_wait_dscnt 0x0
	s_barrier_signal -1
	s_barrier_wait -1
	global_inv scope:SCOPE_SE
	s_cbranch_scc1 .LBB24_6
; %bb.5:
	s_load_b32 s4, s[0:1], 0xd0
	s_mov_b32 s5, 0
	s_wait_kmcnt 0x0
	s_mul_i32 s4, s4, s28
	s_wait_alu 0xfffe
	s_add_co_i32 s4, s4, ttmp9
	s_wait_alu 0xfffe
	s_lshl_b64 s[4:5], s[4:5], 2
	s_wait_alu 0xfffe
	s_add_nc_u64 s[4:5], s[14:15], s[4:5]
	s_load_b32 s30, s[4:5], 0x0
.LBB24_6:
	s_and_b32 s31, ttmp7, 0xffff
	v_mbcnt_lo_u32_b32 v64, -1, 0
	s_lshl_b32 s14, s31, 5
	s_wait_kmcnt 0x0
	s_cmp_lt_i32 s14, s30
	s_cbranch_scc1 .LBB24_9
; %bb.7:
	v_mbcnt_lo_u32_b32 v2, -1, 0
	v_mov_b32_e32 v66, 32
	s_delay_alu instid0(VALU_DEP_2)
	v_xor_b32_e32 v72, 16, v2
	v_xor_b32_e32 v70, 8, v2
	;; [unrolled: 1-line block ×5, first 2 shown]
	s_mov_b32 s29, 0
	s_cbranch_execz .LBB24_10
; %bb.8:
	v_dual_mov_b32 v81, 0 :: v_dual_mov_b32 v88, 0
	v_dual_mov_b32 v61, 0xfeffffff :: v_dual_mov_b32 v60, 0xfeffffff
	v_mov_b32_e32 v89, 0
	v_mov_b32_e32 v85, 0
	;; [unrolled: 1-line block ×4, first 2 shown]
	s_branch .LBB24_30
.LBB24_9:
                                        ; implicit-def: $vgpr2
                                        ; implicit-def: $vgpr66
                                        ; implicit-def: $vgpr72
                                        ; implicit-def: $vgpr70
                                        ; implicit-def: $vgpr69
                                        ; implicit-def: $vgpr68
                                        ; implicit-def: $vgpr67
	s_mov_b32 s29, 0
.LBB24_10:
	s_mul_f32 s10, s27, 0x4f7ffffe
	s_clause 0x1
	s_load_b128 s[24:27], s[0:1], 0x98
	s_load_b64 s[4:5], s[0:1], 0x8c
	s_sub_co_i32 s15, 0, s33
	s_abs_i32 s36, s11
	s_cvt_u32_f32 s10, s10
	s_mov_b32 s21, s37
	s_ashr_i32 s40, s11, 31
	s_ashr_i32 s41, s38, 31
	s_mul_i32 s15, s15, s10
	v_lshrrev_b32_e32 v3, 2, v49
	s_mul_hi_u32 s15, s10, s15
	s_load_b64 s[38:39], s[0:1], 0xa8
	s_add_co_i32 s20, s10, s15
	s_ashr_i32 s10, s3, 1
	s_wait_alu 0xfffe
	s_mul_u64 s[20:21], s[36:37], s[20:21]
	s_xor_b32 s3, s40, s41
	s_wait_alu 0xfffe
	s_mul_i32 s15, s21, s33
	s_add_co_i32 s37, s21, 1
	s_sub_co_i32 s15, s36, s15
	v_lshrrev_b32_e32 v2, 1, v49
	s_wait_kmcnt 0x0
	s_ashr_i32 s20, s26, 2
	s_ashr_i32 s26, s4, 2
	s_sub_co_i32 s4, s15, s33
	s_cmp_ge_u32 s15, s33
	v_lshl_add_u32 v7, v1, 3, v3
	s_cselect_b32 s21, s37, s21
	s_wait_alu 0xfffe
	s_cselect_b32 s4, s4, s15
	s_add_co_i32 s15, s21, 1
	s_wait_alu 0xfffe
	s_cmp_ge_u32 s4, s33
	v_and_b32_e32 v11, 12, v48
	v_lshrrev_b32_e32 v6, 3, v49
	s_cselect_b32 s4, s15, s21
	v_lshl_add_u32 v2, v1, 4, v2
	s_wait_alu 0xfffe
	s_xor_b32 s4, s4, s3
	v_dual_mov_b32 v71, 0 :: v_dual_lshlrev_b32 v8, 2, v11
	s_wait_alu 0xfffe
	s_sub_co_i32 s3, s4, s3
	v_lshl_add_u32 v9, v1, 2, v6
	v_mul_u32_u24_e32 v12, 0xc0, v7
	s_mul_u64 s[24:25], s[24:25], s[28:29]
	s_wait_alu 0xfffe
	s_mul_i32 s4, s3, s5
	v_dual_mov_b32 v65, 0 :: v_dual_and_b32 v10, 4, v48
	v_dual_mov_b32 v86, 0 :: v_dual_and_b32 v77, 28, v48
	s_add_nc_u64 s[6:7], s[6:7], s[24:25]
	s_wait_alu 0xfffe
	s_ashr_i32 s5, s4, 31
	v_cmp_gt_u32_e32 vcc_lo, 32, v2
	v_mul_u32_u24_e32 v3, 0x70, v2
	v_mul_lo_u32 v2, s26, v2
	v_mul_lo_u32 v4, s26, v7
	v_mad_u32_u24 v75, 0x70, v7, v8
	v_mad_co_u64_u32 v[51:52], null, v0, s10, v[49:50]
	v_mul_lo_u32 v6, s20, v7
	v_or_b32_e32 v0, v12, v8
	v_mul_lo_u32 v8, s20, v9
	s_wait_alu 0xfffe
	s_add_nc_u64 s[24:25], s[6:7], s[4:5]
	s_movk_i32 s4, 0x180
	v_dual_mov_b32 v66, 32 :: v_dual_lshlrev_b32 v5, 2, v10
	s_wait_alu 0xfffe
	v_mad_u32_u24 v76, v1, s4, 0xe80
	v_lshl_add_u32 v78, v1, 7, 0x1a80
	v_lshlrev_b32_e32 v1, 2, v77
	s_mul_u64 s[36:37], s[38:39], s[28:29]
	v_add3_u32 v74, v3, v5, 64
	s_add_nc_u64 s[8:9], s[8:9], s[36:37]
	s_mul_i32 s36, s3, s27
	v_cmp_gt_u32_e64 s3, 32, v7
	v_ashrrev_i32_e32 v3, 31, v2
	v_ashrrev_i32_e32 v5, 31, v4
	v_cmp_gt_u32_e64 s4, 16, v7
	v_cmp_gt_u32_e64 s5, 16, v9
	v_ashrrev_i32_e32 v7, 31, v6
	v_mad_u32_u24 v80, 0xc0, v9, v1
	v_ashrrev_i32_e32 v9, 31, v8
	v_lshlrev_b64_e32 v[52:53], 2, v[2:3]
	v_lshlrev_b64_e32 v[54:55], 2, v[4:5]
	;; [unrolled: 1-line block ×3, first 2 shown]
	v_mul_u32_u24_e32 v73, 0x70, v49
	v_lshlrev_b64_e32 v[58:59], 2, v[8:9]
	v_add_nc_u32_e32 v79, 0x80, v0
	v_mov_b32_e32 v0, 0xfeffffff
	v_dual_mov_b32 v85, 0 :: v_dual_lshlrev_b32 v82, 2, v10
	v_lshlrev_b32_e32 v83, 2, v11
	v_xor_b32_e32 v72, 16, v64
	v_xor_b32_e32 v70, 8, v64
	;; [unrolled: 1-line block ×5, first 2 shown]
	v_dual_mov_b32 v81, 0 :: v_dual_add_nc_u32 v84, v78, v48
	v_mov_b32_e32 v1, 0xfeffffff
	v_mov_b32_e32 v87, 0
	s_ashr_i32 s37, s36, 31
	s_ashr_i32 s27, s26, 31
	s_add_nc_u64 s[36:37], s[8:9], s[36:37]
	s_ashr_i32 s21, s20, 31
	s_add_nc_u64 s[38:39], s[0:1], 0xd0
.LBB24_11:                              ; =>This Inner Loop Header: Depth=1
	s_ashr_i32 s15, s14, 31
	s_wait_alu 0xfffe
	s_mul_u64 s[6:7], s[14:15], s[26:27]
	s_wait_alu 0xfffe
	s_lshl_b64 s[6:7], s[6:7], 2
	s_wait_alu 0xfffe
	s_add_nc_u64 s[8:9], s[24:25], s[6:7]
	s_and_saveexec_b32 s7, vcc_lo
	s_cbranch_execz .LBB24_13
; %bb.12:                               ;   in Loop: Header=BB24_11 Depth=1
	s_wait_alu 0xfffe
	v_add_co_u32 v2, s6, s8, v52
	s_wait_alu 0xf1ff
	v_add_co_ci_u32_e64 v3, null, s9, v53, s6
	s_delay_alu instid0(VALU_DEP_2) | instskip(SKIP_1) | instid1(VALU_DEP_2)
	v_add_co_u32 v2, s6, v2, v82
	s_wait_alu 0xf1ff
	v_add_co_ci_u32_e64 v3, null, 0, v3, s6
	global_load_b128 v[2:5], v[2:3], off offset:64
	s_wait_loadcnt 0x0
	ds_store_b128 v74, v[2:5]
.LBB24_13:                              ;   in Loop: Header=BB24_11 Depth=1
	s_wait_alu 0xfffe
	s_or_b32 exec_lo, exec_lo, s7
	s_and_saveexec_b32 s7, s3
	s_cbranch_execz .LBB24_15
; %bb.14:                               ;   in Loop: Header=BB24_11 Depth=1
	v_add_co_u32 v2, s6, s8, v54
	s_wait_alu 0xf1ff
	v_add_co_ci_u32_e64 v3, null, s9, v55, s6
	s_delay_alu instid0(VALU_DEP_2) | instskip(SKIP_1) | instid1(VALU_DEP_2)
	v_add_co_u32 v2, s6, v2, v83
	s_wait_alu 0xf1ff
	v_add_co_ci_u32_e64 v3, null, 0, v3, s6
	global_load_b128 v[2:5], v[2:3], off
	s_wait_loadcnt 0x0
	ds_store_b128 v75, v[2:5]
.LBB24_15:                              ;   in Loop: Header=BB24_11 Depth=1
	s_wait_alu 0xfffe
	s_or_b32 exec_lo, exec_lo, s7
	s_wait_loadcnt_dscnt 0x0
	s_barrier_signal -1
	s_barrier_wait -1
	global_inv scope:SCOPE_SE
	ds_load_b128 v[4:7], v73
	ds_load_b128 v[8:11], v76
	ds_load_b128 v[12:15], v76 offset:192
	v_dual_mov_b32 v3, 0 :: v_dual_mov_b32 v2, 0
	s_wait_dscnt 0x1
	;;#ASMSTART
	v_dot2_f32_f16 v3, v4, v8, v3
	;;#ASMEND
	;;#ASMSTART
	v_dot2_f32_f16 v3, v5, v9, v3
	;;#ASMEND
	;;#ASMSTART
	v_dot2_f32_f16 v3, v6, v10, v3
	;;#ASMEND
	;;#ASMSTART
	v_dot2_f32_f16 v3, v7, v11, v3
	;;#ASMEND
	s_wait_dscnt 0x0
	;;#ASMSTART
	v_dot2_f32_f16 v2, v4, v12, v2
	;;#ASMEND
	;;#ASMSTART
	v_dot2_f32_f16 v2, v5, v13, v2
	;;#ASMEND
	;;#ASMSTART
	v_dot2_f32_f16 v2, v6, v14, v2
	;;#ASMEND
	;;#ASMSTART
	v_dot2_f32_f16 v2, v7, v15, v2
	;;#ASMEND
	ds_load_b128 v[4:7], v73 offset:16
	ds_load_b128 v[8:11], v76 offset:16
	ds_load_b128 v[12:15], v76 offset:208
	s_wait_dscnt 0x1
	;;#ASMSTART
	v_dot2_f32_f16 v3, v4, v8, v3
	;;#ASMEND
	;;#ASMSTART
	v_dot2_f32_f16 v3, v5, v9, v3
	;;#ASMEND
	;;#ASMSTART
	v_dot2_f32_f16 v3, v6, v10, v3
	;;#ASMEND
	;;#ASMSTART
	v_dot2_f32_f16 v3, v7, v11, v3
	;;#ASMEND
	s_wait_dscnt 0x0
	;;#ASMSTART
	v_dot2_f32_f16 v2, v4, v12, v2
	;;#ASMEND
	;;#ASMSTART
	v_dot2_f32_f16 v2, v5, v13, v2
	;;#ASMEND
	;;#ASMSTART
	v_dot2_f32_f16 v2, v6, v14, v2
	;;#ASMEND
	;;#ASMSTART
	v_dot2_f32_f16 v2, v7, v15, v2
	;;#ASMEND
	ds_load_b128 v[4:7], v73 offset:32
	ds_load_b128 v[8:11], v76 offset:32
	ds_load_b128 v[12:15], v76 offset:224
	;; [unrolled: 29-line block ×5, first 2 shown]
	s_wait_dscnt 0x1
	;;#ASMSTART
	v_dot2_f32_f16 v3, v4, v8, v3
	;;#ASMEND
	;;#ASMSTART
	v_dot2_f32_f16 v3, v5, v9, v3
	;;#ASMEND
	;; [unrolled: 3-line block ×4, first 2 shown]
	s_wait_dscnt 0x0
	;;#ASMSTART
	v_dot2_f32_f16 v2, v4, v12, v2
	;;#ASMEND
	;;#ASMSTART
	v_dot2_f32_f16 v2, v5, v13, v2
	;;#ASMEND
	;;#ASMSTART
	v_dot2_f32_f16 v2, v6, v14, v2
	;;#ASMEND
	;;#ASMSTART
	v_dot2_f32_f16 v2, v7, v15, v2
	;;#ASMEND
	s_wait_loadcnt 0x0
	s_barrier_signal -1
	s_barrier_wait -1
	global_inv scope:SCOPE_SE
	s_and_saveexec_b32 s7, vcc_lo
	s_cbranch_execz .LBB24_17
; %bb.16:                               ;   in Loop: Header=BB24_11 Depth=1
	v_add_co_u32 v4, s6, s8, v52
	s_wait_alu 0xf1ff
	v_add_co_ci_u32_e64 v5, null, s9, v53, s6
	s_delay_alu instid0(VALU_DEP_2) | instskip(SKIP_1) | instid1(VALU_DEP_2)
	v_add_co_u32 v4, s6, v4, v82
	s_wait_alu 0xf1ff
	v_add_co_ci_u32_e64 v5, null, 0, v5, s6
	global_load_b128 v[4:7], v[4:5], off offset:160
	s_wait_loadcnt 0x0
	ds_store_b128 v74, v[4:7]
.LBB24_17:                              ;   in Loop: Header=BB24_11 Depth=1
	s_wait_alu 0xfffe
	s_or_b32 exec_lo, exec_lo, s7
	s_and_saveexec_b32 s7, s3
	s_cbranch_execz .LBB24_19
; %bb.18:                               ;   in Loop: Header=BB24_11 Depth=1
	v_add_co_u32 v4, s6, s8, v54
	s_wait_alu 0xf1ff
	v_add_co_ci_u32_e64 v5, null, s9, v55, s6
	s_delay_alu instid0(VALU_DEP_2) | instskip(SKIP_1) | instid1(VALU_DEP_2)
	v_add_co_u32 v4, s6, v4, v83
	s_wait_alu 0xf1ff
	v_add_co_ci_u32_e64 v5, null, 0, v5, s6
	global_load_b128 v[4:7], v[4:5], off offset:96
	s_wait_loadcnt 0x0
	ds_store_b128 v75, v[4:7]
.LBB24_19:                              ;   in Loop: Header=BB24_11 Depth=1
	s_wait_alu 0xfffe
	s_or_b32 exec_lo, exec_lo, s7
	s_wait_loadcnt_dscnt 0x0
	s_barrier_signal -1
	s_barrier_wait -1
	global_inv scope:SCOPE_SE
	ds_load_b128 v[4:7], v73
	ds_load_b128 v[8:11], v76 offset:96
	ds_load_b128 v[12:15], v76 offset:288
	s_mul_u64 s[40:41], s[14:15], s[20:21]
	s_wait_dscnt 0x1
	;;#ASMSTART
	v_dot2_f32_f16 v3, v4, v8, v3
	;;#ASMEND
	;;#ASMSTART
	v_dot2_f32_f16 v3, v5, v9, v3
	;;#ASMEND
	;; [unrolled: 3-line block ×4, first 2 shown]
	s_wait_dscnt 0x0
	;;#ASMSTART
	v_dot2_f32_f16 v2, v4, v12, v2
	;;#ASMEND
	;;#ASMSTART
	v_dot2_f32_f16 v2, v5, v13, v2
	;;#ASMEND
	;; [unrolled: 3-line block ×4, first 2 shown]
	ds_load_b128 v[4:7], v73 offset:16
	ds_load_b128 v[8:11], v76 offset:112
	ds_load_b128 v[12:15], v76 offset:304
	s_wait_alu 0xfffe
	s_lshl_b64 s[40:41], s[40:41], 2
	s_wait_dscnt 0x1
	;;#ASMSTART
	v_dot2_f32_f16 v3, v4, v8, v3
	;;#ASMEND
	;;#ASMSTART
	v_dot2_f32_f16 v3, v5, v9, v3
	;;#ASMEND
	;; [unrolled: 3-line block ×4, first 2 shown]
	s_wait_dscnt 0x0
	;;#ASMSTART
	v_dot2_f32_f16 v2, v4, v12, v2
	;;#ASMEND
	;;#ASMSTART
	v_dot2_f32_f16 v2, v5, v13, v2
	;;#ASMEND
	;; [unrolled: 3-line block ×4, first 2 shown]
	ds_load_b128 v[4:7], v73 offset:32
	ds_load_b128 v[8:11], v76 offset:128
	;; [unrolled: 1-line block ×3, first 2 shown]
	s_wait_alu 0xfffe
	s_add_nc_u64 s[40:41], s[36:37], s[40:41]
	s_wait_dscnt 0x1
	;;#ASMSTART
	v_dot2_f32_f16 v3, v4, v8, v3
	;;#ASMEND
	;;#ASMSTART
	v_dot2_f32_f16 v3, v5, v9, v3
	;;#ASMEND
	;;#ASMSTART
	v_dot2_f32_f16 v3, v6, v10, v3
	;;#ASMEND
	;;#ASMSTART
	v_dot2_f32_f16 v3, v7, v11, v3
	;;#ASMEND
	s_wait_dscnt 0x0
	;;#ASMSTART
	v_dot2_f32_f16 v2, v4, v12, v2
	;;#ASMEND
	;;#ASMSTART
	v_dot2_f32_f16 v2, v5, v13, v2
	;;#ASMEND
	;;#ASMSTART
	v_dot2_f32_f16 v2, v6, v14, v2
	;;#ASMEND
	;;#ASMSTART
	v_dot2_f32_f16 v2, v7, v15, v2
	;;#ASMEND
	ds_load_b128 v[4:7], v73 offset:48
	ds_load_b128 v[8:11], v76 offset:144
	ds_load_b128 v[12:15], v76 offset:336
	s_wait_dscnt 0x1
	;;#ASMSTART
	v_dot2_f32_f16 v3, v4, v8, v3
	;;#ASMEND
	;;#ASMSTART
	v_dot2_f32_f16 v3, v5, v9, v3
	;;#ASMEND
	;;#ASMSTART
	v_dot2_f32_f16 v3, v6, v10, v3
	;;#ASMEND
	;;#ASMSTART
	v_dot2_f32_f16 v3, v7, v11, v3
	;;#ASMEND
	s_wait_dscnt 0x0
	;;#ASMSTART
	v_dot2_f32_f16 v2, v4, v12, v2
	;;#ASMEND
	;;#ASMSTART
	v_dot2_f32_f16 v2, v5, v13, v2
	;;#ASMEND
	;;#ASMSTART
	v_dot2_f32_f16 v2, v6, v14, v2
	;;#ASMEND
	;;#ASMSTART
	v_dot2_f32_f16 v2, v7, v15, v2
	;;#ASMEND
	ds_load_b128 v[4:7], v73 offset:64
	ds_load_b128 v[8:11], v76 offset:160
	ds_load_b128 v[12:15], v76 offset:352
	;; [unrolled: 29-line block ×3, first 2 shown]
	s_wait_dscnt 0x1
	;;#ASMSTART
	v_dot2_f32_f16 v3, v4, v8, v3
	;;#ASMEND
	;;#ASMSTART
	v_dot2_f32_f16 v3, v5, v9, v3
	;;#ASMEND
	;; [unrolled: 3-line block ×4, first 2 shown]
	v_add_nc_u32_e32 v16, s14, v51
	s_wait_dscnt 0x0
	;;#ASMSTART
	v_dot2_f32_f16 v2, v4, v12, v2
	;;#ASMEND
	;;#ASMSTART
	v_dot2_f32_f16 v2, v5, v13, v2
	;;#ASMEND
	;; [unrolled: 3-line block ×4, first 2 shown]
	v_ashrrev_i32_e32 v17, 31, v16
	v_max_num_f32_e32 v7, v1, v1
	s_delay_alu instid0(VALU_DEP_2) | instskip(NEXT) | instid1(VALU_DEP_1)
	v_lshlrev_b64_e32 v[16:17], 1, v[16:17]
	v_add_co_u32 v16, s6, s34, v16
	s_wait_alu 0xf1ff
	s_delay_alu instid0(VALU_DEP_2)
	v_add_co_ci_u32_e64 v17, null, s35, v17, s6
	v_cmp_gt_i32_e64 s6, 32, v72
	global_load_u16 v4, v[16:17], off
	s_wait_loadcnt 0x0
	s_barrier_signal -1
	s_barrier_wait -1
	global_inv scope:SCOPE_SE
	v_cvt_f32_f16_e32 v4, v4
	s_delay_alu instid0(VALU_DEP_1)
	v_add_f32_e32 v3, v3, v4
	v_add_f32_e32 v2, v2, v4
	s_wait_alu 0xf1ff
	v_cndmask_b32_e64 v4, v64, v72, s6
	v_max_num_f32_e32 v5, v0, v0
	v_cmp_gt_i32_e64 s6, 32, v70
	v_add_f32_e32 v6, 0x40051340, v3
	v_add_f32_e32 v8, 0x40051340, v2
	s_delay_alu instid0(VALU_DEP_2) | instskip(NEXT) | instid1(VALU_DEP_2)
	v_dual_max_num_f32 v5, v5, v6 :: v_dual_lshlrev_b32 v4, 2, v4
	v_max_num_f32_e32 v6, v7, v8
	s_wait_alu 0xf1ff
	v_cndmask_b32_e64 v8, v64, v70, s6
	v_cmp_gt_i32_e64 s6, 32, v69
	ds_bpermute_b32 v7, v4, v5
	s_wait_dscnt 0x0
	v_max_num_f32_e32 v7, v7, v7
	s_delay_alu instid0(VALU_DEP_1) | instskip(SKIP_4) | instid1(VALU_DEP_1)
	v_max_num_f32_e32 v5, v5, v7
	ds_bpermute_b32 v4, v4, v6
	v_lshlrev_b32_e32 v8, 2, v8
	s_wait_dscnt 0x0
	v_max_num_f32_e32 v4, v4, v4
	v_max_num_f32_e32 v4, v6, v4
	ds_bpermute_b32 v6, v8, v5
	s_wait_dscnt 0x0
	v_max_num_f32_e32 v6, v6, v6
	s_delay_alu instid0(VALU_DEP_1) | instskip(SKIP_4) | instid1(VALU_DEP_2)
	v_max_num_f32_e32 v5, v5, v6
	ds_bpermute_b32 v7, v8, v4
	s_wait_alu 0xf1ff
	v_cndmask_b32_e64 v8, v64, v69, s6
	v_cmp_gt_i32_e64 s6, 32, v68
	v_lshlrev_b32_e32 v8, 2, v8
	ds_bpermute_b32 v6, v8, v5
	s_wait_dscnt 0x0
	v_dual_max_num_f32 v7, v7, v7 :: v_dual_max_num_f32 v6, v6, v6
	s_delay_alu instid0(VALU_DEP_1) | instskip(SKIP_4) | instid1(VALU_DEP_2)
	v_dual_max_num_f32 v5, v5, v6 :: v_dual_max_num_f32 v4, v4, v7
	ds_bpermute_b32 v7, v8, v4
	s_wait_alu 0xf1ff
	v_cndmask_b32_e64 v8, v64, v68, s6
	v_cmp_gt_i32_e64 s6, 32, v67
	v_lshlrev_b32_e32 v8, 2, v8
	ds_bpermute_b32 v6, v8, v5
	s_wait_dscnt 0x0
	v_dual_max_num_f32 v7, v7, v7 :: v_dual_max_num_f32 v6, v6, v6
	s_delay_alu instid0(VALU_DEP_1) | instskip(SKIP_3) | instid1(VALU_DEP_1)
	v_dual_max_num_f32 v5, v5, v6 :: v_dual_max_num_f32 v4, v4, v7
	ds_bpermute_b32 v7, v8, v4
	s_wait_alu 0xf1ff
	v_cndmask_b32_e64 v8, v64, v67, s6
	v_lshlrev_b32_e32 v8, 2, v8
	ds_bpermute_b32 v6, v8, v5
	s_wait_dscnt 0x0
	v_dual_max_num_f32 v7, v7, v7 :: v_dual_max_num_f32 v6, v6, v6
	s_delay_alu instid0(VALU_DEP_1) | instskip(NEXT) | instid1(VALU_DEP_1)
	v_max_num_f32_e32 v60, v5, v6
	v_dual_sub_f32 v3, v3, v60 :: v_dual_max_num_f32 v4, v4, v7
	v_sub_f32_e32 v92, v0, v60
	s_delay_alu instid0(VALU_DEP_2) | instskip(SKIP_4) | instid1(VALU_DEP_1)
	v_cmp_ngt_f32_e64 s6, 0xc2ce8ed0, v3
	ds_bpermute_b32 v7, v8, v4
	v_cmp_ngt_f32_e64 s7, 0xc2ce8ed0, v92
	s_wait_dscnt 0x0
	v_max_num_f32_e32 v7, v7, v7
	v_max_num_f32_e32 v61, v4, v7
	v_mul_f32_e32 v4, 0x3fb8aa3b, v3
	s_delay_alu instid0(VALU_DEP_2) | instskip(NEXT) | instid1(VALU_DEP_2)
	v_sub_f32_e32 v2, v2, v61
	v_fma_f32 v6, 0x3fb8aa3b, v3, -v4
	v_rndne_f32_e32 v7, v4
	v_sub_f32_e32 v93, v1, v61
	s_delay_alu instid0(VALU_DEP_4) | instskip(NEXT) | instid1(VALU_DEP_4)
	v_mul_f32_e32 v5, 0x3fb8aa3b, v2
	v_fmac_f32_e32 v6, 0x32a5705f, v3
	s_delay_alu instid0(VALU_DEP_4) | instskip(NEXT) | instid1(VALU_DEP_4)
	v_sub_f32_e32 v4, v4, v7
	v_cmp_ngt_f32_e64 s9, 0xc2ce8ed0, v93
	v_cmp_nlt_f32_e64 s8, 0x42b17218, v93
	v_fma_f32 v8, 0x3fb8aa3b, v2, -v5
	v_rndne_f32_e32 v9, v5
	v_add_f32_e32 v4, v4, v6
	v_cvt_i32_f32_e32 v6, v7
	s_delay_alu instid0(VALU_DEP_3) | instskip(NEXT) | instid1(VALU_DEP_3)
	v_dual_fmac_f32 v8, 0x32a5705f, v2 :: v_dual_sub_f32 v5, v5, v9
	v_exp_f32_e32 v4, v4
	v_cvt_i32_f32_e32 v7, v9
	s_delay_alu instid0(VALU_DEP_2) | instskip(NEXT) | instid1(VALU_DEP_1)
	v_add_f32_e32 v5, v5, v8
	v_exp_f32_e32 v5, v5
	s_delay_alu instid0(TRANS32_DEP_2) | instskip(SKIP_1) | instid1(VALU_DEP_1)
	v_ldexp_f32 v4, v4, v6
	s_wait_alu 0xf1ff
	v_cndmask_b32_e64 v4, 0, v4, s6
	v_cmp_ngt_f32_e64 s6, 0xc2ce8ed0, v2
	s_delay_alu instid0(TRANS32_DEP_1) | instskip(SKIP_1) | instid1(VALU_DEP_1)
	v_ldexp_f32 v5, v5, v7
	s_wait_alu 0xf1ff
	v_cndmask_b32_e64 v5, 0, v5, s6
	v_cmp_nlt_f32_e64 s6, 0x42b17218, v3
	s_wait_alu 0xf1ff
	s_delay_alu instid0(VALU_DEP_1) | instskip(SKIP_1) | instid1(VALU_DEP_2)
	v_cndmask_b32_e64 v89, 0x7f800000, v4, s6
	v_cmp_nlt_f32_e64 s6, 0x42b17218, v2
	v_cvt_f16_f32_e32 v0, v89
	s_wait_alu 0xf1ff
	s_delay_alu instid0(VALU_DEP_2) | instskip(SKIP_1) | instid1(VALU_DEP_2)
	v_cndmask_b32_e64 v88, 0x7f800000, v5, s6
	v_cmp_nlt_f32_e64 s6, 0x42b17218, v92
	v_cvt_f16_f32_e32 v1, v88
	s_delay_alu instid0(VALU_DEP_1)
	v_pack_b32_f16 v0, v0, v1
	ds_store_b32 v84, v0
	s_and_saveexec_b32 s15, s4
	s_cbranch_execz .LBB24_21
; %bb.20:                               ;   in Loop: Header=BB24_11 Depth=1
	s_wait_alu 0xfffe
	v_add_co_u32 v0, s10, s40, v56
	s_wait_alu 0xf1ff
	v_add_co_ci_u32_e64 v1, null, s41, v57, s10
	s_delay_alu instid0(VALU_DEP_2) | instskip(SKIP_1) | instid1(VALU_DEP_2)
	v_add_co_u32 v0, s10, v0, v83
	s_wait_alu 0xf1ff
	v_add_co_ci_u32_e64 v1, null, 0, v1, s10
	global_load_b128 v[0:3], v[0:1], off offset:128
	s_wait_loadcnt 0x0
	ds_store_b128 v79, v[0:3]
.LBB24_21:                              ;   in Loop: Header=BB24_11 Depth=1
	s_wait_alu 0xfffe
	s_or_b32 exec_lo, exec_lo, s15
	v_lshlrev_b32_e32 v94, 2, v77
	s_and_saveexec_b32 s15, s5
	s_cbranch_execz .LBB24_23
; %bb.22:                               ;   in Loop: Header=BB24_11 Depth=1
	v_add_co_u32 v0, s10, s40, v58
	s_wait_alu 0xf1ff
	v_add_co_ci_u32_e64 v1, null, s41, v59, s10
	s_delay_alu instid0(VALU_DEP_2) | instskip(SKIP_1) | instid1(VALU_DEP_2)
	v_add_co_u32 v0, s10, v0, v94
	s_wait_alu 0xf1ff
	v_add_co_ci_u32_e64 v1, null, 0, v1, s10
	global_load_b128 v[0:3], v[0:1], off
	s_wait_loadcnt 0x0
	ds_store_b128 v80, v[0:3]
.LBB24_23:                              ;   in Loop: Header=BB24_11 Depth=1
	s_wait_alu 0xfffe
	s_or_b32 exec_lo, exec_lo, s15
	v_add_nc_u32_e32 v91, 0x400, v63
	v_add_nc_u32_e32 v90, 0x800, v63
	s_wait_loadcnt_dscnt 0x0
	s_barrier_signal -1
	s_barrier_wait -1
	global_inv scope:SCOPE_SE
	ds_load_2addr_b64 v[28:31], v63 offset1:24
	ds_load_b128 v[44:47], v78
	ds_load_b128 v[40:43], v78 offset:16
	ds_load_b128 v[36:39], v78 offset:32
	;; [unrolled: 1-line block ×3, first 2 shown]
	ds_load_2addr_b64 v[24:27], v63 offset0:48 offset1:72
	ds_load_2addr_b64 v[32:35], v63 offset0:96 offset1:120
	;; [unrolled: 1-line block ×7, first 2 shown]
	s_or_b32 s40, s14, 16
	s_wait_loadcnt_dscnt 0x0
	s_wait_alu 0xfffe
	s_ashr_i32 s41, s40, 31
	s_barrier_signal -1
	s_wait_alu 0xfffe
	s_mul_u64 s[40:41], s[40:41], s[20:21]
	s_barrier_wait -1
	s_wait_alu 0xfffe
	s_lshl_b64 s[40:41], s[40:41], 2
	global_inv scope:SCOPE_SE
	s_wait_alu 0xfffe
	s_add_nc_u64 s[40:41], s[36:37], s[40:41]
	s_and_saveexec_b32 s15, s4
	s_cbranch_execz .LBB24_25
; %bb.24:                               ;   in Loop: Header=BB24_11 Depth=1
	s_wait_alu 0xfffe
	v_add_co_u32 v95, s10, s40, v56
	s_wait_alu 0xf1ff
	v_add_co_ci_u32_e64 v96, null, s41, v57, s10
	s_delay_alu instid0(VALU_DEP_2) | instskip(SKIP_1) | instid1(VALU_DEP_2)
	v_add_co_u32 v95, s10, v95, v83
	s_wait_alu 0xf1ff
	v_add_co_ci_u32_e64 v96, null, 0, v96, s10
	global_load_b128 v[95:98], v[95:96], off offset:128
	s_wait_loadcnt 0x0
	ds_store_b128 v79, v[95:98]
.LBB24_25:                              ;   in Loop: Header=BB24_11 Depth=1
	s_wait_alu 0xfffe
	s_or_b32 exec_lo, exec_lo, s15
	s_and_saveexec_b32 s15, s5
	s_cbranch_execz .LBB24_27
; %bb.26:                               ;   in Loop: Header=BB24_11 Depth=1
	v_add_co_u32 v95, s10, s40, v58
	s_wait_alu 0xf1ff
	v_add_co_ci_u32_e64 v96, null, s41, v59, s10
	s_delay_alu instid0(VALU_DEP_2) | instskip(SKIP_1) | instid1(VALU_DEP_2)
	v_add_co_u32 v94, s10, v95, v94
	s_wait_alu 0xf1ff
	v_add_co_ci_u32_e64 v95, null, 0, v96, s10
	global_load_b128 v[94:97], v[94:95], off
	s_wait_loadcnt 0x0
	ds_store_b128 v80, v[94:97]
.LBB24_27:                              ;   in Loop: Header=BB24_11 Depth=1
	s_wait_alu 0xfffe
	s_or_b32 exec_lo, exec_lo, s15
	v_dual_mul_f32 v94, 0x3fb8aa3b, v92 :: v_dual_mul_f32 v95, 0x3fb8aa3b, v93
	v_lshrrev_b32_e32 v100, 16, v44
	v_and_b32_e32 v44, 0xffff, v44
	v_lshrrev_b32_e32 v101, 16, v41
	s_delay_alu instid0(VALU_DEP_4)
	v_fma_f32 v96, 0x3fb8aa3b, v92, -v94
	v_rndne_f32_e32 v97, v94
	v_fma_f32 v98, 0x3fb8aa3b, v93, -v95
	v_rndne_f32_e32 v99, v95
	v_mul_u32_u24_e32 v44, 0x10001, v44
	v_fmac_f32_e32 v96, 0x32a5705f, v92
	v_and_b32_e32 v41, 0xffff, v41
	s_delay_alu instid0(VALU_DEP_4)
	v_dual_fmac_f32 v98, 0x32a5705f, v93 :: v_dual_sub_f32 v93, v95, v99
	v_sub_f32_e32 v92, v94, v97
	v_lshrrev_b32_e32 v94, 16, v45
	v_cvt_i32_f32_e32 v97, v97
	v_cvt_i32_f32_e32 v99, v99
	v_add_f32_e32 v93, v93, v98
	v_dual_add_f32 v92, v92, v96 :: v_dual_and_b32 v45, 0xffff, v45
	v_pk_mul_f16 v109, v28, v44
	v_lshrrev_b32_e32 v95, 16, v46
	s_delay_alu instid0(VALU_DEP_4)
	v_exp_f32_e32 v93, v93
	v_and_b32_e32 v46, 0xffff, v46
	v_exp_f32_e32 v92, v92
	v_mul_u32_u24_e32 v45, 0x10001, v45
	v_mul_u32_u24_e32 v94, 0x10001, v94
	v_lshrrev_b32_e32 v96, 16, v47
	v_mul_u32_u24_e32 v46, 0x10001, v46
	v_mul_u32_u24_e32 v95, 0x10001, v95
	v_lshrrev_b32_e32 v98, 16, v40
	v_and_b32_e32 v40, 0xffff, v40
	v_ldexp_f32 v93, v93, v99
	v_mul_u32_u24_e32 v99, 0x10001, v100
	v_ldexp_f32 v92, v92, v97
	v_mul_u32_u24_e32 v96, 0x10001, v96
	v_mul_u32_u24_e32 v40, 0x10001, v40
	v_cndmask_b32_e64 v93, 0, v93, s9
	v_pk_mul_f16 v28, v28, v99
	v_cndmask_b32_e64 v92, 0, v92, s7
	v_mul_u32_u24_e32 v98, 0x10001, v98
	v_lshrrev_b32_e32 v102, 16, v42
	v_cndmask_b32_e64 v93, 0x7f800000, v93, s8
	v_and_b32_e32 v47, 0xffff, v47
	v_cndmask_b32_e64 v92, 0x7f800000, v92, s6
	v_and_b32_e32 v42, 0xffff, v42
	v_mul_u32_u24_e32 v41, 0x10001, v41
	v_cvt_f16_f32_e32 v103, v93
	v_fmac_f32_e32 v88, v86, v93
	v_cvt_f16_f32_e32 v100, v92
	v_mul_u32_u24_e32 v47, 0x10001, v47
	v_mul_u32_u24_e32 v101, 0x10001, v101
	v_and_b32_e32 v103, 0xffff, v103
	v_and_b32_e32 v97, 0xffff, v43
	;; [unrolled: 1-line block ×3, first 2 shown]
	v_mul_u32_u24_e32 v42, 0x10001, v42
	v_mul_u32_u24_e32 v102, 0x10001, v102
	;; [unrolled: 1-line block ×3, first 2 shown]
	v_lshrrev_b32_e32 v43, 16, v43
	v_mul_u32_u24_e32 v100, 0x10001, v100
	v_and_b32_e32 v104, 0xffff, v36
	v_lshrrev_b32_e32 v36, 16, v36
	v_pk_mul_f16 v65, v65, v103
	v_pk_fma_f16 v28, v71, v103, v28
	v_pk_mul_f16 v85, v85, v100
	v_pk_fma_f16 v81, v81, v100, v109
	v_mul_u32_u24_e32 v97, 0x10001, v97
	v_mul_u32_u24_e32 v43, 0x10001, v43
	v_pk_fma_f16 v28, v30, v94, v28
	v_pk_fma_f16 v44, v29, v44, v85
	v_pk_fma_f16 v29, v29, v99, v65
	v_pk_fma_f16 v65, v30, v45, v81
	v_and_b32_e32 v105, 0xffff, v37
	v_mul_u32_u24_e32 v104, 0x10001, v104
	v_pk_fma_f16 v30, v31, v45, v44
	v_pk_fma_f16 v29, v31, v94, v29
	;; [unrolled: 1-line block ×4, first 2 shown]
	v_mul_u32_u24_e32 v36, 0x10001, v36
	v_pk_fma_f16 v28, v25, v46, v30
	v_pk_fma_f16 v25, v25, v95, v29
	;; [unrolled: 1-line block ×4, first 2 shown]
	v_lshrrev_b32_e32 v37, 16, v37
	v_pk_fma_f16 v26, v27, v47, v28
	v_pk_fma_f16 v25, v27, v96, v25
	;; [unrolled: 1-line block ×4, first 2 shown]
	v_mul_u32_u24_e32 v105, 0x10001, v105
	v_pk_fma_f16 v26, v33, v40, v26
	v_pk_fma_f16 v25, v33, v98, v25
	;; [unrolled: 1-line block ×4, first 2 shown]
	v_and_b32_e32 v106, 0xffff, v38
	v_pk_fma_f16 v26, v35, v41, v26
	v_pk_fma_f16 v25, v35, v101, v25
	;; [unrolled: 1-line block ×4, first 2 shown]
	v_lshrrev_b32_e32 v38, 16, v38
	v_pk_fma_f16 v24, v21, v42, v26
	v_pk_fma_f16 v21, v21, v102, v25
	v_lshrrev_b32_e32 v26, 16, v2
	v_pk_fma_f16 v25, v22, v97, v27
	v_pk_fma_f16 v20, v22, v43, v20
	;; [unrolled: 1-line block ×3, first 2 shown]
	v_and_b32_e32 v2, 0xffff, v2
	v_pk_fma_f16 v21, v23, v43, v21
	v_mul_u32_u24_e32 v37, 0x10001, v37
	v_pk_fma_f16 v23, v16, v104, v25
	v_pk_fma_f16 v16, v16, v36, v20
	;; [unrolled: 1-line block ×3, first 2 shown]
	v_mul_u32_u24_e32 v22, 0x10001, v2
	v_pk_fma_f16 v2, v17, v36, v21
	v_and_b32_e32 v107, 0xffff, v39
	v_lshrrev_b32_e32 v39, 16, v39
	v_mul_u32_u24_e32 v106, 0x10001, v106
	v_mul_u32_u24_e32 v38, 0x10001, v38
	v_pk_fma_f16 v17, v18, v105, v23
	v_pk_fma_f16 v16, v18, v37, v16
	;; [unrolled: 1-line block ×4, first 2 shown]
	v_mul_u32_u24_e32 v107, 0x10001, v107
	v_mul_u32_u24_e32 v39, 0x10001, v39
	v_lshrrev_b32_e32 v108, 16, v0
	v_and_b32_e32 v0, 0xffff, v0
	v_pk_fma_f16 v17, v12, v106, v17
	v_pk_fma_f16 v12, v12, v38, v16
	;; [unrolled: 1-line block ×4, first 2 shown]
	v_mul_u32_u24_e32 v0, 0x10001, v0
	v_mul_u32_u24_e32 v44, 0x10001, v108
	v_lshrrev_b32_e32 v30, 16, v1
	v_and_b32_e32 v1, 0xffff, v1
	v_pk_fma_f16 v13, v14, v107, v17
	v_pk_fma_f16 v12, v14, v39, v12
	;; [unrolled: 1-line block ×3, first 2 shown]
	s_wait_loadcnt_dscnt 0x0
	s_barrier_signal -1
	s_barrier_wait -1
	global_inv scope:SCOPE_SE
	ds_load_b128 v[16:19], v78 offset:64
	v_pk_fma_f16 v2, v15, v39, v2
	v_mul_u32_u24_e32 v1, 0x10001, v1
	v_mul_u32_u24_e32 v28, 0x10001, v30
	v_lshrrev_b32_e32 v21, 16, v3
	v_and_b32_e32 v3, 0xffff, v3
	v_pk_fma_f16 v13, v8, v0, v13
	v_pk_fma_f16 v8, v8, v44, v12
	;; [unrolled: 1-line block ×4, first 2 shown]
	v_mul_u32_u24_e32 v12, 0x10001, v3
	v_pk_fma_f16 v9, v10, v1, v13
	v_pk_fma_f16 v8, v10, v28, v8
	;; [unrolled: 1-line block ×4, first 2 shown]
	ds_load_2addr_b64 v[0:3], v63 offset1:24
	v_mul_u32_u24_e32 v20, 0x10001, v26
	v_pk_fma_f16 v9, v4, v22, v9
	v_mul_u32_u24_e32 v13, 0x10001, v21
	v_pk_fma_f16 v14, v5, v22, v10
	v_fmac_f32_e32 v89, v87, v92
	v_pk_fma_f16 v4, v4, v20, v8
	v_pk_fma_f16 v5, v5, v20, v11
	;; [unrolled: 1-line block ×3, first 2 shown]
	ds_load_b128 v[8:11], v78 offset:80
	s_wait_dscnt 0x2
	v_and_b32_e32 v15, 0xffff, v16
	v_lshrrev_b32_e32 v16, 16, v16
	v_pk_fma_f16 v25, v6, v13, v4
	v_pk_fma_f16 v26, v7, v12, v14
	;; [unrolled: 1-line block ×3, first 2 shown]
	v_mul_u32_u24_e32 v28, 0x10001, v15
	v_mul_u32_u24_e32 v16, 0x10001, v16
	v_and_b32_e32 v29, 0xffff, v17
	v_lshrrev_b32_e32 v17, 16, v17
	ds_load_2addr_b64 v[4:7], v63 offset0:48 offset1:72
	ds_load_b128 v[12:15], v78 offset:96
	ds_load_b128 v[20:23], v78 offset:112
	s_wait_dscnt 0x4
	v_pk_fma_f16 v24, v0, v28, v24
	v_pk_fma_f16 v0, v0, v16, v25
	v_mul_u32_u24_e32 v29, 0x10001, v29
	v_pk_fma_f16 v25, v1, v28, v26
	v_mul_u32_u24_e32 v17, 0x10001, v17
	v_pk_fma_f16 v1, v1, v16, v27
	v_and_b32_e32 v27, 0xffff, v19
	v_pk_fma_f16 v16, v2, v29, v24
	v_and_b32_e32 v24, 0xffff, v18
	v_lshrrev_b32_e32 v18, 16, v18
	v_pk_fma_f16 v26, v2, v17, v0
	v_pk_fma_f16 v25, v3, v29, v25
	;; [unrolled: 1-line block ×3, first 2 shown]
	ds_load_2addr_b64 v[0:3], v63 offset0:96 offset1:120
	v_mul_u32_u24_e32 v24, 0x10001, v24
	v_mul_u32_u24_e32 v18, 0x10001, v18
	v_lshrrev_b32_e32 v19, 16, v19
	s_wait_dscnt 0x3
	s_delay_alu instid0(VALU_DEP_3) | instskip(NEXT) | instid1(VALU_DEP_3)
	v_pk_fma_f16 v16, v4, v24, v16
	v_pk_fma_f16 v4, v4, v18, v26
	;; [unrolled: 1-line block ×3, first 2 shown]
	v_mul_u32_u24_e32 v25, 0x10001, v27
	v_mul_u32_u24_e32 v26, 0x10001, v19
	v_pk_fma_f16 v5, v5, v18, v17
	v_and_b32_e32 v17, 0xffff, v8
	v_lshrrev_b32_e32 v8, 16, v8
	v_pk_fma_f16 v27, v6, v25, v16
	v_pk_fma_f16 v4, v6, v26, v4
	;; [unrolled: 1-line block ×3, first 2 shown]
	v_mul_u32_u24_e32 v24, 0x10001, v17
	v_mul_u32_u24_e32 v8, 0x10001, v8
	v_and_b32_e32 v25, 0xffff, v9
	ds_load_2addr_b64 v[16:19], v63 offset0:144 offset1:168
	v_pk_fma_f16 v5, v7, v26, v5
	v_lshrrev_b32_e32 v7, 16, v9
	s_wait_dscnt 0x1
	v_pk_fma_f16 v9, v0, v24, v27
	v_mul_u32_u24_e32 v25, 0x10001, v25
	v_pk_fma_f16 v0, v0, v8, v4
	v_pk_fma_f16 v4, v1, v24, v6
	v_mul_u32_u24_e32 v6, 0x10001, v7
	v_pk_fma_f16 v1, v1, v8, v5
	v_pk_fma_f16 v5, v2, v25, v9
	v_and_b32_e32 v7, 0xffff, v10
	v_lshrrev_b32_e32 v8, 16, v10
	v_pk_fma_f16 v9, v2, v6, v0
	v_pk_fma_f16 v4, v3, v25, v4
	;; [unrolled: 1-line block ×3, first 2 shown]
	ds_load_2addr_b64 v[0:3], v63 offset0:192 offset1:216
	v_mul_u32_u24_e32 v7, 0x10001, v7
	v_mul_u32_u24_e32 v8, 0x10001, v8
	v_and_b32_e32 v10, 0xffff, v11
	v_lshrrev_b32_e32 v11, 16, v11
	s_wait_dscnt 0x1
	v_pk_fma_f16 v5, v16, v7, v5
	v_pk_fma_f16 v9, v16, v8, v9
	v_pk_fma_f16 v4, v17, v7, v4
	v_mul_u32_u24_e32 v7, 0x10001, v10
	v_mul_u32_u24_e32 v10, 0x10001, v11
	v_pk_fma_f16 v8, v17, v8, v6
	v_and_b32_e32 v6, 0xffff, v12
	v_lshrrev_b32_e32 v11, 16, v12
	v_pk_fma_f16 v12, v18, v7, v5
	v_pk_fma_f16 v9, v18, v10, v9
	;; [unrolled: 1-line block ×3, first 2 shown]
	v_mul_u32_u24_e32 v17, 0x10001, v6
	v_mul_u32_u24_e32 v11, 0x10001, v11
	v_and_b32_e32 v18, 0xffff, v13
	ds_load_2addr_b64 v[4:7], v91 offset0:112 offset1:136
	v_pk_fma_f16 v8, v19, v10, v8
	v_lshrrev_b32_e32 v10, 16, v13
	s_wait_dscnt 0x1
	v_pk_fma_f16 v12, v0, v17, v12
	v_pk_fma_f16 v0, v0, v11, v9
	v_mul_u32_u24_e32 v9, 0x10001, v18
	v_pk_fma_f16 v13, v1, v17, v16
	v_mul_u32_u24_e32 v16, 0x10001, v10
	v_pk_fma_f16 v1, v1, v11, v8
	v_and_b32_e32 v8, 0xffff, v14
	v_pk_fma_f16 v12, v2, v9, v12
	v_lshrrev_b32_e32 v14, 16, v14
	v_pk_fma_f16 v0, v2, v16, v0
	v_pk_fma_f16 v2, v3, v9, v13
	v_mul_u32_u24_e32 v13, 0x10001, v8
	ds_load_2addr_b64 v[8:11], v90 offset0:32 offset1:56
	v_mul_u32_u24_e32 v14, 0x10001, v14
	v_pk_fma_f16 v1, v3, v16, v1
	v_and_b32_e32 v3, 0xffff, v15
	v_lshrrev_b32_e32 v15, 16, v15
	s_wait_dscnt 0x1
	v_pk_fma_f16 v12, v4, v13, v12
	v_pk_fma_f16 v0, v4, v14, v0
	;; [unrolled: 1-line block ×3, first 2 shown]
	v_mul_u32_u24_e32 v3, 0x10001, v3
	v_mul_u32_u24_e32 v4, 0x10001, v15
	v_lshrrev_b32_e32 v15, 16, v20
	v_and_b32_e32 v13, 0xffff, v20
	v_pk_fma_f16 v1, v5, v14, v1
	v_pk_fma_f16 v5, v6, v3, v12
	;; [unrolled: 1-line block ×3, first 2 shown]
	v_mul_u32_u24_e32 v12, 0x10001, v15
	v_mul_u32_u24_e32 v6, 0x10001, v13
	v_pk_fma_f16 v13, v7, v3, v2
	v_pk_fma_f16 v4, v7, v4, v1
	v_lshrrev_b32_e32 v14, 16, v21
	s_wait_dscnt 0x0
	v_pk_fma_f16 v7, v8, v12, v0
	ds_load_2addr_b64 v[0:3], v90 offset0:80 offset1:104
	s_wait_loadcnt_dscnt 0x0
	s_barrier_signal -1
	s_barrier_wait -1
	global_inv scope:SCOPE_SE
	s_load_b32 s6, s[38:39], 0x4
	v_pk_fma_f16 v5, v8, v6, v5
	v_and_b32_e32 v8, 0xffff, v21
	v_pk_fma_f16 v6, v9, v6, v13
	v_pk_fma_f16 v4, v9, v12, v4
	v_mul_u32_u24_e32 v9, 0x10001, v14
	v_and_b32_e32 v12, 0xffff, v22
	v_mul_u32_u24_e32 v8, 0x10001, v8
	v_lshrrev_b32_e32 v13, 16, v22
	s_delay_alu instid0(VALU_DEP_4) | instskip(SKIP_1) | instid1(VALU_DEP_4)
	v_pk_fma_f16 v7, v10, v9, v7
	v_pk_fma_f16 v4, v11, v9, v4
	;; [unrolled: 1-line block ×4, first 2 shown]
	v_mul_u32_u24_e32 v8, 0x10001, v12
	v_mul_u32_u24_e32 v10, 0x10001, v13
	v_and_b32_e32 v12, 0xffff, v23
	v_lshrrev_b32_e32 v13, 16, v23
	s_delay_alu instid0(VALU_DEP_4) | instskip(NEXT) | instid1(VALU_DEP_4)
	v_pk_fma_f16 v5, v0, v8, v5
	v_pk_fma_f16 v0, v0, v10, v7
	s_delay_alu instid0(VALU_DEP_4) | instskip(NEXT) | instid1(VALU_DEP_4)
	v_mul_u32_u24_e32 v7, 0x10001, v12
	v_mul_u32_u24_e32 v9, 0x10001, v13
	v_pk_fma_f16 v6, v1, v8, v6
	v_pk_fma_f16 v1, v1, v10, v4
	s_wait_kmcnt 0x0
	s_lshl_b32 s6, s6, 5
	v_pk_fma_f16 v81, v2, v7, v5
	v_pk_fma_f16 v71, v2, v9, v0
	;; [unrolled: 1-line block ×4, first 2 shown]
	s_wait_alu 0xfffe
	s_add_co_i32 s14, s6, s14
	s_wait_alu 0xfffe
	s_cmp_ge_i32 s14, s30
	s_cbranch_scc1 .LBB24_29
; %bb.28:                               ;   in Loop: Header=BB24_11 Depth=1
	v_dual_mov_b32 v0, v60 :: v_dual_mov_b32 v1, v61
	v_dual_mov_b32 v87, v89 :: v_dual_mov_b32 v86, v88
	s_branch .LBB24_11
.LBB24_29:
	v_mov_b32_e32 v2, v64
.LBB24_30:
	v_cmp_lt_i32_e32 vcc_lo, v72, v66
	s_cmp_lg_u64 s[12:13], 0
	s_cselect_b32 s3, -1, 0
	s_cmp_eq_u32 s31, 0
	s_wait_alu 0xfffd
	v_cndmask_b32_e32 v0, v2, v72, vcc_lo
	v_cmp_lt_i32_e32 vcc_lo, v70, v66
	s_cselect_b32 s4, -1, 0
	s_wait_alu 0xfffe
	s_and_b32 s3, s4, s3
	s_wait_alu 0xfffd
	v_cndmask_b32_e32 v3, v2, v70, vcc_lo
	v_cmp_lt_i32_e32 vcc_lo, v69, v66
	s_delay_alu instid0(VALU_DEP_2)
	v_lshlrev_b32_e32 v3, 2, v3
	v_lshlrev_b32_e32 v0, 2, v0
	ds_bpermute_b32 v1, v0, v89
	s_wait_dscnt 0x0
	v_add_f32_e32 v1, v89, v1
	ds_bpermute_b32 v0, v0, v88
	ds_bpermute_b32 v4, v3, v1
	s_wait_dscnt 0x1
	v_add_f32_e32 v0, v88, v0
	s_wait_dscnt 0x0
	v_add_f32_e32 v1, v1, v4
	ds_bpermute_b32 v3, v3, v0
	s_wait_alu 0xfffd
	v_cndmask_b32_e32 v5, v2, v69, vcc_lo
	v_cmp_lt_i32_e32 vcc_lo, v68, v66
	s_wait_dscnt 0x0
	s_delay_alu instid0(VALU_DEP_2)
	v_dual_add_f32 v0, v0, v3 :: v_dual_lshlrev_b32 v5, 2, v5
	ds_bpermute_b32 v4, v5, v0
	s_wait_dscnt 0x0
	v_add_f32_e32 v0, v0, v4
	ds_bpermute_b32 v3, v5, v1
	s_wait_alu 0xfffd
	v_cndmask_b32_e32 v5, v2, v68, vcc_lo
	v_cmp_lt_i32_e32 vcc_lo, v67, v66
	s_wait_alu 0xfffd
	v_cndmask_b32_e32 v2, v2, v67, vcc_lo
	s_wait_alu 0xfffe
	s_and_b32 vcc_lo, exec_lo, s3
	s_delay_alu instid0(VALU_DEP_1)
	v_lshlrev_b32_e32 v2, 2, v2
	v_lshlrev_b32_e32 v5, 2, v5
	ds_bpermute_b32 v4, v5, v0
	s_wait_dscnt 0x1
	v_add_f32_e32 v1, v1, v3
	ds_bpermute_b32 v3, v5, v1
	s_wait_dscnt 0x0
	v_add_f32_e32 v1, v1, v3
	v_add_f32_e32 v3, v0, v4
	ds_bpermute_b32 v0, v2, v1
	ds_bpermute_b32 v2, v2, v3
	s_wait_dscnt 0x0
	v_dual_add_f32 v0, v1, v0 :: v_dual_add_f32 v1, v3, v2
	s_wait_alu 0xfffe
	s_cbranch_vccz .LBB24_33
; %bb.31:
	v_add_nc_u32_e32 v2, s11, v62
	s_delay_alu instid0(VALU_DEP_1) | instskip(NEXT) | instid1(VALU_DEP_1)
	v_ashrrev_i32_e32 v3, 31, v2
	v_lshlrev_b64_e32 v[2:3], 2, v[2:3]
	s_delay_alu instid0(VALU_DEP_1) | instskip(SKIP_1) | instid1(VALU_DEP_2)
	v_add_co_u32 v2, vcc_lo, s12, v2
	s_wait_alu 0xfffd
	v_add_co_ci_u32_e64 v3, null, s13, v3, vcc_lo
	global_load_b64 v[2:3], v[2:3], off
	s_wait_loadcnt 0x0
	v_dual_max_num_f32 v4, v60, v60 :: v_dual_max_num_f32 v5, v2, v2
	s_delay_alu instid0(VALU_DEP_1) | instskip(NEXT) | instid1(VALU_DEP_1)
	v_dual_max_num_f32 v7, v3, v3 :: v_dual_max_num_f32 v4, v4, v5
	v_sub_f32_e32 v2, v2, v4
	s_delay_alu instid0(VALU_DEP_1) | instskip(NEXT) | instid1(VALU_DEP_1)
	v_dual_max_num_f32 v6, v61, v61 :: v_dual_mul_f32 v9, 0x3fb8aa3b, v2
	v_dual_max_num_f32 v5, v6, v7 :: v_dual_sub_f32 v6, v60, v4
	s_delay_alu instid0(VALU_DEP_2) | instskip(NEXT) | instid1(VALU_DEP_2)
	v_rndne_f32_e32 v17, v9
	v_sub_f32_e32 v7, v61, v5
	s_delay_alu instid0(VALU_DEP_3) | instskip(SKIP_1) | instid1(VALU_DEP_3)
	v_dual_sub_f32 v3, v3, v5 :: v_dual_mul_f32 v8, 0x3fb8aa3b, v6
	v_fma_f32 v14, 0x3fb8aa3b, v2, -v9
	v_dual_sub_f32 v9, v9, v17 :: v_dual_mul_f32 v10, 0x3fb8aa3b, v7
	s_delay_alu instid0(VALU_DEP_3) | instskip(NEXT) | instid1(VALU_DEP_4)
	v_mul_f32_e32 v11, 0x3fb8aa3b, v3
	v_fma_f32 v12, 0x3fb8aa3b, v6, -v8
	v_rndne_f32_e32 v13, v8
	v_fmac_f32_e32 v14, 0x32a5705f, v2
	v_fma_f32 v15, 0x3fb8aa3b, v7, -v10
	v_rndne_f32_e32 v16, v10
	v_fmac_f32_e32 v12, 0x32a5705f, v6
	v_fma_f32 v18, 0x3fb8aa3b, v3, -v11
	v_rndne_f32_e32 v19, v11
	v_dual_sub_f32 v8, v8, v13 :: v_dual_fmac_f32 v15, 0x32a5705f, v7
	v_dual_sub_f32 v10, v10, v16 :: v_dual_add_f32 v9, v9, v14
	s_delay_alu instid0(VALU_DEP_4) | instskip(NEXT) | instid1(VALU_DEP_3)
	v_dual_fmac_f32 v18, 0x32a5705f, v3 :: v_dual_mov_b32 v61, v5
	v_dual_sub_f32 v11, v11, v19 :: v_dual_add_f32 v8, v8, v12
	s_delay_alu instid0(VALU_DEP_3) | instskip(SKIP_2) | instid1(VALU_DEP_4)
	v_add_f32_e32 v10, v10, v15
	v_cvt_i32_f32_e32 v12, v13
	v_cvt_i32_f32_e32 v13, v16
	v_add_f32_e32 v11, v11, v18
	v_exp_f32_e32 v8, v8
	v_exp_f32_e32 v10, v10
	v_cmp_ngt_f32_e32 vcc_lo, 0xc2ce8ed0, v6
	v_exp_f32_e32 v9, v9
	v_cvt_i32_f32_e32 v14, v17
	v_exp_f32_e32 v11, v11
	v_mov_b32_e32 v60, v4
	v_ldexp_f32 v8, v8, v12
	s_delay_alu instid0(TRANS32_DEP_3) | instskip(SKIP_1) | instid1(TRANS32_DEP_2)
	v_ldexp_f32 v10, v10, v13
	v_cvt_i32_f32_e32 v12, v19
	v_ldexp_f32 v9, v9, v14
	s_wait_alu 0xfffd
	v_cndmask_b32_e32 v8, 0, v8, vcc_lo
	v_cmp_ngt_f32_e32 vcc_lo, 0xc2ce8ed0, v7
	s_wait_alu 0xfffd
	v_cndmask_b32_e32 v10, 0, v10, vcc_lo
	v_cmp_nlt_f32_e32 vcc_lo, 0x42b17218, v6
	s_wait_alu 0xfffd
	v_cndmask_b32_e32 v6, 0x7f800000, v8, vcc_lo
	v_cmp_nlt_f32_e32 vcc_lo, 0x42b17218, v7
	v_ldexp_f32 v8, v11, v12
	s_wait_alu 0xfffd
	v_cndmask_b32_e32 v7, 0x7f800000, v10, vcc_lo
	v_cmp_ngt_f32_e32 vcc_lo, 0xc2ce8ed0, v2
	s_delay_alu instid0(VALU_DEP_2)
	v_cvt_f16_f32_e32 v11, v7
	s_wait_alu 0xfffd
	v_cndmask_b32_e32 v9, 0, v9, vcc_lo
	v_cmp_ngt_f32_e32 vcc_lo, 0xc2ce8ed0, v3
	s_wait_alu 0xfffd
	v_cndmask_b32_e32 v8, 0, v8, vcc_lo
	v_cmp_nlt_f32_e32 vcc_lo, 0x42b17218, v2
	s_wait_alu 0xfffd
	v_cndmask_b32_e32 v2, 0x7f800000, v9, vcc_lo
	v_cmp_nlt_f32_e32 vcc_lo, 0x42b17218, v3
	s_wait_alu 0xfffd
	v_cndmask_b32_e32 v3, 0x7f800000, v8, vcc_lo
	s_delay_alu instid0(VALU_DEP_1) | instskip(NEXT) | instid1(VALU_DEP_1)
	v_fmac_f32_e32 v3, v1, v7
	v_mov_b32_e32 v1, v3
	v_cvt_f16_f32_e32 v10, v6
	v_fmac_f32_e32 v2, v0, v6
	s_delay_alu instid0(VALU_DEP_2) | instskip(SKIP_1) | instid1(VALU_DEP_3)
	v_and_b32_e32 v9, 0xffff, v10
	v_and_b32_e32 v10, 0xffff, v11
	v_mov_b32_e32 v0, v2
	s_delay_alu instid0(VALU_DEP_3) | instskip(NEXT) | instid1(VALU_DEP_3)
	v_mul_u32_u24_e32 v6, 0x10001, v9
	v_mul_u32_u24_e32 v4, 0x10001, v10
	s_delay_alu instid0(VALU_DEP_2) | instskip(SKIP_1) | instid1(VALU_DEP_3)
	v_pk_mul_f16 v81, v81, v6
	v_pk_mul_f16 v85, v85, v6
	;; [unrolled: 1-line block ×4, first 2 shown]
	s_mov_b32 s3, exec_lo
	v_cmpx_gt_i32_e64 s22, v50
	s_cbranch_execnz .LBB24_34
.LBB24_32:
	s_nop 0
	s_sendmsg sendmsg(MSG_DEALLOC_VGPRS)
	s_endpgm
.LBB24_33:
	s_delay_alu instid0(VALU_DEP_1)
	v_dual_mov_b32 v3, v1 :: v_dual_mov_b32 v2, v0
	s_mov_b32 s3, exec_lo
	v_cmpx_gt_i32_e64 s22, v50
	s_cbranch_execz .LBB24_32
.LBB24_34:
	s_load_b32 s0, s[0:1], 0xd4
	v_mov_b32_e32 v5, 1.0
	s_wait_kmcnt 0x0
	s_cmp_lg_u32 s0, 1
	s_cselect_b32 s3, -1, 0
	s_cmp_eq_u32 s0, 1
	s_cselect_b32 s1, -1, 0
	s_wait_alu 0xfffe
	s_and_b32 vcc_lo, exec_lo, s3
	s_wait_alu 0xfffe
	s_cbranch_vccnz .LBB24_36
; %bb.35:
	v_div_scale_f32 v4, null, v0, v0, 1.0
	s_delay_alu instid0(VALU_DEP_1) | instskip(NEXT) | instid1(TRANS32_DEP_1)
	v_rcp_f32_e32 v5, v4
	v_fma_f32 v6, -v4, v5, 1.0
	s_delay_alu instid0(VALU_DEP_1) | instskip(SKIP_1) | instid1(VALU_DEP_1)
	v_fmac_f32_e32 v5, v6, v5
	v_div_scale_f32 v6, vcc_lo, 1.0, v0, 1.0
	v_mul_f32_e32 v7, v6, v5
	s_delay_alu instid0(VALU_DEP_1) | instskip(NEXT) | instid1(VALU_DEP_1)
	v_fma_f32 v8, -v4, v7, v6
	v_fmac_f32_e32 v7, v8, v5
	s_delay_alu instid0(VALU_DEP_1) | instskip(SKIP_1) | instid1(VALU_DEP_1)
	v_fma_f32 v4, -v4, v7, v6
	s_wait_alu 0xfffd
	v_div_fmas_f32 v4, v4, v5, v7
	s_delay_alu instid0(VALU_DEP_1)
	v_div_fixup_f32 v5, v4, v0, 1.0
.LBB24_36:
	v_mad_co_u64_u32 v[6:7], null, s28, s22, v[50:51]
	s_delay_alu instid0(VALU_DEP_1) | instskip(NEXT) | instid1(VALU_DEP_1)
	v_mul_lo_u32 v0, v6, s23
	v_add3_u32 v0, s11, v62, v0
	s_delay_alu instid0(VALU_DEP_1) | instskip(NEXT) | instid1(VALU_DEP_1)
	v_mul_lo_u32 v0, s0, v0
	v_add_nc_u32_e32 v4, s31, v0
	s_and_saveexec_b32 s4, s2
	s_cbranch_execz .LBB24_38
; %bb.37:
	v_lshrrev_b32_e32 v8, 16, v85
	s_delay_alu instid0(VALU_DEP_2) | instskip(SKIP_2) | instid1(VALU_DEP_4)
	v_mad_co_u64_u32 v[6:7], null, 0x60, v4, v[48:49]
	v_lshrrev_b32_e32 v9, 16, v81
	v_cvt_f32_f16_e32 v11, v85
	v_cvt_f32_f16_e32 v8, v8
	v_mov_b32_e32 v7, 0
	v_cvt_f32_f16_e32 v12, v81
	v_cvt_f32_f16_e32 v13, v9
	s_delay_alu instid0(VALU_DEP_4) | instskip(NEXT) | instid1(VALU_DEP_4)
	v_mul_f32_e32 v8, v5, v8
	v_lshlrev_b64_e32 v[6:7], 2, v[6:7]
	s_delay_alu instid0(VALU_DEP_1) | instskip(SKIP_1) | instid1(VALU_DEP_2)
	v_add_co_u32 v9, vcc_lo, s16, v6
	s_wait_alu 0xfffd
	v_add_co_ci_u32_e64 v10, null, s17, v7, vcc_lo
	v_mul_f32_e32 v7, v5, v11
	v_mul_f32_e32 v6, v5, v13
	;; [unrolled: 1-line block ×3, first 2 shown]
	global_store_b128 v[9:10], v[5:8], off
.LBB24_38:
	s_wait_alu 0xfffe
	s_or_b32 exec_lo, exec_lo, s4
	v_cmp_eq_u32_e32 vcc_lo, 0, v49
	s_and_b32 s3, vcc_lo, s3
	s_wait_alu 0xfffe
	s_and_saveexec_b32 s4, s3
	s_cbranch_execnz .LBB24_42
; %bb.39:
	s_wait_alu 0xfffe
	s_or_b32 exec_lo, exec_lo, s4
	v_mov_b32_e32 v2, 1.0
	s_and_not1_b32 vcc_lo, exec_lo, s1
	s_wait_alu 0xfffe
	s_cbranch_vccz .LBB24_43
.LBB24_40:
	v_add3_u32 v0, s31, s0, v0
	s_and_saveexec_b32 s0, s2
	s_cbranch_execnz .LBB24_44
.LBB24_41:
	s_wait_alu 0xfffe
	s_or_b32 exec_lo, exec_lo, s0
	s_delay_alu instid0(SALU_CYCLE_1)
	s_and_b32 exec_lo, exec_lo, s3
	s_cbranch_execz .LBB24_32
	s_branch .LBB24_45
.LBB24_42:
	v_ashrrev_i32_e32 v5, 31, v4
	v_dual_mov_b32 v6, v60 :: v_dual_mov_b32 v7, v2
	s_delay_alu instid0(VALU_DEP_2) | instskip(NEXT) | instid1(VALU_DEP_1)
	v_lshlrev_b64_e32 v[4:5], 3, v[4:5]
	v_add_co_u32 v4, vcc_lo, s18, v4
	s_wait_alu 0xfffd
	s_delay_alu instid0(VALU_DEP_2)
	v_add_co_ci_u32_e64 v5, null, s19, v5, vcc_lo
	global_store_b64 v[4:5], v[6:7], off
	s_wait_alu 0xfffe
	s_or_b32 exec_lo, exec_lo, s4
	v_mov_b32_e32 v2, 1.0
	s_and_not1_b32 vcc_lo, exec_lo, s1
	s_wait_alu 0xfffe
	s_cbranch_vccnz .LBB24_40
.LBB24_43:
	v_div_scale_f32 v2, null, v1, v1, 1.0
	s_delay_alu instid0(VALU_DEP_1) | instskip(NEXT) | instid1(TRANS32_DEP_1)
	v_rcp_f32_e32 v4, v2
	v_fma_f32 v5, -v2, v4, 1.0
	s_delay_alu instid0(VALU_DEP_1) | instskip(SKIP_1) | instid1(VALU_DEP_1)
	v_fmac_f32_e32 v4, v5, v4
	v_div_scale_f32 v5, vcc_lo, 1.0, v1, 1.0
	v_mul_f32_e32 v6, v5, v4
	s_delay_alu instid0(VALU_DEP_1) | instskip(NEXT) | instid1(VALU_DEP_1)
	v_fma_f32 v7, -v2, v6, v5
	v_fmac_f32_e32 v6, v7, v4
	s_delay_alu instid0(VALU_DEP_1) | instskip(SKIP_1) | instid1(VALU_DEP_1)
	v_fma_f32 v2, -v2, v6, v5
	s_wait_alu 0xfffd
	v_div_fmas_f32 v2, v2, v4, v6
	s_delay_alu instid0(VALU_DEP_1)
	v_div_fixup_f32 v2, v2, v1, 1.0
	v_add3_u32 v0, s31, s0, v0
	s_and_saveexec_b32 s0, s2
	s_cbranch_execz .LBB24_41
.LBB24_44:
	s_delay_alu instid0(VALU_DEP_1)
	v_mad_co_u64_u32 v[4:5], null, 0x60, v0, v[48:49]
	v_lshrrev_b32_e32 v6, 16, v71
	v_cvt_f32_f16_e32 v10, v65
	v_mov_b32_e32 v5, 0
	v_lshrrev_b32_e32 v1, 16, v65
	v_cvt_f32_f16_e32 v11, v71
	v_cvt_f32_f16_e32 v12, v6
	v_mul_f32_e32 v6, v2, v10
	v_lshlrev_b64_e32 v[4:5], 2, v[4:5]
	v_cvt_f32_f16_e32 v1, v1
	s_delay_alu instid0(VALU_DEP_1) | instskip(NEXT) | instid1(VALU_DEP_3)
	v_mul_f32_e32 v7, v2, v1
	v_add_co_u32 v8, vcc_lo, s16, v4
	s_wait_alu 0xfffd
	s_delay_alu instid0(VALU_DEP_4)
	v_add_co_ci_u32_e64 v9, null, s17, v5, vcc_lo
	v_mul_f32_e32 v5, v2, v12
	v_mul_f32_e32 v4, v2, v11
	global_store_b128 v[8:9], v[4:7], off
	s_wait_alu 0xfffe
	s_or_b32 exec_lo, exec_lo, s0
	s_delay_alu instid0(SALU_CYCLE_1)
	s_and_b32 exec_lo, exec_lo, s3
	s_cbranch_execz .LBB24_32
.LBB24_45:
	v_ashrrev_i32_e32 v1, 31, v0
	v_mov_b32_e32 v2, v61
	s_delay_alu instid0(VALU_DEP_2) | instskip(NEXT) | instid1(VALU_DEP_1)
	v_lshlrev_b64_e32 v[0:1], 3, v[0:1]
	v_add_co_u32 v0, vcc_lo, s18, v0
	s_wait_alu 0xfffd
	s_delay_alu instid0(VALU_DEP_2)
	v_add_co_ci_u32_e64 v1, null, s19, v1, vcc_lo
	global_store_b64 v[0:1], v[2:3], off
	s_nop 0
	s_sendmsg sendmsg(MSG_DEALLOC_VGPRS)
	s_endpgm
	.section	.rodata,"a",@progbits
	.p2align	6, 0x0
	.amdhsa_kernel _ZL15flash_attn_tileILi96ELi96ELi4ELi4ELb0EEvPKcS1_S1_S1_S1_PKiPfP15HIP_vector_typeIfLj2EEffffjfiS5_IjLj3EEiiiiiiiiiiiliiliiiiil
		.amdhsa_group_segment_fixed_size 7808
		.amdhsa_private_segment_fixed_size 0
		.amdhsa_kernarg_size 464
		.amdhsa_user_sgpr_count 2
		.amdhsa_user_sgpr_dispatch_ptr 0
		.amdhsa_user_sgpr_queue_ptr 0
		.amdhsa_user_sgpr_kernarg_segment_ptr 1
		.amdhsa_user_sgpr_dispatch_id 0
		.amdhsa_user_sgpr_private_segment_size 0
		.amdhsa_wavefront_size32 1
		.amdhsa_uses_dynamic_stack 0
		.amdhsa_enable_private_segment 0
		.amdhsa_system_sgpr_workgroup_id_x 1
		.amdhsa_system_sgpr_workgroup_id_y 1
		.amdhsa_system_sgpr_workgroup_id_z 1
		.amdhsa_system_sgpr_workgroup_info 0
		.amdhsa_system_vgpr_workitem_id 1
		.amdhsa_next_free_vgpr 110
		.amdhsa_next_free_sgpr 42
		.amdhsa_reserve_vcc 1
		.amdhsa_float_round_mode_32 0
		.amdhsa_float_round_mode_16_64 0
		.amdhsa_float_denorm_mode_32 3
		.amdhsa_float_denorm_mode_16_64 3
		.amdhsa_fp16_overflow 0
		.amdhsa_workgroup_processor_mode 1
		.amdhsa_memory_ordered 1
		.amdhsa_forward_progress 1
		.amdhsa_inst_pref_size 65
		.amdhsa_round_robin_scheduling 0
		.amdhsa_exception_fp_ieee_invalid_op 0
		.amdhsa_exception_fp_denorm_src 0
		.amdhsa_exception_fp_ieee_div_zero 0
		.amdhsa_exception_fp_ieee_overflow 0
		.amdhsa_exception_fp_ieee_underflow 0
		.amdhsa_exception_fp_ieee_inexact 0
		.amdhsa_exception_int_div_zero 0
	.end_amdhsa_kernel
	.section	.text._ZL15flash_attn_tileILi96ELi96ELi4ELi4ELb0EEvPKcS1_S1_S1_S1_PKiPfP15HIP_vector_typeIfLj2EEffffjfiS5_IjLj3EEiiiiiiiiiiiliiliiiiil,"axG",@progbits,_ZL15flash_attn_tileILi96ELi96ELi4ELi4ELb0EEvPKcS1_S1_S1_S1_PKiPfP15HIP_vector_typeIfLj2EEffffjfiS5_IjLj3EEiiiiiiiiiiiliiliiiiil,comdat
.Lfunc_end24:
	.size	_ZL15flash_attn_tileILi96ELi96ELi4ELi4ELb0EEvPKcS1_S1_S1_S1_PKiPfP15HIP_vector_typeIfLj2EEffffjfiS5_IjLj3EEiiiiiiiiiiiliiliiiiil, .Lfunc_end24-_ZL15flash_attn_tileILi96ELi96ELi4ELi4ELb0EEvPKcS1_S1_S1_S1_PKiPfP15HIP_vector_typeIfLj2EEffffjfiS5_IjLj3EEiiiiiiiiiiiliiliiiiil
                                        ; -- End function
	.set _ZL15flash_attn_tileILi96ELi96ELi4ELi4ELb0EEvPKcS1_S1_S1_S1_PKiPfP15HIP_vector_typeIfLj2EEffffjfiS5_IjLj3EEiiiiiiiiiiiliiliiiiil.num_vgpr, 110
	.set _ZL15flash_attn_tileILi96ELi96ELi4ELi4ELb0EEvPKcS1_S1_S1_S1_PKiPfP15HIP_vector_typeIfLj2EEffffjfiS5_IjLj3EEiiiiiiiiiiiliiliiiiil.num_agpr, 0
	.set _ZL15flash_attn_tileILi96ELi96ELi4ELi4ELb0EEvPKcS1_S1_S1_S1_PKiPfP15HIP_vector_typeIfLj2EEffffjfiS5_IjLj3EEiiiiiiiiiiiliiliiiiil.numbered_sgpr, 42
	.set _ZL15flash_attn_tileILi96ELi96ELi4ELi4ELb0EEvPKcS1_S1_S1_S1_PKiPfP15HIP_vector_typeIfLj2EEffffjfiS5_IjLj3EEiiiiiiiiiiiliiliiiiil.num_named_barrier, 0
	.set _ZL15flash_attn_tileILi96ELi96ELi4ELi4ELb0EEvPKcS1_S1_S1_S1_PKiPfP15HIP_vector_typeIfLj2EEffffjfiS5_IjLj3EEiiiiiiiiiiiliiliiiiil.private_seg_size, 0
	.set _ZL15flash_attn_tileILi96ELi96ELi4ELi4ELb0EEvPKcS1_S1_S1_S1_PKiPfP15HIP_vector_typeIfLj2EEffffjfiS5_IjLj3EEiiiiiiiiiiiliiliiiiil.uses_vcc, 1
	.set _ZL15flash_attn_tileILi96ELi96ELi4ELi4ELb0EEvPKcS1_S1_S1_S1_PKiPfP15HIP_vector_typeIfLj2EEffffjfiS5_IjLj3EEiiiiiiiiiiiliiliiiiil.uses_flat_scratch, 0
	.set _ZL15flash_attn_tileILi96ELi96ELi4ELi4ELb0EEvPKcS1_S1_S1_S1_PKiPfP15HIP_vector_typeIfLj2EEffffjfiS5_IjLj3EEiiiiiiiiiiiliiliiiiil.has_dyn_sized_stack, 0
	.set _ZL15flash_attn_tileILi96ELi96ELi4ELi4ELb0EEvPKcS1_S1_S1_S1_PKiPfP15HIP_vector_typeIfLj2EEffffjfiS5_IjLj3EEiiiiiiiiiiiliiliiiiil.has_recursion, 0
	.set _ZL15flash_attn_tileILi96ELi96ELi4ELi4ELb0EEvPKcS1_S1_S1_S1_PKiPfP15HIP_vector_typeIfLj2EEffffjfiS5_IjLj3EEiiiiiiiiiiiliiliiiiil.has_indirect_call, 0
	.section	.AMDGPU.csdata,"",@progbits
; Kernel info:
; codeLenInByte = 8292
; TotalNumSgprs: 44
; NumVgprs: 110
; ScratchSize: 0
; MemoryBound: 0
; FloatMode: 240
; IeeeMode: 1
; LDSByteSize: 7808 bytes/workgroup (compile time only)
; SGPRBlocks: 0
; VGPRBlocks: 13
; NumSGPRsForWavesPerEU: 44
; NumVGPRsForWavesPerEU: 110
; Occupancy: 12
; WaveLimiterHint : 1
; COMPUTE_PGM_RSRC2:SCRATCH_EN: 0
; COMPUTE_PGM_RSRC2:USER_SGPR: 2
; COMPUTE_PGM_RSRC2:TRAP_HANDLER: 0
; COMPUTE_PGM_RSRC2:TGID_X_EN: 1
; COMPUTE_PGM_RSRC2:TGID_Y_EN: 1
; COMPUTE_PGM_RSRC2:TGID_Z_EN: 1
; COMPUTE_PGM_RSRC2:TIDIG_COMP_CNT: 1
	.section	.text._ZL33flash_attn_stream_k_fixup_uniformILi96ELi4ELi4EEvPfPK15HIP_vector_typeIfLj2EEiiiiiiS1_IjLj3EES5_S5_,"axG",@progbits,_ZL33flash_attn_stream_k_fixup_uniformILi96ELi4ELi4EEvPfPK15HIP_vector_typeIfLj2EEiiiiiiS1_IjLj3EES5_S5_,comdat
	.globl	_ZL33flash_attn_stream_k_fixup_uniformILi96ELi4ELi4EEvPfPK15HIP_vector_typeIfLj2EEiiiiiiS1_IjLj3EES5_S5_ ; -- Begin function _ZL33flash_attn_stream_k_fixup_uniformILi96ELi4ELi4EEvPfPK15HIP_vector_typeIfLj2EEiiiiiiS1_IjLj3EES5_S5_
	.p2align	8
	.type	_ZL33flash_attn_stream_k_fixup_uniformILi96ELi4ELi4EEvPfPK15HIP_vector_typeIfLj2EEiiiiiiS1_IjLj3EES5_S5_,@function
_ZL33flash_attn_stream_k_fixup_uniformILi96ELi4ELi4EEvPfPK15HIP_vector_typeIfLj2EEiiiiiiS1_IjLj3EES5_S5_: ; @_ZL33flash_attn_stream_k_fixup_uniformILi96ELi4ELi4EEvPfPK15HIP_vector_typeIfLj2EEiiiiiiS1_IjLj3EES5_S5_
; %bb.0:
	s_clause 0x1
	s_load_b256 s[4:11], s[0:1], 0x1c
	s_load_b128 s[12:15], s[0:1], 0x3c
	s_wait_kmcnt 0x0
	s_mul_hi_u32 s2, s7, ttmp9
	s_delay_alu instid0(SALU_CYCLE_1) | instskip(NEXT) | instid1(SALU_CYCLE_1)
	s_add_co_i32 s2, ttmp9, s2
	s_lshr_b32 s2, s2, s8
	s_delay_alu instid0(SALU_CYCLE_1) | instskip(SKIP_2) | instid1(SALU_CYCLE_1)
	s_mul_i32 s3, s2, s9
	s_load_b64 s[8:9], s[0:1], 0x10
	s_sub_co_i32 s3, ttmp9, s3
	s_mul_hi_u32 s7, s3, s10
	s_delay_alu instid0(SALU_CYCLE_1) | instskip(NEXT) | instid1(SALU_CYCLE_1)
	s_add_co_i32 s7, s3, s7
	s_lshr_b32 s7, s7, s11
	s_lshr_b32 s11, ttmp7, 16
	s_mul_i32 s10, s7, s12
	s_delay_alu instid0(SALU_CYCLE_1) | instskip(NEXT) | instid1(SALU_CYCLE_1)
	s_sub_co_i32 s3, s3, s10
	s_mul_hi_u32 s10, s3, s13
	s_delay_alu instid0(SALU_CYCLE_1) | instskip(NEXT) | instid1(SALU_CYCLE_1)
	s_add_co_i32 s10, s3, s10
	s_lshr_b32 s13, s10, s14
	s_delay_alu instid0(SALU_CYCLE_1) | instskip(SKIP_4) | instid1(SALU_CYCLE_1)
	s_mul_i32 s10, s13, s15
	s_lshl_b32 s13, s13, 2
	s_sub_co_i32 s12, s3, s10
	s_and_b32 s10, ttmp7, 0xffff
	s_lshl_b32 s3, s12, 2
	s_add_co_i32 s3, s3, s10
	s_wait_kmcnt 0x0
	s_cmp_lt_i32 s3, s8
	s_cselect_b32 s3, -1, 0
	s_add_co_i32 s13, s13, s11
	s_delay_alu instid0(SALU_CYCLE_1) | instskip(SKIP_1) | instid1(SALU_CYCLE_1)
	s_cmp_lt_i32 s13, s5
	s_cselect_b32 s14, -1, 0
	s_and_b32 s3, s3, s14
	s_delay_alu instid0(SALU_CYCLE_1)
	s_and_not1_b32 vcc_lo, exec_lo, s3
	s_cbranch_vccnz .LBB25_6
; %bb.1:
	s_mul_i32 s8, s2, s8
	s_mul_i32 s7, s7, s5
	s_add_co_i32 s8, s8, s10
	s_add_co_i32 s5, s13, s7
	s_mul_i32 s8, s8, s9
	s_load_b128 s[0:3], s[0:1], 0x0
	s_mul_i32 s7, s9, s12
	s_add_co_i32 s5, s5, s8
	s_mulk_i32 s7, 0x180
	s_mulk_i32 s5, 0x60
	s_mul_i32 s8, s6, ttmp9
	v_add3_u32 v1, s5, s7, v0
	s_lshl_b32 s5, s10, 2
	s_add_co_i32 s9, s8, s6
	s_delay_alu instid0(SALU_CYCLE_1) | instskip(NEXT) | instid1(VALU_DEP_1)
	s_add_co_i32 s7, s9, -2
	v_ashrrev_i32_e32 v2, 31, v1
	s_delay_alu instid0(VALU_DEP_1) | instskip(SKIP_1) | instid1(VALU_DEP_1)
	v_lshlrev_b64_e32 v[1:2], 2, v[1:2]
	s_wait_kmcnt 0x0
	v_add_co_u32 v1, vcc_lo, s0, v1
	s_delay_alu instid0(VALU_DEP_1)
	v_add_co_ci_u32_e64 v2, null, s1, v2, vcc_lo
	s_wait_alu 0xfffe
	s_add_co_i32 s0, s5, s11
	s_lshl_b32 s1, s9, 4
	global_load_b32 v5, v[1:2], off
	s_wait_alu 0xfffe
	s_add_co_i32 s0, s0, s1
	s_wait_alu 0xfffe
	s_add_co_i32 s0, s0, -16
	s_wait_alu 0xfffe
	s_ashr_i32 s1, s0, 31
	s_wait_alu 0xfffe
	s_lshl_b64 s[0:1], s[0:1], 3
	s_cmp_lt_i32 s7, s8
	s_wait_alu 0xfffe
	s_add_nc_u64 s[0:1], s[2:3], s[0:1]
	s_load_b32 s12, s[0:1], 0x4
	s_cbranch_scc1 .LBB25_4
; %bb.2:
	s_load_b32 s0, s[0:1], 0x0
	s_add_co_i32 s1, ttmp9, 1
	s_mulk_i32 s10, 0x180
	s_wait_alu 0xfffe
	s_mul_i32 s1, s6, s1
	s_lshl_b32 s14, s4, 6
	s_wait_alu 0xfffe
	s_lshl_b32 s13, s1, 4
	s_mulk_i32 s1, 0x600
	s_add_co_i32 s13, s11, s13
	s_mulk_i32 s11, 0x60
	s_lshl_b32 s4, s4, 4
	s_add_co_i32 s10, s11, s10
	s_ashr_i32 s15, s14, 31
	s_wait_alu 0xfffe
	s_add_co_i32 s10, s10, s1
	s_add_co_i32 s1, s13, s4
	v_add3_u32 v3, s10, v0, 0xfffff400
	s_wait_kmcnt 0x0
	v_mov_b32_e32 v6, s12
	s_lshl_b64 s[6:7], s[14:15], 2
	s_wait_alu 0xfffe
	s_add_co_i32 s4, s1, s5
	s_add_nc_u64 s[6:7], s[2:3], s[6:7]
	s_add_co_i32 s1, s9, -1
	s_wait_alu 0xfffe
	s_sub_co_i32 s4, s4, 32
.LBB25_3:                               ; =>This Inner Loop Header: Depth=1
	v_ashrrev_i32_e32 v4, 31, v3
	s_wait_alu 0xfffe
	s_ashr_i32 s5, s4, 31
	v_mov_b32_e32 v10, v6
	s_wait_alu 0xfffe
	s_lshl_b64 s[10:11], s[4:5], 3
	s_wait_loadcnt 0x0
	v_mov_b32_e32 v9, v5
	v_lshlrev_b64_e32 v[7:8], 2, v[3:4]
	s_wait_alu 0xfffe
	s_add_nc_u64 s[10:11], s[2:3], s[10:11]
	v_max_num_f32_e64 v4, s0, s0
	s_load_b64 s[10:11], s[10:11], 0x0
	v_add_nc_u32_e32 v3, 0xfffffa00, v3
	v_add_co_u32 v7, vcc_lo, s6, v7
	s_wait_alu 0xfffd
	v_add_co_ci_u32_e64 v8, null, s7, v8, vcc_lo
	v_readfirstlane_b32 s5, v4
	global_load_b32 v0, v[7:8], off
	s_wait_kmcnt 0x0
	v_max_num_f32_e64 v4, s10, s10
	s_delay_alu instid0(VALU_DEP_1) | instskip(SKIP_2) | instid1(SALU_CYCLE_2)
	v_readfirstlane_b32 s9, v4
	s_max_num_f32 s5, s5, s9
	s_wait_alu 0xfffe
	s_sub_f32 s0, s0, s5
	s_sub_f32 s9, s10, s5
	s_wait_alu 0xfffe
	s_delay_alu instid0(SALU_CYCLE_1) | instskip(NEXT) | instid1(SALU_CYCLE_1)
	s_mul_f32 s10, s0, 0x3fb8aa3b
	s_mul_f32 s12, s9, 0x3fb8aa3b
	s_wait_alu 0xfffe
	s_delay_alu instid0(SALU_CYCLE_1)
	s_xor_b32 s13, s10, 0x80000000
	s_rndne_f32 s14, s10
	s_wait_alu 0xfffe
	s_fmamk_f32 s13, s0, 0x3fb8aa3b, s13
	s_cmp_nlt_f32 s0, 0xc2ce8ed0
	s_rndne_f32 s15, s12
	s_sub_f32 s10, s10, s14
	s_wait_alu 0xfffe
	s_fmamk_f32 s13, s0, 0x32a5705f, s13
	s_cvt_i32_f32 s14, s14
	s_cselect_b32 vcc_lo, -1, 0
	s_cmp_ngt_f32 s0, 0x42b17218
	s_wait_alu 0xfffe
	s_add_f32 s10, s10, s13
	s_sub_f32 s13, s12, s15
	s_wait_alu 0xfffe
	s_delay_alu instid0(SALU_CYCLE_1) | instskip(SKIP_1) | instid1(TRANS32_DEP_1)
	v_s_exp_f32 s10, s10
	s_wait_alu 0xf1ff
	v_ldexp_f32 v4, s10, s14
	s_cvt_i32_f32 s10, s15
	s_delay_alu instid0(VALU_DEP_1) | instskip(SKIP_3) | instid1(VALU_DEP_1)
	v_cndmask_b32_e32 v4, 0, v4, vcc_lo
	s_cselect_b32 vcc_lo, -1, 0
	s_cmp_ge_f32 s0, 0xc1a00000
	s_wait_alu 0xfffe
	v_cndmask_b32_e32 v4, 0x7f800000, v4, vcc_lo
	s_cselect_b32 vcc_lo, -1, 0
	s_xor_b32 s0, s12, 0x80000000
	s_cmp_nlt_f32 s9, 0xc2ce8ed0
	s_wait_alu 0xfffe
	s_fmamk_f32 s0, s9, 0x3fb8aa3b, s0
	s_wait_alu 0xfffe
	s_delay_alu instid0(SALU_CYCLE_2) | instskip(SKIP_1) | instid1(SALU_CYCLE_2)
	s_fmamk_f32 s0, s9, 0x32a5705f, s0
	s_wait_alu 0xfffe
	s_add_f32 s0, s13, s0
	s_wait_alu 0xfffe
	s_delay_alu instid0(SALU_CYCLE_2) | instskip(SKIP_1) | instid1(TRANS32_DEP_1)
	v_s_exp_f32 s0, s0
	s_wait_alu 0xf1ff
	v_ldexp_f32 v7, s0, s10
	s_cselect_b32 s0, -1, 0
	s_cmp_ngt_f32 s9, 0x42b17218
	s_wait_alu 0xfffe
	s_delay_alu instid0(VALU_DEP_1) | instskip(SKIP_3) | instid1(VALU_DEP_1)
	v_cndmask_b32_e64 v7, 0, v7, s0
	s_cselect_b32 s0, -1, 0
	s_cmp_ge_f32 s9, 0xc1a00000
	s_wait_alu 0xfffe
	v_cndmask_b32_e64 v7, 0x7f800000, v7, s0
	s_cselect_b32 s0, -1, 0
	s_add_co_i32 s1, s1, -1
	s_add_co_i32 s4, s4, -16
	s_wait_alu 0xfffe
	s_cmp_le_i32 s1, s8
	v_cndmask_b32_e64 v7, 0, v7, s0
	s_mov_b32 s0, s5
	s_wait_loadcnt 0x0
	s_delay_alu instid0(VALU_DEP_1) | instskip(NEXT) | instid1(VALU_DEP_1)
	v_dual_mul_f32 v5, v0, v7 :: v_dual_cndmask_b32 v4, 0, v4
	v_dual_mul_f32 v8, s11, v7 :: v_dual_fmac_f32 v5, v9, v4
	s_delay_alu instid0(VALU_DEP_1) | instskip(NEXT) | instid1(VALU_DEP_1)
	v_mov_b32_e32 v6, v8
	v_fmac_f32_e32 v6, v10, v4
	s_cbranch_scc0 .LBB25_3
	s_branch .LBB25_5
.LBB25_4:
	s_wait_kmcnt 0x0
	v_mov_b32_e32 v6, s12
.LBB25_5:
	s_wait_loadcnt 0x0
	s_delay_alu instid0(VALU_DEP_1) | instskip(NEXT) | instid1(VALU_DEP_1)
	v_div_scale_f32 v0, null, v6, v6, v5
	v_rcp_f32_e32 v3, v0
	s_delay_alu instid0(TRANS32_DEP_1) | instskip(NEXT) | instid1(VALU_DEP_1)
	v_fma_f32 v4, -v0, v3, 1.0
	v_fmac_f32_e32 v3, v4, v3
	v_div_scale_f32 v4, vcc_lo, v5, v6, v5
	s_delay_alu instid0(VALU_DEP_1) | instskip(NEXT) | instid1(VALU_DEP_1)
	v_mul_f32_e32 v7, v4, v3
	v_fma_f32 v8, -v0, v7, v4
	s_delay_alu instid0(VALU_DEP_1) | instskip(NEXT) | instid1(VALU_DEP_1)
	v_fmac_f32_e32 v7, v8, v3
	v_fma_f32 v0, -v0, v7, v4
	s_wait_alu 0xfffd
	s_delay_alu instid0(VALU_DEP_1) | instskip(NEXT) | instid1(VALU_DEP_1)
	v_div_fmas_f32 v0, v0, v3, v7
	v_div_fixup_f32 v0, v0, v6, v5
	global_store_b32 v[1:2], v0, off
.LBB25_6:
	s_endpgm
	.section	.rodata,"a",@progbits
	.p2align	6, 0x0
	.amdhsa_kernel _ZL33flash_attn_stream_k_fixup_uniformILi96ELi4ELi4EEvPfPK15HIP_vector_typeIfLj2EEiiiiiiS1_IjLj3EES5_S5_
		.amdhsa_group_segment_fixed_size 0
		.amdhsa_private_segment_fixed_size 0
		.amdhsa_kernarg_size 76
		.amdhsa_user_sgpr_count 2
		.amdhsa_user_sgpr_dispatch_ptr 0
		.amdhsa_user_sgpr_queue_ptr 0
		.amdhsa_user_sgpr_kernarg_segment_ptr 1
		.amdhsa_user_sgpr_dispatch_id 0
		.amdhsa_user_sgpr_private_segment_size 0
		.amdhsa_wavefront_size32 1
		.amdhsa_uses_dynamic_stack 0
		.amdhsa_enable_private_segment 0
		.amdhsa_system_sgpr_workgroup_id_x 1
		.amdhsa_system_sgpr_workgroup_id_y 1
		.amdhsa_system_sgpr_workgroup_id_z 1
		.amdhsa_system_sgpr_workgroup_info 0
		.amdhsa_system_vgpr_workitem_id 0
		.amdhsa_next_free_vgpr 11
		.amdhsa_next_free_sgpr 16
		.amdhsa_reserve_vcc 1
		.amdhsa_float_round_mode_32 0
		.amdhsa_float_round_mode_16_64 0
		.amdhsa_float_denorm_mode_32 3
		.amdhsa_float_denorm_mode_16_64 3
		.amdhsa_fp16_overflow 0
		.amdhsa_workgroup_processor_mode 1
		.amdhsa_memory_ordered 1
		.amdhsa_forward_progress 1
		.amdhsa_inst_pref_size 9
		.amdhsa_round_robin_scheduling 0
		.amdhsa_exception_fp_ieee_invalid_op 0
		.amdhsa_exception_fp_denorm_src 0
		.amdhsa_exception_fp_ieee_div_zero 0
		.amdhsa_exception_fp_ieee_overflow 0
		.amdhsa_exception_fp_ieee_underflow 0
		.amdhsa_exception_fp_ieee_inexact 0
		.amdhsa_exception_int_div_zero 0
	.end_amdhsa_kernel
	.section	.text._ZL33flash_attn_stream_k_fixup_uniformILi96ELi4ELi4EEvPfPK15HIP_vector_typeIfLj2EEiiiiiiS1_IjLj3EES5_S5_,"axG",@progbits,_ZL33flash_attn_stream_k_fixup_uniformILi96ELi4ELi4EEvPfPK15HIP_vector_typeIfLj2EEiiiiiiS1_IjLj3EES5_S5_,comdat
.Lfunc_end25:
	.size	_ZL33flash_attn_stream_k_fixup_uniformILi96ELi4ELi4EEvPfPK15HIP_vector_typeIfLj2EEiiiiiiS1_IjLj3EES5_S5_, .Lfunc_end25-_ZL33flash_attn_stream_k_fixup_uniformILi96ELi4ELi4EEvPfPK15HIP_vector_typeIfLj2EEiiiiiiS1_IjLj3EES5_S5_
                                        ; -- End function
	.set _ZL33flash_attn_stream_k_fixup_uniformILi96ELi4ELi4EEvPfPK15HIP_vector_typeIfLj2EEiiiiiiS1_IjLj3EES5_S5_.num_vgpr, 11
	.set _ZL33flash_attn_stream_k_fixup_uniformILi96ELi4ELi4EEvPfPK15HIP_vector_typeIfLj2EEiiiiiiS1_IjLj3EES5_S5_.num_agpr, 0
	.set _ZL33flash_attn_stream_k_fixup_uniformILi96ELi4ELi4EEvPfPK15HIP_vector_typeIfLj2EEiiiiiiS1_IjLj3EES5_S5_.numbered_sgpr, 16
	.set _ZL33flash_attn_stream_k_fixup_uniformILi96ELi4ELi4EEvPfPK15HIP_vector_typeIfLj2EEiiiiiiS1_IjLj3EES5_S5_.num_named_barrier, 0
	.set _ZL33flash_attn_stream_k_fixup_uniformILi96ELi4ELi4EEvPfPK15HIP_vector_typeIfLj2EEiiiiiiS1_IjLj3EES5_S5_.private_seg_size, 0
	.set _ZL33flash_attn_stream_k_fixup_uniformILi96ELi4ELi4EEvPfPK15HIP_vector_typeIfLj2EEiiiiiiS1_IjLj3EES5_S5_.uses_vcc, 1
	.set _ZL33flash_attn_stream_k_fixup_uniformILi96ELi4ELi4EEvPfPK15HIP_vector_typeIfLj2EEiiiiiiS1_IjLj3EES5_S5_.uses_flat_scratch, 0
	.set _ZL33flash_attn_stream_k_fixup_uniformILi96ELi4ELi4EEvPfPK15HIP_vector_typeIfLj2EEiiiiiiS1_IjLj3EES5_S5_.has_dyn_sized_stack, 0
	.set _ZL33flash_attn_stream_k_fixup_uniformILi96ELi4ELi4EEvPfPK15HIP_vector_typeIfLj2EEiiiiiiS1_IjLj3EES5_S5_.has_recursion, 0
	.set _ZL33flash_attn_stream_k_fixup_uniformILi96ELi4ELi4EEvPfPK15HIP_vector_typeIfLj2EEiiiiiiS1_IjLj3EES5_S5_.has_indirect_call, 0
	.section	.AMDGPU.csdata,"",@progbits
; Kernel info:
; codeLenInByte = 1148
; TotalNumSgprs: 18
; NumVgprs: 11
; ScratchSize: 0
; MemoryBound: 0
; FloatMode: 240
; IeeeMode: 1
; LDSByteSize: 0 bytes/workgroup (compile time only)
; SGPRBlocks: 0
; VGPRBlocks: 1
; NumSGPRsForWavesPerEU: 18
; NumVGPRsForWavesPerEU: 11
; Occupancy: 16
; WaveLimiterHint : 0
; COMPUTE_PGM_RSRC2:SCRATCH_EN: 0
; COMPUTE_PGM_RSRC2:USER_SGPR: 2
; COMPUTE_PGM_RSRC2:TRAP_HANDLER: 0
; COMPUTE_PGM_RSRC2:TGID_X_EN: 1
; COMPUTE_PGM_RSRC2:TGID_Y_EN: 1
; COMPUTE_PGM_RSRC2:TGID_Z_EN: 1
; COMPUTE_PGM_RSRC2:TIDIG_COMP_CNT: 0
	.section	.text._ZL33flash_attn_stream_k_fixup_generalILi96ELi4ELi4EEvPfPK15HIP_vector_typeIfLj2EEiiiiS1_IjLj3EES5_S5_S5_,"axG",@progbits,_ZL33flash_attn_stream_k_fixup_generalILi96ELi4ELi4EEvPfPK15HIP_vector_typeIfLj2EEiiiiS1_IjLj3EES5_S5_S5_,comdat
	.globl	_ZL33flash_attn_stream_k_fixup_generalILi96ELi4ELi4EEvPfPK15HIP_vector_typeIfLj2EEiiiiS1_IjLj3EES5_S5_S5_ ; -- Begin function _ZL33flash_attn_stream_k_fixup_generalILi96ELi4ELi4EEvPfPK15HIP_vector_typeIfLj2EEiiiiS1_IjLj3EES5_S5_S5_
	.p2align	8
	.type	_ZL33flash_attn_stream_k_fixup_generalILi96ELi4ELi4EEvPfPK15HIP_vector_typeIfLj2EEiiiiS1_IjLj3EES5_S5_S5_,@function
_ZL33flash_attn_stream_k_fixup_generalILi96ELi4ELi4EEvPfPK15HIP_vector_typeIfLj2EEiiiiS1_IjLj3EES5_S5_S5_: ; @_ZL33flash_attn_stream_k_fixup_generalILi96ELi4ELi4EEvPfPK15HIP_vector_typeIfLj2EEiiiiS1_IjLj3EES5_S5_S5_
; %bb.0:
	s_clause 0x1
	s_load_b128 s[4:7], s[0:1], 0x10
	s_load_b32 s16, s[0:1], 0x50
	s_mov_b32 s2, ttmp9
	s_ashr_i32 s3, ttmp9, 31
	s_mov_b32 s17, 0
	s_delay_alu instid0(SALU_CYCLE_1) | instskip(SKIP_3) | instid1(SALU_CYCLE_1)
	s_mov_b32 s8, s17
	s_wait_kmcnt 0x0
	s_ashr_i32 s19, s7, 31
	s_mov_b32 s18, s7
	s_mul_u64 s[2:3], s[18:19], s[2:3]
	s_delay_alu instid0(SALU_CYCLE_1) | instskip(NEXT) | instid1(SALU_CYCLE_1)
	s_mov_b32 s9, s3
	s_cmp_lg_u64 s[8:9], 0
	s_cbranch_scc0 .LBB26_21
; %bb.1:
	s_add_nc_u64 s[8:9], s[16:17], 0
	s_mov_b32 s15, s17
	s_xor_b64 s[8:9], s[8:9], 0
	s_mov_b32 s23, s17
	s_cvt_f32_u32 s7, s8
	s_cvt_f32_u32 s10, s9
	s_sub_nc_u64 s[12:13], 0, s[8:9]
	s_delay_alu instid0(SALU_CYCLE_2) | instskip(NEXT) | instid1(SALU_CYCLE_3)
	s_fmamk_f32 s7, s10, 0x4f800000, s7
	v_s_rcp_f32 s7, s7
	s_delay_alu instid0(TRANS32_DEP_1) | instskip(SKIP_1) | instid1(SALU_CYCLE_2)
	s_mul_f32 s7, s7, 0x5f7ffffc
	s_wait_alu 0xfffe
	s_mul_f32 s10, s7, 0x2f800000
	s_delay_alu instid0(SALU_CYCLE_3) | instskip(NEXT) | instid1(SALU_CYCLE_3)
	s_trunc_f32 s10, s10
	s_fmamk_f32 s7, s10, 0xcf800000, s7
	s_cvt_u32_f32 s11, s10
	s_wait_alu 0xfffe
	s_delay_alu instid0(SALU_CYCLE_1) | instskip(NEXT) | instid1(SALU_CYCLE_3)
	s_cvt_u32_f32 s10, s7
	s_mul_u64 s[20:21], s[12:13], s[10:11]
	s_delay_alu instid0(SALU_CYCLE_1)
	s_mul_hi_u32 s25, s10, s21
	s_mul_i32 s24, s10, s21
	s_mul_hi_u32 s14, s10, s20
	s_mul_i32 s22, s11, s20
	s_add_nc_u64 s[14:15], s[14:15], s[24:25]
	s_mul_hi_u32 s7, s11, s20
	s_mul_hi_u32 s26, s11, s21
	s_add_co_u32 s14, s14, s22
	s_wait_alu 0xfffe
	s_add_co_ci_u32 s22, s15, s7
	s_mul_i32 s20, s11, s21
	s_add_co_ci_u32 s21, s26, 0
	s_delay_alu instid0(SALU_CYCLE_1)
	s_add_nc_u64 s[14:15], s[22:23], s[20:21]
	s_mov_b32 s21, s17
	s_add_co_u32 s10, s10, s14
	s_cselect_b32 s7, -1, 0
	s_wait_alu 0xfffe
	s_cmp_lg_u32 s7, 0
	s_add_co_ci_u32 s11, s11, s15
	s_mov_b32 s15, s17
	s_mul_u64 s[12:13], s[12:13], s[10:11]
	s_delay_alu instid0(SALU_CYCLE_1)
	s_mul_hi_u32 s23, s10, s13
	s_mul_i32 s22, s10, s13
	s_mul_hi_u32 s14, s10, s12
	s_mul_i32 s20, s11, s12
	s_add_nc_u64 s[14:15], s[14:15], s[22:23]
	s_mul_hi_u32 s7, s11, s12
	s_mul_hi_u32 s24, s11, s13
	s_mul_i32 s12, s11, s13
	s_add_co_u32 s13, s14, s20
	s_wait_alu 0xfffe
	s_add_co_ci_u32 s20, s15, s7
	s_add_co_ci_u32 s13, s24, 0
	s_mov_b32 s15, s17
	s_add_nc_u64 s[12:13], s[20:21], s[12:13]
	s_delay_alu instid0(SALU_CYCLE_1) | instskip(SKIP_1) | instid1(SALU_CYCLE_1)
	s_add_co_u32 s7, s10, s12
	s_cselect_b32 s10, -1, 0
	s_cmp_lg_u32 s10, 0
	s_add_co_ci_u32 s20, s11, s13
	s_ashr_i32 s10, s3, 31
	s_delay_alu instid0(SALU_CYCLE_1) | instskip(NEXT) | instid1(SALU_CYCLE_1)
	s_mov_b32 s11, s10
	s_add_nc_u64 s[12:13], s[2:3], s[10:11]
	s_delay_alu instid0(SALU_CYCLE_1) | instskip(NEXT) | instid1(SALU_CYCLE_1)
	s_xor_b64 s[12:13], s[12:13], s[10:11]
	s_mul_hi_u32 s23, s12, s20
	s_mul_i32 s22, s12, s20
	s_wait_alu 0xfffe
	s_mul_hi_u32 s14, s12, s7
	s_mul_hi_u32 s24, s13, s7
	s_mul_i32 s7, s13, s7
	s_add_nc_u64 s[14:15], s[14:15], s[22:23]
	s_mul_hi_u32 s3, s13, s20
	s_wait_alu 0xfffe
	s_add_co_u32 s7, s14, s7
	s_mul_i32 s22, s13, s20
	s_add_co_ci_u32 s20, s15, s24
	s_add_co_ci_u32 s23, s3, 0
	s_delay_alu instid0(SALU_CYCLE_1) | instskip(NEXT) | instid1(SALU_CYCLE_1)
	s_add_nc_u64 s[14:15], s[20:21], s[22:23]
	s_mul_u64 s[20:21], s[8:9], s[14:15]
	s_delay_alu instid0(SALU_CYCLE_1)
	s_sub_co_u32 s3, s12, s20
	s_cselect_b32 s7, -1, 0
	s_sub_co_i32 s12, s13, s21
	s_wait_alu 0xfffe
	s_cmp_lg_u32 s7, 0
	s_sub_co_ci_u32 s12, s12, s9
	s_sub_co_u32 s20, s3, s8
	s_cselect_b32 s22, -1, 0
	s_delay_alu instid0(SALU_CYCLE_1) | instskip(SKIP_2) | instid1(SALU_CYCLE_1)
	s_cmp_lg_u32 s22, 0
	s_add_nc_u64 s[22:23], s[14:15], 1
	s_sub_co_ci_u32 s12, s12, 0
	s_cmp_ge_u32 s12, s9
	s_cselect_b32 s24, -1, 0
	s_cmp_ge_u32 s20, s8
	s_cselect_b32 s20, -1, 0
	s_cmp_eq_u32 s12, s9
	s_cselect_b32 s12, s20, s24
	s_add_nc_u64 s[24:25], s[14:15], 2
	s_cmp_lg_u32 s12, 0
	s_cselect_b32 s12, s24, s22
	s_cselect_b32 s20, s25, s23
	s_cmp_lg_u32 s7, 0
	s_sub_co_ci_u32 s7, s13, s21
	s_wait_alu 0xfffe
	s_cmp_ge_u32 s7, s9
	s_cselect_b32 s13, -1, 0
	s_cmp_ge_u32 s3, s8
	s_cselect_b32 s3, -1, 0
	s_cmp_eq_u32 s7, s9
	s_cselect_b32 s3, s3, s13
	s_delay_alu instid0(SALU_CYCLE_1) | instskip(SKIP_4) | instid1(SALU_CYCLE_1)
	s_cmp_lg_u32 s3, 0
	s_mov_b32 s3, s17
	s_cselect_b32 s9, s20, s15
	s_cselect_b32 s8, s12, s14
	s_xor_b64 s[10:11], s[10:11], 0
	s_xor_b64 s[8:9], s[8:9], s[10:11]
	s_delay_alu instid0(SALU_CYCLE_1)
	s_sub_nc_u64 s[20:21], s[8:9], s[10:11]
	s_and_not1_b32 vcc_lo, exec_lo, s3
	s_cbranch_vccnz .LBB26_3
.LBB26_2:
	v_cvt_f32_u32_e32 v1, s16
	s_sub_co_i32 s7, 0, s16
	s_delay_alu instid0(VALU_DEP_1) | instskip(NEXT) | instid1(TRANS32_DEP_1)
	v_rcp_iflag_f32_e32 v1, v1
	v_mul_f32_e32 v1, 0x4f7ffffe, v1
	s_delay_alu instid0(VALU_DEP_1) | instskip(NEXT) | instid1(VALU_DEP_1)
	v_cvt_u32_f32_e32 v1, v1
	v_readfirstlane_b32 s3, v1
	s_wait_alu 0xfffe
	s_mul_i32 s7, s7, s3
	s_wait_alu 0xfffe
	s_mul_hi_u32 s7, s3, s7
	s_wait_alu 0xfffe
	s_add_co_i32 s3, s3, s7
	s_delay_alu instid0(SALU_CYCLE_1) | instskip(NEXT) | instid1(SALU_CYCLE_1)
	s_mul_hi_u32 s3, s2, s3
	s_mul_i32 s7, s3, s16
	s_wait_alu 0xfffe
	s_sub_co_i32 s2, s2, s7
	s_add_co_i32 s7, s3, 1
	s_sub_co_i32 s8, s2, s16
	s_cmp_ge_u32 s2, s16
	s_wait_alu 0xfffe
	s_cselect_b32 s3, s7, s3
	s_cselect_b32 s2, s8, s2
	s_add_co_i32 s7, s3, 1
	s_cmp_ge_u32 s2, s16
	s_wait_alu 0xfffe
	s_cselect_b32 s20, s7, s3
.LBB26_3:
	s_add_co_i32 s2, ttmp9, 1
	s_mov_b32 s8, 0
	s_ashr_i32 s3, s2, 31
	s_delay_alu instid0(SALU_CYCLE_1) | instskip(NEXT) | instid1(SALU_CYCLE_1)
	s_mul_u64 s[2:3], s[18:19], s[2:3]
	s_mov_b32 s9, s3
	s_delay_alu instid0(SALU_CYCLE_1)
	s_cmp_lg_u64 s[8:9], 0
	s_cbranch_scc0 .LBB26_22
; %bb.4:
	s_add_nc_u64 s[10:11], s[16:17], 0
	s_mov_b32 s23, s8
	s_xor_b64 s[10:11], s[10:11], 0
	s_mov_b32 s27, s8
	s_cvt_f32_u32 s7, s10
	s_cvt_f32_u32 s9, s11
	s_sub_nc_u64 s[14:15], 0, s[10:11]
	s_wait_alu 0xfffe
	s_delay_alu instid0(SALU_CYCLE_1) | instskip(SKIP_1) | instid1(SALU_CYCLE_2)
	s_fmamk_f32 s7, s9, 0x4f800000, s7
	s_wait_alu 0xfffe
	v_s_rcp_f32 s7, s7
	s_delay_alu instid0(TRANS32_DEP_1) | instskip(SKIP_1) | instid1(SALU_CYCLE_2)
	s_mul_f32 s7, s7, 0x5f7ffffc
	s_wait_alu 0xfffe
	s_mul_f32 s9, s7, 0x2f800000
	s_delay_alu instid0(SALU_CYCLE_3) | instskip(NEXT) | instid1(SALU_CYCLE_3)
	s_trunc_f32 s9, s9
	s_fmamk_f32 s7, s9, 0xcf800000, s7
	s_cvt_u32_f32 s13, s9
	s_wait_alu 0xfffe
	s_delay_alu instid0(SALU_CYCLE_1) | instskip(NEXT) | instid1(SALU_CYCLE_3)
	s_cvt_u32_f32 s12, s7
	s_mul_u64 s[24:25], s[14:15], s[12:13]
	s_delay_alu instid0(SALU_CYCLE_1)
	s_mul_hi_u32 s29, s12, s25
	s_mul_i32 s28, s12, s25
	s_mul_hi_u32 s22, s12, s24
	s_mul_i32 s9, s13, s24
	s_add_nc_u64 s[22:23], s[22:23], s[28:29]
	s_mul_hi_u32 s7, s13, s24
	s_mul_hi_u32 s21, s13, s25
	s_add_co_u32 s9, s22, s9
	s_wait_alu 0xfffe
	s_add_co_ci_u32 s26, s23, s7
	s_mul_i32 s24, s13, s25
	s_add_co_ci_u32 s25, s21, 0
	s_delay_alu instid0(SALU_CYCLE_1)
	s_add_nc_u64 s[22:23], s[26:27], s[24:25]
	s_mov_b32 s25, s8
	s_add_co_u32 s12, s12, s22
	s_cselect_b32 s7, -1, 0
	s_wait_alu 0xfffe
	s_cmp_lg_u32 s7, 0
	s_add_co_ci_u32 s13, s13, s23
	s_mov_b32 s23, s8
	s_mul_u64 s[14:15], s[14:15], s[12:13]
	s_delay_alu instid0(SALU_CYCLE_1)
	s_mul_hi_u32 s27, s12, s15
	s_mul_i32 s26, s12, s15
	s_mul_hi_u32 s22, s12, s14
	s_mul_i32 s9, s13, s14
	s_add_nc_u64 s[22:23], s[22:23], s[26:27]
	s_mul_hi_u32 s7, s13, s14
	s_mul_hi_u32 s21, s13, s15
	s_add_co_u32 s9, s22, s9
	s_wait_alu 0xfffe
	s_add_co_ci_u32 s24, s23, s7
	s_mul_i32 s14, s13, s15
	s_add_co_ci_u32 s15, s21, 0
	s_mov_b32 s23, s8
	s_add_nc_u64 s[14:15], s[24:25], s[14:15]
	s_delay_alu instid0(SALU_CYCLE_1) | instskip(SKIP_1) | instid1(SALU_CYCLE_1)
	s_add_co_u32 s7, s12, s14
	s_cselect_b32 s9, -1, 0
	s_cmp_lg_u32 s9, 0
	s_add_co_ci_u32 s9, s13, s15
	s_ashr_i32 s12, s3, 31
	s_delay_alu instid0(SALU_CYCLE_1) | instskip(NEXT) | instid1(SALU_CYCLE_1)
	s_mov_b32 s13, s12
	s_add_nc_u64 s[14:15], s[2:3], s[12:13]
	s_delay_alu instid0(SALU_CYCLE_1) | instskip(NEXT) | instid1(SALU_CYCLE_1)
	s_xor_b64 s[14:15], s[14:15], s[12:13]
	s_mul_hi_u32 s27, s14, s9
	s_mul_i32 s26, s14, s9
	s_wait_alu 0xfffe
	s_mul_hi_u32 s22, s14, s7
	s_mul_hi_u32 s21, s15, s7
	s_mul_i32 s7, s15, s7
	s_add_nc_u64 s[22:23], s[22:23], s[26:27]
	s_mul_hi_u32 s3, s15, s9
	s_wait_alu 0xfffe
	s_add_co_u32 s7, s22, s7
	s_add_co_ci_u32 s24, s23, s21
	s_mul_i32 s26, s15, s9
	s_add_co_ci_u32 s27, s3, 0
	s_delay_alu instid0(SALU_CYCLE_1) | instskip(NEXT) | instid1(SALU_CYCLE_1)
	s_add_nc_u64 s[22:23], s[24:25], s[26:27]
	s_mul_u64 s[24:25], s[10:11], s[22:23]
	s_add_nc_u64 s[26:27], s[22:23], 1
	s_sub_co_u32 s3, s14, s24
	s_cselect_b32 s7, -1, 0
	s_sub_co_i32 s9, s15, s25
	s_wait_alu 0xfffe
	s_cmp_lg_u32 s7, 0
	s_add_nc_u64 s[28:29], s[22:23], 2
	s_sub_co_ci_u32 s9, s9, s11
	s_sub_co_u32 s14, s3, s10
	s_cselect_b32 s21, -1, 0
	s_delay_alu instid0(SALU_CYCLE_1) | instskip(SKIP_1) | instid1(SALU_CYCLE_1)
	s_cmp_lg_u32 s21, 0
	s_sub_co_ci_u32 s9, s9, 0
	s_cmp_ge_u32 s9, s11
	s_cselect_b32 s21, -1, 0
	s_cmp_ge_u32 s14, s10
	s_cselect_b32 s14, -1, 0
	s_cmp_eq_u32 s9, s11
	s_cselect_b32 s9, s14, s21
	s_delay_alu instid0(SALU_CYCLE_1)
	s_cmp_lg_u32 s9, 0
	s_cselect_b32 s9, s28, s26
	s_cselect_b32 s14, s29, s27
	s_cmp_lg_u32 s7, 0
	s_sub_co_ci_u32 s7, s15, s25
	s_wait_alu 0xfffe
	s_cmp_ge_u32 s7, s11
	s_cselect_b32 s15, -1, 0
	s_cmp_ge_u32 s3, s10
	s_cselect_b32 s3, -1, 0
	s_cmp_eq_u32 s7, s11
	s_cselect_b32 s3, s3, s15
	s_delay_alu instid0(SALU_CYCLE_1) | instskip(SKIP_3) | instid1(SALU_CYCLE_1)
	s_cmp_lg_u32 s3, 0
	s_cselect_b32 s11, s14, s23
	s_cselect_b32 s10, s9, s22
	s_xor_b64 s[12:13], s[12:13], 0
	s_xor_b64 s[10:11], s[10:11], s[12:13]
	s_delay_alu instid0(SALU_CYCLE_1)
	s_sub_nc_u64 s[10:11], s[10:11], s[12:13]
	s_load_b96 s[12:14], s[0:1], 0x44
	s_and_not1_b32 vcc_lo, exec_lo, s8
	s_cbranch_vccnz .LBB26_6
.LBB26_5:
	v_cvt_f32_u32_e32 v1, s16
	s_sub_co_i32 s7, 0, s16
	s_delay_alu instid0(VALU_DEP_1) | instskip(NEXT) | instid1(TRANS32_DEP_1)
	v_rcp_iflag_f32_e32 v1, v1
	v_mul_f32_e32 v1, 0x4f7ffffe, v1
	s_delay_alu instid0(VALU_DEP_1) | instskip(NEXT) | instid1(VALU_DEP_1)
	v_cvt_u32_f32_e32 v1, v1
	v_readfirstlane_b32 s3, v1
	s_wait_alu 0xfffe
	s_mul_i32 s7, s7, s3
	s_wait_alu 0xfffe
	s_mul_hi_u32 s7, s3, s7
	s_wait_alu 0xfffe
	s_add_co_i32 s3, s3, s7
	s_delay_alu instid0(SALU_CYCLE_1) | instskip(NEXT) | instid1(SALU_CYCLE_1)
	s_mul_hi_u32 s3, s2, s3
	s_mul_i32 s7, s3, s16
	s_wait_alu 0xfffe
	s_sub_co_i32 s2, s2, s7
	s_add_co_i32 s7, s3, 1
	s_sub_co_i32 s8, s2, s16
	s_cmp_ge_u32 s2, s16
	s_wait_alu 0xfffe
	s_cselect_b32 s3, s7, s3
	s_cselect_b32 s2, s8, s2
	s_add_co_i32 s7, s3, 1
	s_cmp_ge_u32 s2, s16
	s_wait_alu 0xfffe
	s_cselect_b32 s10, s7, s3
.LBB26_6:
	s_mov_b32 s21, 0
	s_wait_kmcnt 0x0
	s_mov_b32 s22, s12
	s_mov_b32 s23, s21
	s_cmp_eq_u32 s20, s10
	s_mul_u64 s[2:3], s[20:21], s[22:23]
	s_cselect_b32 s7, -1, 0
	s_add_co_i32 s2, s3, s20
	s_mov_b32 s11, s21
	s_lshr_b32 s12, s2, s13
	s_mul_u64 s[2:3], s[10:11], s[22:23]
	s_mul_i32 s2, s12, s14
	s_delay_alu instid0(SALU_CYCLE_1) | instskip(SKIP_2) | instid1(SALU_CYCLE_1)
	s_cmp_eq_u32 s2, s20
	s_cselect_b32 s2, -1, 0
	s_add_co_i32 s3, s3, s10
	s_lshr_b32 s3, s3, s13
	s_delay_alu instid0(SALU_CYCLE_1)
	s_cmp_eq_u32 s12, s3
	s_mul_i32 s3, s3, s14
	s_cselect_b32 s8, -1, 0
	s_cmp_lg_u32 s3, s10
	s_cselect_b32 s3, -1, 0
	s_wait_alu 0xfffe
	s_or_b32 s2, s7, s2
	s_and_b32 s3, s8, s3
	s_delay_alu instid0(SALU_CYCLE_1) | instskip(NEXT) | instid1(SALU_CYCLE_1)
	s_or_b32 s2, s2, s3
	s_and_b32 vcc_lo, exec_lo, s2
	s_cbranch_vccnz .LBB26_24
; %bb.7:
	s_load_b256 s[24:31], s[0:1], 0x20
	s_mov_b32 s3, s21
	s_wait_kmcnt 0x0
	s_mov_b32 s2, s24
	s_delay_alu instid0(SALU_CYCLE_1) | instskip(NEXT) | instid1(SALU_CYCLE_1)
	s_mul_u64 s[2:3], s[20:21], s[2:3]
	s_add_co_i32 s2, s3, s20
	s_delay_alu instid0(SALU_CYCLE_1) | instskip(SKIP_2) | instid1(SALU_CYCLE_1)
	s_lshr_b32 s7, s2, s25
	s_load_b32 s2, s[0:1], 0x40
	s_mul_i32 s3, s7, s26
	s_sub_co_i32 s3, s20, s3
	s_delay_alu instid0(SALU_CYCLE_1) | instskip(NEXT) | instid1(SALU_CYCLE_1)
	s_mul_hi_u32 s8, s3, s27
	s_add_co_i32 s8, s3, s8
	s_delay_alu instid0(SALU_CYCLE_1) | instskip(NEXT) | instid1(SALU_CYCLE_1)
	s_lshr_b32 s15, s8, s28
	s_mul_i32 s8, s15, s29
	s_delay_alu instid0(SALU_CYCLE_1) | instskip(NEXT) | instid1(SALU_CYCLE_1)
	s_sub_co_i32 s8, s3, s8
	s_mul_hi_u32 s3, s8, s30
	s_delay_alu instid0(SALU_CYCLE_1) | instskip(NEXT) | instid1(SALU_CYCLE_1)
	s_add_co_i32 s3, s8, s3
	s_lshr_b32 s10, s3, s31
	s_mov_b32 s3, s21
	s_wait_kmcnt 0x0
	s_mul_i32 s2, s10, s2
	s_lshl_b32 s24, s10, 2
	s_sub_co_i32 s2, s8, s2
	s_delay_alu instid0(SALU_CYCLE_1) | instskip(SKIP_2) | instid1(SALU_CYCLE_1)
	s_mul_u64 s[8:9], s[2:3], s[22:23]
	s_lshr_b32 s3, ttmp7, 16
	s_add_co_i32 s2, s2, s9
	s_lshr_b32 s21, s2, s13
	s_and_b32 s2, ttmp7, 0xffff
	s_lshl_b32 s8, s21, 2
	s_delay_alu instid0(SALU_CYCLE_1) | instskip(NEXT) | instid1(SALU_CYCLE_1)
	s_add_co_i32 s8, s8, s2
	s_cmp_lt_i32 s8, s4
	s_cselect_b32 s8, -1, 0
	s_add_co_i32 s24, s24, s3
	s_delay_alu instid0(SALU_CYCLE_1) | instskip(SKIP_1) | instid1(SALU_CYCLE_1)
	s_cmp_lt_i32 s24, s6
	s_cselect_b32 s9, -1, 0
	s_and_b32 s8, s8, s9
	s_delay_alu instid0(SALU_CYCLE_1)
	s_and_not1_b32 vcc_lo, exec_lo, s8
	s_cbranch_vccnz .LBB26_24
; %bb.8:
	s_mul_i32 s4, s7, s4
	s_load_b128 s[8:11], s[0:1], 0x0
	s_add_co_i32 s0, s4, s2
	s_mul_i32 s15, s15, s6
	s_mul_i32 s0, s0, s5
	s_add_co_i32 s1, s24, s15
	s_mul_i32 s4, s5, s21
	s_add_co_i32 s0, s1, s0
	s_mulk_i32 s4, 0x180
	s_mulk_i32 s0, 0x60
	s_lshl_b32 s15, s2, 2
	v_add3_u32 v1, s4, s0, v0
	s_add_nc_u64 s[0:1], s[16:17], 0
	s_add_co_i32 s15, s15, s3
	s_wait_alu 0xfffe
	s_xor_b64 s[6:7], s[0:1], 0
	s_lshl_b32 s0, ttmp9, 4
	v_ashrrev_i32_e32 v2, 31, v1
	s_wait_alu 0xfffe
	s_cvt_f32_u32 s1, s6
	s_cvt_f32_u32 s2, s7
	s_add_co_i32 s0, s15, s0
	v_cvt_f32_u32_e32 v3, s16
	v_lshlrev_b64_e32 v[1:2], 2, v[1:2]
	s_wait_alu 0xfffe
	s_fmamk_f32 s2, s2, 0x4f800000, s1
	s_ashr_i32 s1, s0, 31
	s_add_co_i32 s34, ttmp9, -1
	s_wait_alu 0xfffe
	s_lshl_b64 s[0:1], s[0:1], 3
	v_s_rcp_f32 s2, s2
	s_wait_kmcnt 0x0
	v_add_co_u32 v1, vcc_lo, s8, v1
	s_delay_alu instid0(VALU_DEP_1)
	v_add_co_ci_u32_e64 v2, null, s9, v2, vcc_lo
	s_wait_alu 0xfffe
	s_add_nc_u64 s[0:1], s[10:11], s[0:1]
	v_rcp_iflag_f32_e32 v3, v3
	s_load_b64 s[26:27], s[0:1], 0x0
	global_load_b32 v5, v[1:2], off
	s_mul_f32 s2, s2, 0x5f7ffffc
	s_mov_b32 s8, 0
	s_lshl_b32 s0, s16, 6
	s_wait_alu 0xfffe
	s_mov_b32 s1, s8
	s_mul_f32 s3, s2, 0x2f800000
	s_wait_alu 0xfffe
	s_lshl_b64 s[0:1], s[0:1], 2
	s_sub_nc_u64 s[30:31], 0, s[6:7]
	v_mul_f32_e32 v6, 0x4f7ffffe, v3
	s_trunc_f32 s3, s3
	s_wait_alu 0xfffe
	s_add_nc_u64 s[24:25], s[10:11], s[0:1]
	v_mad_co_u64_u32 v[3:4], null, 0x60, s15, v[0:1]
	s_fmamk_f32 s0, s3, 0xcf800000, s2
	v_cvt_u32_f32_e32 v0, v6
	s_cvt_u32_f32 s29, s3
	s_wait_alu 0xfffe
	s_cvt_u32_f32 s28, s0
	s_wait_kmcnt 0x0
	v_mov_b32_e32 v4, s27
.LBB26_9:                               ; =>This Inner Loop Header: Depth=1
	s_wait_alu 0xfffe
	s_ashr_i32 s35, s34, 31
	s_mov_b32 s2, -1
	s_wait_alu 0xfffe
	s_mul_u64 s[0:1], s[34:35], s[18:19]
                                        ; implicit-def: $sgpr38_sgpr39
	s_wait_alu 0xfffe
	s_mov_b32 s9, s1
	s_wait_alu 0xfffe
	s_cmp_lg_u64 s[8:9], 0
	s_cbranch_scc0 .LBB26_11
; %bb.10:                               ;   in Loop: Header=BB26_9 Depth=1
	s_mul_u64 s[2:3], s[30:31], s[28:29]
	s_mov_b32 s37, s8
	s_wait_alu 0xfffe
	s_mul_hi_u32 s5, s28, s3
	s_mul_i32 s4, s28, s3
	s_mul_hi_u32 s36, s28, s2
	s_mul_hi_u32 s9, s29, s2
	s_wait_alu 0xfffe
	s_add_nc_u64 s[4:5], s[36:37], s[4:5]
	s_mul_i32 s2, s29, s2
	s_mul_hi_u32 s17, s29, s3
	s_wait_alu 0xfffe
	s_add_co_u32 s2, s4, s2
	s_add_co_ci_u32 s2, s5, s9
	s_add_co_ci_u32 s5, s17, 0
	s_mul_i32 s4, s29, s3
	s_mov_b32 s3, s8
	s_mov_b32 s39, s8
	s_wait_alu 0xfffe
	s_add_nc_u64 s[2:3], s[2:3], s[4:5]
	s_wait_alu 0xfffe
	s_add_co_u32 s2, s28, s2
	s_cselect_b32 s4, -1, 0
	s_wait_alu 0xfffe
	s_cmp_lg_u32 s4, 0
	s_add_co_ci_u32 s3, s29, s3
	s_wait_alu 0xfffe
	s_mul_u64 s[4:5], s[30:31], s[2:3]
	s_wait_alu 0xfffe
	s_mul_hi_u32 s37, s2, s5
	s_mul_i32 s36, s2, s5
	s_mul_hi_u32 s38, s2, s4
	s_mul_hi_u32 s9, s3, s4
	s_mul_i32 s4, s3, s4
	s_wait_alu 0xfffe
	s_add_nc_u64 s[36:37], s[38:39], s[36:37]
	s_mul_hi_u32 s17, s3, s5
	s_wait_alu 0xfffe
	s_add_co_u32 s4, s36, s4
	s_add_co_ci_u32 s4, s37, s9
	s_add_co_ci_u32 s37, s17, 0
	s_mul_i32 s36, s3, s5
	s_mov_b32 s5, s8
	s_wait_alu 0xfffe
	s_add_nc_u64 s[4:5], s[4:5], s[36:37]
	s_mov_b32 s37, s8
	s_wait_alu 0xfffe
	s_add_co_u32 s9, s2, s4
	s_cselect_b32 s2, -1, 0
	s_wait_alu 0xfffe
	s_cmp_lg_u32 s2, 0
	s_add_co_ci_u32 s17, s3, s5
	s_ashr_i32 s2, s1, 31
	s_wait_alu 0xfffe
	s_mov_b32 s3, s2
	s_wait_alu 0xfffe
	s_add_nc_u64 s[4:5], s[0:1], s[2:3]
	s_wait_alu 0xfffe
	s_xor_b64 s[4:5], s[4:5], s[2:3]
	s_wait_alu 0xfffe
	s_mul_hi_u32 s39, s4, s17
	s_mul_i32 s38, s4, s17
	s_mul_hi_u32 s36, s4, s9
	s_mul_i32 s21, s5, s9
	s_wait_alu 0xfffe
	s_add_nc_u64 s[36:37], s[36:37], s[38:39]
	s_mul_hi_u32 s9, s5, s9
	s_mul_hi_u32 s1, s5, s17
	s_wait_alu 0xfffe
	s_add_co_u32 s21, s36, s21
	s_add_co_ci_u32 s36, s37, s9
	s_add_co_ci_u32 s39, s1, 0
	s_mul_i32 s38, s5, s17
	s_mov_b32 s37, s8
	s_wait_alu 0xfffe
	s_add_nc_u64 s[36:37], s[36:37], s[38:39]
	s_wait_alu 0xfffe
	s_mul_u64 s[38:39], s[6:7], s[36:37]
	s_add_nc_u64 s[40:41], s[36:37], 1
	s_sub_co_u32 s1, s4, s38
	s_cselect_b32 s4, -1, 0
	s_sub_co_i32 s9, s5, s39
	s_wait_alu 0xfffe
	s_cmp_lg_u32 s4, 0
	s_add_nc_u64 s[42:43], s[36:37], 2
	s_sub_co_ci_u32 s9, s9, s7
	s_sub_co_u32 s17, s1, s6
	s_cselect_b32 s21, -1, 0
	s_delay_alu instid0(SALU_CYCLE_1)
	s_cmp_lg_u32 s21, 0
	s_wait_alu 0xfffe
	s_sub_co_ci_u32 s9, s9, 0
	s_wait_alu 0xfffe
	s_cmp_ge_u32 s9, s7
	s_cselect_b32 s21, -1, 0
	s_cmp_ge_u32 s17, s6
	s_cselect_b32 s17, -1, 0
	s_cmp_eq_u32 s9, s7
	s_wait_alu 0xfffe
	s_cselect_b32 s9, s17, s21
	s_wait_alu 0xfffe
	s_cmp_lg_u32 s9, 0
	s_cselect_b32 s9, s42, s40
	s_cselect_b32 s17, s43, s41
	s_cmp_lg_u32 s4, 0
	s_sub_co_ci_u32 s4, s5, s39
	s_wait_alu 0xfffe
	s_cmp_ge_u32 s4, s7
	s_cselect_b32 s5, -1, 0
	s_cmp_ge_u32 s1, s6
	s_cselect_b32 s1, -1, 0
	s_cmp_eq_u32 s4, s7
	s_wait_alu 0xfffe
	s_cselect_b32 s1, s1, s5
	s_wait_alu 0xfffe
	s_cmp_lg_u32 s1, 0
	s_cselect_b32 s5, s17, s37
	s_cselect_b32 s4, s9, s36
	s_xor_b64 s[2:3], s[2:3], 0
	s_wait_alu 0xfffe
	s_xor_b64 s[4:5], s[4:5], s[2:3]
	s_wait_alu 0xfffe
	s_sub_nc_u64 s[38:39], s[4:5], s[2:3]
	s_mov_b32 s2, 0
.LBB26_11:                              ;   in Loop: Header=BB26_9 Depth=1
	s_wait_alu 0xfffe
	s_and_not1_b32 vcc_lo, exec_lo, s2
	s_wait_alu 0xfffe
	s_cbranch_vccnz .LBB26_13
; %bb.12:                               ;   in Loop: Header=BB26_9 Depth=1
	v_readfirstlane_b32 s1, v0
	s_sub_co_i32 s2, 0, s16
	s_wait_alu 0xfffe
	s_mul_i32 s2, s2, s1
	s_wait_alu 0xfffe
	s_mul_hi_u32 s2, s1, s2
	s_wait_alu 0xfffe
	s_add_co_i32 s1, s1, s2
	s_wait_alu 0xfffe
	s_mul_hi_u32 s1, s0, s1
	s_wait_alu 0xfffe
	s_mul_i32 s2, s1, s16
	s_wait_alu 0xfffe
	s_sub_co_i32 s0, s0, s2
	s_add_co_i32 s2, s1, 1
	s_wait_alu 0xfffe
	s_sub_co_i32 s3, s0, s16
	s_cmp_ge_u32 s0, s16
	s_cselect_b32 s1, s2, s1
	s_wait_alu 0xfffe
	s_cselect_b32 s0, s3, s0
	s_add_co_i32 s2, s1, 1
	s_wait_alu 0xfffe
	s_cmp_ge_u32 s0, s16
	s_cselect_b32 s38, s2, s1
.LBB26_13:                              ;   in Loop: Header=BB26_9 Depth=1
	v_readfirstlane_b32 s9, v0
	s_cmp_lg_u32 s20, s38
	s_mov_b32 s0, -1
                                        ; implicit-def: $sgpr21
                                        ; implicit-def: $vgpr6
                                        ; implicit-def: $vgpr7
                                        ; implicit-def: $sgpr17
                                        ; implicit-def: $sgpr27
	s_cbranch_scc1 .LBB26_16
; %bb.14:                               ;   in Loop: Header=BB26_9 Depth=1
	s_wait_alu 0xfffe
	s_and_not1_b32 vcc_lo, exec_lo, s0
	s_wait_alu 0xfffe
	s_cbranch_vccz .LBB26_19
.LBB26_15:                              ;   in Loop: Header=BB26_9 Depth=1
	s_and_not1_b32 vcc_lo, exec_lo, s21
	s_wait_alu 0xfffe
	s_cbranch_vccnz .LBB26_20
	s_branch .LBB26_23
.LBB26_16:                              ;   in Loop: Header=BB26_9 Depth=1
	s_add_co_i32 s0, s34, s16
	s_mov_b32 s1, s8
	s_wait_alu 0xfffe
	s_lshl_b32 s0, s0, 4
	v_max_num_f32_e64 v6, s26, s26
	s_wait_alu 0xfffe
	s_add_co_i32 s0, s0, s15
	s_mov_b32 s39, s8
	s_wait_alu 0xfffe
	s_lshl_b64 s[0:1], s[0:1], 3
	s_mul_u64 s[40:41], s[38:39], s[22:23]
	s_wait_alu 0xfffe
	s_add_nc_u64 s[0:1], s[10:11], s[0:1]
	s_mov_b32 s27, s20
	s_load_b64 s[36:37], s[0:1], 0x0
	v_readfirstlane_b32 s0, v6
	s_wait_kmcnt 0x0
	v_max_num_f32_e64 v7, s36, s36
	s_delay_alu instid0(VALU_DEP_1) | instskip(SKIP_2) | instid1(SALU_CYCLE_2)
	v_readfirstlane_b32 s1, v7
	s_max_num_f32 s9, s0, s1
	s_wait_alu 0xfffe
	s_sub_f32 s33, s26, s9
	s_sub_f32 s35, s36, s9
	s_wait_alu 0xfffe
	s_delay_alu instid0(SALU_CYCLE_1)
	s_cmp_nlt_f32 s33, 0xc2ce8ed0
	s_cselect_b32 s0, -1, 0
	s_cmp_ngt_f32 s33, 0x42b17218
	s_cselect_b32 s1, -1, 0
	s_cmp_ge_f32 s33, 0xc1a00000
	s_cselect_b32 s2, -1, 0
	s_cmp_nlt_f32 s35, 0xc2ce8ed0
	s_cselect_b32 s3, -1, 0
	s_cmp_ngt_f32 s35, 0x42b17218
	s_cselect_b32 s4, -1, 0
	s_cmp_ge_f32 s35, 0xc1a00000
	s_cselect_b32 s5, -1, 0
	s_add_co_i32 s17, s41, s38
	s_wait_alu 0xfffe
	s_lshr_b32 s17, s17, s13
	s_wait_alu 0xfffe
	s_mul_i32 s21, s17, s14
	s_delay_alu instid0(SALU_CYCLE_1)
	s_cmp_eq_u32 s21, s38
	s_cselect_b32 s21, -1, 0
	s_cmp_lt_u32 s17, s12
	s_cselect_b32 s17, -1, 0
	s_wait_alu 0xfffe
	s_or_b32 s17, s17, s21
	s_mov_b32 s21, -1
	s_wait_alu 0xfffe
	s_and_b32 vcc_lo, exec_lo, s17
	s_mov_b32 s17, s34
	s_wait_alu 0xfffe
	s_cbranch_vccnz .LBB26_18
; %bb.17:                               ;   in Loop: Header=BB26_9 Depth=1
	s_add_co_i32 s17, s34, -1
	s_mov_b32 s21, 0
	s_mov_b32 s27, s38
.LBB26_18:                              ;   in Loop: Header=BB26_9 Depth=1
	v_mad_co_u64_u32 v[6:7], null, 0x600, s34, v[3:4]
	s_mul_f32 s36, s35, 0x3fb8aa3b
	s_mul_f32 s38, s33, 0x3fb8aa3b
	s_wait_alu 0xfffe
	s_delay_alu instid0(SALU_CYCLE_1)
	s_xor_b32 s39, s36, 0x80000000
	s_rndne_f32 s40, s36
	v_ashrrev_i32_e32 v7, 31, v6
	s_fmamk_f32 s39, s35, 0x3fb8aa3b, s39
	s_xor_b32 s41, s38, 0x80000000
	s_sub_f32 s36, s36, s40
	s_rndne_f32 s42, s38
	v_lshlrev_b64_e32 v[6:7], 2, v[6:7]
	s_fmamk_f32 s35, s35, 0x32a5705f, s39
	s_fmamk_f32 s39, s33, 0x3fb8aa3b, s41
	s_sub_f32 s38, s38, s42
	s_wait_alu 0xfffe
	s_add_f32 s35, s36, s35
	v_add_co_u32 v6, vcc_lo, s24, v6
	s_wait_alu 0xfffd
	v_add_co_ci_u32_e64 v7, null, s25, v7, vcc_lo
	s_fmamk_f32 s33, s33, 0x32a5705f, s39
	s_wait_alu 0xfffe
	v_s_exp_f32 s35, s35
	s_cvt_i32_f32 s36, s40
	global_load_b32 v6, v[6:7], off
	s_add_f32 s33, s38, s33
	s_wait_alu 0xfffe
	s_delay_alu instid0(SALU_CYCLE_2) | instskip(SKIP_2) | instid1(VALU_DEP_1)
	v_s_exp_f32 s33, s33
	v_ldexp_f32 v7, s35, s36
	s_cvt_i32_f32 s35, s42
	v_cndmask_b32_e64 v7, 0, v7, s3
	s_wait_alu 0xf1fe
	s_delay_alu instid0(TRANS32_DEP_1) | instid1(SALU_CYCLE_1)
	v_ldexp_f32 v8, s33, s35
	s_delay_alu instid0(VALU_DEP_2) | instskip(NEXT) | instid1(VALU_DEP_2)
	v_cndmask_b32_e64 v7, 0x7f800000, v7, s4
	v_cndmask_b32_e64 v8, 0, v8, s0
	s_delay_alu instid0(VALU_DEP_2) | instskip(NEXT) | instid1(VALU_DEP_2)
	v_cndmask_b32_e64 v7, 0, v7, s5
	v_cndmask_b32_e64 v8, 0x7f800000, v8, s1
	s_delay_alu instid0(VALU_DEP_1) | instskip(SKIP_1) | instid1(VALU_DEP_3)
	v_cndmask_b32_e64 v8, 0, v8, s2
	s_wait_loadcnt 0x0
	v_mul_f32_e32 v6, v6, v7
	v_mul_f32_e32 v7, s37, v7
	s_delay_alu instid0(VALU_DEP_1) | instskip(NEXT) | instid1(VALU_DEP_3)
	v_fmac_f32_e32 v7, v4, v8
	v_fmac_f32_e32 v6, v5, v8
	s_cbranch_execnz .LBB26_15
.LBB26_19:                              ;   in Loop: Header=BB26_9 Depth=1
	s_wait_loadcnt 0x0
	v_dual_mov_b32 v7, v4 :: v_dual_mov_b32 v6, v5
	s_add_co_i32 s17, s34, -1
	s_mov_b32 s27, s20
	s_mov_b32 s9, s26
	s_cbranch_execz .LBB26_23
.LBB26_20:                              ;   in Loop: Header=BB26_9 Depth=1
	s_wait_loadcnt 0x0
	v_dual_mov_b32 v4, v7 :: v_dual_mov_b32 v5, v6
	s_wait_alu 0xfffe
	s_mov_b32 s20, s27
	s_mov_b32 s34, s17
	;; [unrolled: 1-line block ×3, first 2 shown]
	s_branch .LBB26_9
.LBB26_21:
                                        ; implicit-def: $sgpr20_sgpr21
	s_branch .LBB26_2
.LBB26_22:
                                        ; implicit-def: $sgpr10_sgpr11
	s_load_b96 s[12:14], s[0:1], 0x44
	s_branch .LBB26_5
.LBB26_23:
	v_div_scale_f32 v0, null, v7, v7, v6
	s_delay_alu instid0(VALU_DEP_1) | instskip(NEXT) | instid1(TRANS32_DEP_1)
	v_rcp_f32_e32 v3, v0
	v_fma_f32 v4, -v0, v3, 1.0
	s_delay_alu instid0(VALU_DEP_1) | instskip(SKIP_2) | instid1(VALU_DEP_1)
	v_fmac_f32_e32 v3, v4, v3
	v_div_scale_f32 v4, vcc_lo, v6, v7, v6
	s_wait_loadcnt 0x0
	v_mul_f32_e32 v5, v4, v3
	s_delay_alu instid0(VALU_DEP_1) | instskip(NEXT) | instid1(VALU_DEP_1)
	v_fma_f32 v8, -v0, v5, v4
	v_fmac_f32_e32 v5, v8, v3
	s_delay_alu instid0(VALU_DEP_1) | instskip(SKIP_1) | instid1(VALU_DEP_1)
	v_fma_f32 v0, -v0, v5, v4
	s_wait_alu 0xfffd
	v_div_fmas_f32 v0, v0, v3, v5
	s_delay_alu instid0(VALU_DEP_1)
	v_div_fixup_f32 v0, v0, v7, v6
	global_store_b32 v[1:2], v0, off
.LBB26_24:
	s_endpgm
	.section	.rodata,"a",@progbits
	.p2align	6, 0x0
	.amdhsa_kernel _ZL33flash_attn_stream_k_fixup_generalILi96ELi4ELi4EEvPfPK15HIP_vector_typeIfLj2EEiiiiS1_IjLj3EES5_S5_S5_
		.amdhsa_group_segment_fixed_size 0
		.amdhsa_private_segment_fixed_size 0
		.amdhsa_kernarg_size 336
		.amdhsa_user_sgpr_count 2
		.amdhsa_user_sgpr_dispatch_ptr 0
		.amdhsa_user_sgpr_queue_ptr 0
		.amdhsa_user_sgpr_kernarg_segment_ptr 1
		.amdhsa_user_sgpr_dispatch_id 0
		.amdhsa_user_sgpr_private_segment_size 0
		.amdhsa_wavefront_size32 1
		.amdhsa_uses_dynamic_stack 0
		.amdhsa_enable_private_segment 0
		.amdhsa_system_sgpr_workgroup_id_x 1
		.amdhsa_system_sgpr_workgroup_id_y 1
		.amdhsa_system_sgpr_workgroup_id_z 1
		.amdhsa_system_sgpr_workgroup_info 0
		.amdhsa_system_vgpr_workitem_id 0
		.amdhsa_next_free_vgpr 9
		.amdhsa_next_free_sgpr 44
		.amdhsa_reserve_vcc 1
		.amdhsa_float_round_mode_32 0
		.amdhsa_float_round_mode_16_64 0
		.amdhsa_float_denorm_mode_32 3
		.amdhsa_float_denorm_mode_16_64 3
		.amdhsa_fp16_overflow 0
		.amdhsa_workgroup_processor_mode 1
		.amdhsa_memory_ordered 1
		.amdhsa_forward_progress 1
		.amdhsa_inst_pref_size 28
		.amdhsa_round_robin_scheduling 0
		.amdhsa_exception_fp_ieee_invalid_op 0
		.amdhsa_exception_fp_denorm_src 0
		.amdhsa_exception_fp_ieee_div_zero 0
		.amdhsa_exception_fp_ieee_overflow 0
		.amdhsa_exception_fp_ieee_underflow 0
		.amdhsa_exception_fp_ieee_inexact 0
		.amdhsa_exception_int_div_zero 0
	.end_amdhsa_kernel
	.section	.text._ZL33flash_attn_stream_k_fixup_generalILi96ELi4ELi4EEvPfPK15HIP_vector_typeIfLj2EEiiiiS1_IjLj3EES5_S5_S5_,"axG",@progbits,_ZL33flash_attn_stream_k_fixup_generalILi96ELi4ELi4EEvPfPK15HIP_vector_typeIfLj2EEiiiiS1_IjLj3EES5_S5_S5_,comdat
.Lfunc_end26:
	.size	_ZL33flash_attn_stream_k_fixup_generalILi96ELi4ELi4EEvPfPK15HIP_vector_typeIfLj2EEiiiiS1_IjLj3EES5_S5_S5_, .Lfunc_end26-_ZL33flash_attn_stream_k_fixup_generalILi96ELi4ELi4EEvPfPK15HIP_vector_typeIfLj2EEiiiiS1_IjLj3EES5_S5_S5_
                                        ; -- End function
	.set _ZL33flash_attn_stream_k_fixup_generalILi96ELi4ELi4EEvPfPK15HIP_vector_typeIfLj2EEiiiiS1_IjLj3EES5_S5_S5_.num_vgpr, 9
	.set _ZL33flash_attn_stream_k_fixup_generalILi96ELi4ELi4EEvPfPK15HIP_vector_typeIfLj2EEiiiiS1_IjLj3EES5_S5_S5_.num_agpr, 0
	.set _ZL33flash_attn_stream_k_fixup_generalILi96ELi4ELi4EEvPfPK15HIP_vector_typeIfLj2EEiiiiS1_IjLj3EES5_S5_S5_.numbered_sgpr, 44
	.set _ZL33flash_attn_stream_k_fixup_generalILi96ELi4ELi4EEvPfPK15HIP_vector_typeIfLj2EEiiiiS1_IjLj3EES5_S5_S5_.num_named_barrier, 0
	.set _ZL33flash_attn_stream_k_fixup_generalILi96ELi4ELi4EEvPfPK15HIP_vector_typeIfLj2EEiiiiS1_IjLj3EES5_S5_S5_.private_seg_size, 0
	.set _ZL33flash_attn_stream_k_fixup_generalILi96ELi4ELi4EEvPfPK15HIP_vector_typeIfLj2EEiiiiS1_IjLj3EES5_S5_S5_.uses_vcc, 1
	.set _ZL33flash_attn_stream_k_fixup_generalILi96ELi4ELi4EEvPfPK15HIP_vector_typeIfLj2EEiiiiS1_IjLj3EES5_S5_S5_.uses_flat_scratch, 0
	.set _ZL33flash_attn_stream_k_fixup_generalILi96ELi4ELi4EEvPfPK15HIP_vector_typeIfLj2EEiiiiS1_IjLj3EES5_S5_S5_.has_dyn_sized_stack, 0
	.set _ZL33flash_attn_stream_k_fixup_generalILi96ELi4ELi4EEvPfPK15HIP_vector_typeIfLj2EEiiiiS1_IjLj3EES5_S5_S5_.has_recursion, 0
	.set _ZL33flash_attn_stream_k_fixup_generalILi96ELi4ELi4EEvPfPK15HIP_vector_typeIfLj2EEiiiiS1_IjLj3EES5_S5_S5_.has_indirect_call, 0
	.section	.AMDGPU.csdata,"",@progbits
; Kernel info:
; codeLenInByte = 3540
; TotalNumSgprs: 46
; NumVgprs: 9
; ScratchSize: 0
; MemoryBound: 0
; FloatMode: 240
; IeeeMode: 1
; LDSByteSize: 0 bytes/workgroup (compile time only)
; SGPRBlocks: 0
; VGPRBlocks: 1
; NumSGPRsForWavesPerEU: 46
; NumVGPRsForWavesPerEU: 9
; Occupancy: 16
; WaveLimiterHint : 0
; COMPUTE_PGM_RSRC2:SCRATCH_EN: 0
; COMPUTE_PGM_RSRC2:USER_SGPR: 2
; COMPUTE_PGM_RSRC2:TRAP_HANDLER: 0
; COMPUTE_PGM_RSRC2:TGID_X_EN: 1
; COMPUTE_PGM_RSRC2:TGID_Y_EN: 1
; COMPUTE_PGM_RSRC2:TGID_Z_EN: 1
; COMPUTE_PGM_RSRC2:TIDIG_COMP_CNT: 0
	.section	.text._ZL15flash_attn_tileILi96ELi96ELi2ELi4ELb0EEvPKcS1_S1_S1_S1_PKiPfP15HIP_vector_typeIfLj2EEffffjfiS5_IjLj3EEiiiiiiiiiiiliiliiiiil,"axG",@progbits,_ZL15flash_attn_tileILi96ELi96ELi2ELi4ELb0EEvPKcS1_S1_S1_S1_PKiPfP15HIP_vector_typeIfLj2EEffffjfiS5_IjLj3EEiiiiiiiiiiiliiliiiiil,comdat
	.globl	_ZL15flash_attn_tileILi96ELi96ELi2ELi4ELb0EEvPKcS1_S1_S1_S1_PKiPfP15HIP_vector_typeIfLj2EEffffjfiS5_IjLj3EEiiiiiiiiiiiliiliiiiil ; -- Begin function _ZL15flash_attn_tileILi96ELi96ELi2ELi4ELb0EEvPKcS1_S1_S1_S1_PKiPfP15HIP_vector_typeIfLj2EEffffjfiS5_IjLj3EEiiiiiiiiiiiliiliiiiil
	.p2align	8
	.type	_ZL15flash_attn_tileILi96ELi96ELi2ELi4ELb0EEvPKcS1_S1_S1_S1_PKiPfP15HIP_vector_typeIfLj2EEffffjfiS5_IjLj3EEiiiiiiiiiiiliiliiiiil,@function
_ZL15flash_attn_tileILi96ELi96ELi2ELi4ELb0EEvPKcS1_S1_S1_S1_PKiPfP15HIP_vector_typeIfLj2EEffffjfiS5_IjLj3EEiiiiiiiiiiiliiliiiiil: ; @_ZL15flash_attn_tileILi96ELi96ELi2ELi4ELb0EEvPKcS1_S1_S1_S1_PKiPfP15HIP_vector_typeIfLj2EEffffjfiS5_IjLj3EEiiiiiiiiiiiliiliiiiil
; %bb.0:
	s_clause 0x1
	s_load_b128 s[20:23], s[0:1], 0x5c
	s_load_b64 s[30:31], s[0:1], 0x80
	s_lshr_b32 s5, ttmp7, 16
	s_mov_b32 s37, 0
	s_mov_b64 s[34:35], 0
	s_wait_kmcnt 0x0
	s_ashr_i32 s2, s23, 31
	s_delay_alu instid0(SALU_CYCLE_1) | instskip(NEXT) | instid1(SALU_CYCLE_1)
	s_lshr_b32 s2, s2, 30
	s_add_co_i32 s2, s23, s2
	s_delay_alu instid0(SALU_CYCLE_1) | instskip(NEXT) | instid1(SALU_CYCLE_1)
	s_ashr_i32 s2, s2, 2
	s_cvt_f32_u32 s3, s2
	s_sub_co_i32 s4, 0, s2
	s_delay_alu instid0(SALU_CYCLE_2) | instskip(NEXT) | instid1(TRANS32_DEP_1)
	v_rcp_iflag_f32_e32 v1, s3
	v_readfirstlane_b32 s3, v1
	s_mul_f32 s3, s3, 0x4f7ffffe
	s_wait_alu 0xfffe
	s_delay_alu instid0(SALU_CYCLE_2) | instskip(SKIP_1) | instid1(SALU_CYCLE_2)
	s_cvt_u32_f32 s3, s3
	s_wait_alu 0xfffe
	s_mul_i32 s4, s4, s3
	s_delay_alu instid0(SALU_CYCLE_1) | instskip(NEXT) | instid1(SALU_CYCLE_1)
	s_mul_hi_u32 s4, s3, s4
	s_add_co_i32 s3, s3, s4
	s_wait_alu 0xfffe
	s_mul_hi_u32 s3, s5, s3
	s_wait_alu 0xfffe
	s_mul_i32 s4, s3, s2
	s_add_co_i32 s6, s3, 1
	s_sub_co_i32 s4, s5, s4
	s_delay_alu instid0(SALU_CYCLE_1)
	s_sub_co_i32 s7, s4, s2
	s_cmp_ge_u32 s4, s2
	s_cselect_b32 s3, s6, s3
	s_cselect_b32 s4, s7, s4
	s_wait_alu 0xfffe
	s_add_co_i32 s6, s3, 1
	s_cmp_ge_u32 s4, s2
	s_cselect_b32 s28, s6, s3
	s_abs_i32 s2, s31
	s_abs_i32 s6, s23
	s_wait_alu 0xfffe
	s_cvt_f32_u32 s3, s2
	s_sub_co_i32 s4, 0, s2
	s_lshl_b32 s25, s5, 2
	s_mul_i32 s26, s28, s23
	s_wait_alu 0xfffe
	v_rcp_iflag_f32_e32 v1, s3
	s_delay_alu instid0(TRANS32_DEP_1) | instskip(SKIP_2) | instid1(SALU_CYCLE_2)
	v_readfirstlane_b32 s3, v1
	s_mul_f32 s3, s3, 0x4f7ffffe
	s_wait_alu 0xfffe
	s_cvt_u32_f32 s3, s3
	s_wait_alu 0xfffe
	s_delay_alu instid0(SALU_CYCLE_2) | instskip(NEXT) | instid1(SALU_CYCLE_1)
	s_mul_i32 s4, s4, s3
	s_mul_hi_u32 s4, s3, s4
	s_delay_alu instid0(SALU_CYCLE_1)
	s_add_co_i32 s3, s3, s4
	s_xor_b32 s4, s23, s31
	s_wait_alu 0xfffe
	s_mul_hi_u32 s3, s6, s3
	s_ashr_i32 s24, s4, 31
	s_wait_alu 0xfffe
	s_mul_i32 s5, s3, s2
	s_delay_alu instid0(SALU_CYCLE_1)
	s_sub_co_i32 s4, s6, s5
	s_add_co_i32 s5, s3, 1
	s_sub_co_i32 s6, s4, s2
	s_cmp_ge_u32 s4, s2
	s_cselect_b32 s3, s5, s3
	s_cselect_b32 s4, s6, s4
	s_wait_alu 0xfffe
	s_add_co_i32 s5, s3, 1
	s_cmp_ge_u32 s4, s2
	s_cselect_b32 s2, s5, s3
	s_load_b512 s[4:19], s[0:1], 0x0
	s_xor_b32 s2, s2, s24
	s_wait_alu 0xfffe
	s_sub_co_i32 s38, s2, s24
	s_load_b64 s[2:3], s[0:1], 0xb8
	s_abs_i32 s33, s38
	s_delay_alu instid0(SALU_CYCLE_1) | instskip(NEXT) | instid1(SALU_CYCLE_3)
	s_cvt_f32_u32 s24, s33
	v_rcp_iflag_f32_e32 v1, s24
	s_wait_kmcnt 0x0
	s_cmp_eq_u64 s[10:11], 0
	s_delay_alu instid0(TRANS32_DEP_1)
	v_readfirstlane_b32 s24, v1
	s_cbranch_scc1 .LBB27_2
; %bb.1:
	s_abs_i32 s2, s2
	s_load_b64 s[34:35], s[0:1], 0xc8
	s_cvt_f32_u32 s27, s2
	s_sub_co_i32 s29, 0, s2
	s_delay_alu instid0(SALU_CYCLE_2) | instskip(NEXT) | instid1(TRANS32_DEP_1)
	v_rcp_iflag_f32_e32 v1, s27
	v_readfirstlane_b32 s27, v1
	s_mul_f32 s27, s27, 0x4f7ffffe
	s_wait_alu 0xfffe
	s_delay_alu instid0(SALU_CYCLE_2) | instskip(SKIP_1) | instid1(SALU_CYCLE_2)
	s_cvt_u32_f32 s27, s27
	s_wait_alu 0xfffe
	s_mul_i32 s29, s29, s27
	s_delay_alu instid0(SALU_CYCLE_1) | instskip(NEXT) | instid1(SALU_CYCLE_1)
	s_mul_hi_u32 s29, s27, s29
	s_add_co_i32 s27, s27, s29
	s_wait_alu 0xfffe
	s_mul_hi_u32 s27, s28, s27
	s_wait_alu 0xfffe
	s_mul_i32 s27, s27, s2
	s_wait_alu 0xfffe
	s_sub_co_i32 s27, s28, s27
	s_wait_alu 0xfffe
	s_sub_co_i32 s29, s27, s2
	s_cmp_ge_u32 s27, s2
	s_cselect_b32 s27, s29, s27
	s_wait_alu 0xfffe
	s_sub_co_i32 s29, s27, s2
	s_cmp_ge_u32 s27, s2
	s_cselect_b32 s40, s29, s27
	s_delay_alu instid0(SALU_CYCLE_1) | instskip(SKIP_2) | instid1(SALU_CYCLE_1)
	s_ashr_i32 s41, s40, 31
	s_wait_kmcnt 0x0
	s_mul_u64 s[34:35], s[34:35], s[40:41]
	s_add_nc_u64 s[34:35], s[10:11], s[34:35]
.LBB27_2:
	v_and_b32_e32 v40, 0x3ff, v0
	v_bfe_u32 v0, v0, 10, 10
	s_movk_i32 s10, 0xc0
	s_sub_co_i32 s11, s25, s26
	s_lshl_b32 s31, ttmp9, 1
	v_cmp_gt_u32_e64 s2, 24, v40
	v_mad_u32_u24 v51, v0, s10, 0xe80
	v_lshlrev_b32_e32 v54, 3, v40
	v_and_b32_e32 v52, 3, v0
	v_lshrrev_b32_e32 v53, 2, v0
	s_and_saveexec_b32 s10, s2
	s_cbranch_execz .LBB27_4
; %bb.3:
	s_delay_alu instid0(VALU_DEP_1) | instskip(SKIP_1) | instid1(VALU_DEP_1)
	v_add_nc_u32_e32 v1, s31, v53
	s_load_b96 s[40:42], s[0:1], 0x70
	v_mul_hi_u32 v2, s20, v1
	s_delay_alu instid0(VALU_DEP_1) | instskip(NEXT) | instid1(VALU_DEP_1)
	v_add_nc_u32_e32 v2, v1, v2
	v_lshrrev_b32_e32 v2, s21, v2
	s_wait_kmcnt 0x0
	s_ashr_i32 s45, s41, 31
	s_mov_b32 s44, s41
	s_delay_alu instid0(VALU_DEP_1)
	v_mul_lo_u32 v2, v2, s22
	s_mul_i32 s26, s11, s41
	s_ashr_i32 s41, s40, 31
	s_lshr_b64 s[46:47], s[44:45], 2
	s_lshr_b32 s25, s45, 2
	s_wait_alu 0xfffe
	s_ashr_i32 s27, s26, 31
	s_delay_alu instid0(VALU_DEP_1)
	v_sub_nc_u32_e32 v7, v1, v2
	v_mad_co_u64_u32 v[1:2], null, s46, v52, 0
	s_lshr_b64 s[46:47], s[40:41], 2
	s_mul_i32 s40, s28, s42
	s_wait_alu 0xfffe
	v_mad_co_u64_u32 v[3:4], null, s46, v7, 0
	s_delay_alu instid0(VALU_DEP_1) | instskip(SKIP_2) | instid1(SALU_CYCLE_1)
	v_mad_co_u64_u32 v[5:6], null, s25, v52, v[2:3]
	s_lshr_b32 s25, s41, 2
	s_ashr_i32 s41, s40, 31
	s_add_nc_u64 s[4:5], s[4:5], s[40:41]
	s_delay_alu instid0(SALU_CYCLE_1) | instskip(SKIP_3) | instid1(VALU_DEP_1)
	s_add_nc_u64 s[4:5], s[4:5], s[26:27]
	s_wait_alu 0xfffe
	v_mad_co_u64_u32 v[6:7], null, s25, v7, v[4:5]
	v_dual_mov_b32 v2, v5 :: v_dual_lshlrev_b32 v5, 4, v40
	v_lshlrev_b64_e32 v[1:2], 2, v[1:2]
	s_delay_alu instid0(VALU_DEP_3) | instskip(NEXT) | instid1(VALU_DEP_2)
	v_mov_b32_e32 v4, v6
	v_add_co_u32 v1, vcc_lo, s4, v1
	s_delay_alu instid0(VALU_DEP_2) | instskip(NEXT) | instid1(VALU_DEP_4)
	v_lshlrev_b64_e32 v[3:4], 2, v[3:4]
	v_add_co_ci_u32_e64 v2, null, s5, v2, vcc_lo
	s_load_b32 s4, s[0:1], 0x40
	v_add_co_u32 v1, vcc_lo, v1, v3
	s_wait_alu 0xfffd
	v_add_co_ci_u32_e64 v2, null, v2, v4, vcc_lo
	s_delay_alu instid0(VALU_DEP_2) | instskip(SKIP_1) | instid1(VALU_DEP_2)
	v_add_co_u32 v1, vcc_lo, v1, v5
	s_wait_alu 0xfffd
	v_add_co_ci_u32_e64 v2, null, 0, v2, vcc_lo
	v_add_nc_u32_e32 v5, v51, v54
	global_load_b128 v[1:4], v[1:2], off
	s_wait_loadcnt 0x0
	s_wait_kmcnt 0x0
	v_fma_mixlo_f16 v2, s4, v2, 0
	v_fma_mixlo_f16 v1, s4, v1, 0
	;; [unrolled: 1-line block ×4, first 2 shown]
	s_delay_alu instid0(VALU_DEP_4) | instskip(NEXT) | instid1(VALU_DEP_4)
	v_lshlrev_b32_e32 v2, 16, v2
	v_and_b32_e32 v1, 0xffff, v1
	s_delay_alu instid0(VALU_DEP_4) | instskip(NEXT) | instid1(VALU_DEP_4)
	v_and_b32_e32 v3, 0xffff, v3
	v_lshlrev_b32_e32 v4, 16, v4
	s_delay_alu instid0(VALU_DEP_3) | instskip(NEXT) | instid1(VALU_DEP_2)
	v_or_b32_e32 v1, v2, v1
	v_or3_b32 v2, v4, v3, 0
	s_delay_alu instid0(VALU_DEP_2)
	v_or3_b32 v1, 0, 0, v1
	ds_store_b64 v5, v[1:2]
.LBB27_4:
	s_wait_alu 0xfffe
	s_or_b32 exec_lo, exec_lo, s10
	s_cmp_eq_u64 s[14:15], 0
	s_wait_dscnt 0x0
	s_barrier_signal -1
	s_barrier_wait -1
	global_inv scope:SCOPE_SE
	s_cbranch_scc1 .LBB27_6
; %bb.5:
	s_load_b32 s4, s[0:1], 0xd0
	s_mov_b32 s5, 0
	s_wait_kmcnt 0x0
	s_mul_i32 s4, s4, s28
	s_wait_alu 0xfffe
	s_add_co_i32 s4, s4, ttmp9
	s_wait_alu 0xfffe
	s_lshl_b64 s[4:5], s[4:5], 2
	s_wait_alu 0xfffe
	s_add_nc_u64 s[4:5], s[14:15], s[4:5]
	s_load_b32 s30, s[4:5], 0x0
.LBB27_6:
	s_and_b32 s10, ttmp7, 0xffff
	v_mbcnt_lo_u32_b32 v55, -1, 0
	s_wait_alu 0xfffe
	s_lshl_b32 s14, s10, 5
	s_wait_kmcnt 0x0
	s_cmp_lt_i32 s14, s30
	s_cbranch_scc1 .LBB27_9
; %bb.7:
	v_mbcnt_lo_u32_b32 v1, -1, 0
	v_mov_b32_e32 v56, 32
	s_delay_alu instid0(VALU_DEP_2)
	v_xor_b32_e32 v61, 16, v1
	v_xor_b32_e32 v60, 8, v1
	;; [unrolled: 1-line block ×5, first 2 shown]
	s_mov_b32 s29, 0
	s_cbranch_execz .LBB27_10
; %bb.8:
	v_dual_mov_b32 v73, 0 :: v_dual_mov_b32 v50, 0xfeffffff
	v_mov_b32_e32 v75, 0
	v_mov_b32_e32 v65, 0
	s_branch .LBB27_30
.LBB27_9:
                                        ; implicit-def: $vgpr1
                                        ; implicit-def: $vgpr56
                                        ; implicit-def: $vgpr61
                                        ; implicit-def: $vgpr60
                                        ; implicit-def: $vgpr59
                                        ; implicit-def: $vgpr58
                                        ; implicit-def: $vgpr57
	s_mov_b32 s29, 0
.LBB27_10:
	v_dual_mov_b32 v65, 0 :: v_dual_add_nc_u32 v4, s31, v53
	s_mul_f32 s15, s24, 0x4f7ffffe
	s_clause 0x1
	s_load_b128 s[24:27], s[0:1], 0x98
	s_load_b64 s[4:5], s[0:1], 0x8c
	v_lshrrev_b32_e32 v1, 1, v40
	v_mul_hi_u32 v2, s20, v4
	s_cvt_u32_f32 s15, s15
	v_dual_mov_b32 v76, 0xfeffffff :: v_dual_lshlrev_b32 v5, 2, v40
	s_sub_co_i32 s40, 0, s33
	v_lshl_add_u32 v1, v0, 4, v1
	s_mul_i32 s40, s40, s15
	s_delay_alu instid0(VALU_DEP_2) | instskip(NEXT) | instid1(VALU_DEP_4)
	v_dual_mov_b32 v56, 32 :: v_dual_and_b32 v9, 4, v5
	v_dual_mov_b32 v73, 0 :: v_dual_add_nc_u32 v2, v4, v2
	s_mul_hi_u32 s40, s15, s40
	s_abs_i32 s36, s11
	s_mov_b32 s39, s37
	s_delay_alu instid0(VALU_DEP_1)
	v_lshrrev_b32_e32 v2, s21, v2
	s_ashr_i32 s43, s38, 31
	s_add_co_i32 s38, s15, s40
	v_lshrrev_b32_e32 v3, 2, v40
	s_mul_u64 s[38:39], s[36:37], s[38:39]
	v_mul_lo_u32 v11, v2, s22
	v_mul_u32_u24_e32 v7, 0x70, v1
	v_lshlrev_b32_e32 v8, 2, v9
	s_load_b64 s[40:41], s[0:1], 0xa8
	s_mul_i32 s37, s39, s33
	s_ashr_i32 s42, s11, 31
	s_sub_co_i32 s37, s36, s37
	s_ashr_i32 s15, s3, 1
	s_xor_b32 s3, s42, s43
	s_add_co_i32 s38, s39, 1
	s_wait_kmcnt 0x0
	s_ashr_i32 s26, s26, 2
	s_ashr_i32 s36, s4, 2
	s_sub_co_i32 s4, s37, s33
	v_lshl_add_u32 v6, v0, 3, v3
	v_and_b32_e32 v10, 12, v5
	v_add3_u32 v63, v7, v8, 64
	v_sub_nc_u32_e32 v7, v4, v11
	v_lshrrev_b32_e32 v8, 3, v40
	s_cmp_ge_u32 s37, s33
	v_lshlrev_b32_e32 v12, 2, v10
	s_cselect_b32 s20, s38, s39
	s_wait_alu 0xfffe
	s_cselect_b32 s4, s4, s37
	s_add_co_i32 s37, s20, 1
	v_mad_co_u64_u32 v[41:42], null, v7, s15, v[40:41]
	v_mul_u32_u24_e32 v7, 0xc0, v6
	v_lshl_add_u32 v8, v0, 2, v8
	s_wait_alu 0xfffe
	s_cmp_ge_u32 s4, s33
	v_dual_mov_b32 v74, 0 :: v_dual_and_b32 v67, 28, v5
	s_cselect_b32 s4, s37, s20
	v_cmp_gt_u32_e32 vcc_lo, 32, v1
	s_wait_alu 0xfffe
	s_xor_b32 s4, s4, s3
	v_mul_lo_u32 v1, s36, v1
	v_mul_lo_u32 v3, s36, v6
	v_lshl_add_u32 v66, v0, 6, 0x1480
	v_mul_lo_u32 v5, s26, v6
	v_or_b32_e32 v0, v7, v12
	v_mul_lo_u32 v7, s26, v8
	s_wait_alu 0xfffe
	s_sub_co_i32 s3, s4, s3
	v_lshlrev_b32_e32 v11, 2, v67
	s_mul_u64 s[24:25], s[24:25], s[28:29]
	s_wait_alu 0xfffe
	s_mul_i32 s4, s3, s5
	s_mul_u64 s[38:39], s[40:41], s[28:29]
	s_add_nc_u64 s[6:7], s[6:7], s[24:25]
	s_wait_alu 0xfffe
	s_ashr_i32 s5, s4, 31
	s_add_nc_u64 s[8:9], s[8:9], s[38:39]
	s_mul_i32 s38, s3, s27
	s_wait_alu 0xfffe
	s_add_nc_u64 s[24:25], s[6:7], s[4:5]
	v_cmp_gt_u32_e64 s3, 32, v6
	v_ashrrev_i32_e32 v2, 31, v1
	v_mad_u32_u24 v64, 0x70, v6, v12
	v_ashrrev_i32_e32 v4, 31, v3
	v_cmp_gt_u32_e64 s4, 16, v6
	v_cmp_gt_u32_e64 s5, 16, v8
	v_ashrrev_i32_e32 v6, 31, v5
	v_mad_u32_u24 v70, 0xc0, v8, v11
	v_ashrrev_i32_e32 v8, 31, v7
	v_lshlrev_b64_e32 v[42:43], 2, v[1:2]
	v_lshlrev_b64_e32 v[44:45], 2, v[3:4]
	;; [unrolled: 1-line block ×3, first 2 shown]
	v_mul_u32_u24_e32 v62, 0x70, v40
	v_lshlrev_b64_e32 v[48:49], 2, v[7:8]
	v_lshl_add_u32 v68, v40, 1, v66
	v_add_nc_u32_e32 v69, 0x80, v0
	v_xor_b32_e32 v61, 16, v55
	v_xor_b32_e32 v60, 8, v55
	;; [unrolled: 1-line block ×5, first 2 shown]
	v_lshlrev_b32_e32 v71, 2, v9
	v_lshlrev_b32_e32 v72, 2, v10
	s_ashr_i32 s39, s38, 31
	s_ashr_i32 s37, s36, 31
	s_add_nc_u64 s[38:39], s[8:9], s[38:39]
	s_ashr_i32 s27, s26, 31
	s_add_nc_u64 s[20:21], s[0:1], 0xd0
.LBB27_11:                              ; =>This Inner Loop Header: Depth=1
	s_ashr_i32 s15, s14, 31
	s_wait_alu 0xfffe
	s_mul_u64 s[6:7], s[14:15], s[36:37]
	s_wait_alu 0xfffe
	s_lshl_b64 s[6:7], s[6:7], 2
	s_wait_alu 0xfffe
	s_add_nc_u64 s[8:9], s[24:25], s[6:7]
	s_and_saveexec_b32 s7, vcc_lo
	s_cbranch_execz .LBB27_13
; %bb.12:                               ;   in Loop: Header=BB27_11 Depth=1
	s_wait_alu 0xfffe
	v_add_co_u32 v0, s6, s8, v42
	s_wait_alu 0xf1ff
	v_add_co_ci_u32_e64 v1, null, s9, v43, s6
	s_delay_alu instid0(VALU_DEP_2) | instskip(SKIP_1) | instid1(VALU_DEP_2)
	v_add_co_u32 v0, s6, v0, v71
	s_wait_alu 0xf1ff
	v_add_co_ci_u32_e64 v1, null, 0, v1, s6
	global_load_b128 v[0:3], v[0:1], off offset:64
	s_wait_loadcnt 0x0
	ds_store_b128 v63, v[0:3]
.LBB27_13:                              ;   in Loop: Header=BB27_11 Depth=1
	s_wait_alu 0xfffe
	s_or_b32 exec_lo, exec_lo, s7
	s_and_saveexec_b32 s7, s3
	s_cbranch_execz .LBB27_15
; %bb.14:                               ;   in Loop: Header=BB27_11 Depth=1
	v_add_co_u32 v0, s6, s8, v44
	s_wait_alu 0xf1ff
	v_add_co_ci_u32_e64 v1, null, s9, v45, s6
	s_delay_alu instid0(VALU_DEP_2) | instskip(SKIP_1) | instid1(VALU_DEP_2)
	v_add_co_u32 v0, s6, v0, v72
	s_wait_alu 0xf1ff
	v_add_co_ci_u32_e64 v1, null, 0, v1, s6
	global_load_b128 v[0:3], v[0:1], off
	s_wait_loadcnt 0x0
	ds_store_b128 v64, v[0:3]
.LBB27_15:                              ;   in Loop: Header=BB27_11 Depth=1
	s_wait_alu 0xfffe
	s_or_b32 exec_lo, exec_lo, s7
	s_wait_loadcnt_dscnt 0x0
	s_barrier_signal -1
	s_barrier_wait -1
	global_inv scope:SCOPE_SE
	ds_load_b128 v[1:4], v62
	ds_load_b128 v[5:8], v51
	v_mov_b32_e32 v0, 0
	s_wait_dscnt 0x0
	;;#ASMSTART
	v_dot2_f32_f16 v0, v1, v5, v0
	;;#ASMEND
	;;#ASMSTART
	v_dot2_f32_f16 v0, v2, v6, v0
	;;#ASMEND
	;;#ASMSTART
	v_dot2_f32_f16 v0, v3, v7, v0
	;;#ASMEND
	;;#ASMSTART
	v_dot2_f32_f16 v0, v4, v8, v0
	;;#ASMEND
	ds_load_b128 v[1:4], v62 offset:16
	ds_load_b128 v[5:8], v51 offset:16
	s_wait_dscnt 0x0
	;;#ASMSTART
	v_dot2_f32_f16 v0, v1, v5, v0
	;;#ASMEND
	;;#ASMSTART
	v_dot2_f32_f16 v0, v2, v6, v0
	;;#ASMEND
	;;#ASMSTART
	v_dot2_f32_f16 v0, v3, v7, v0
	;;#ASMEND
	;;#ASMSTART
	v_dot2_f32_f16 v0, v4, v8, v0
	;;#ASMEND
	ds_load_b128 v[1:4], v62 offset:32
	ds_load_b128 v[5:8], v51 offset:32
	s_wait_dscnt 0x0
	;;#ASMSTART
	v_dot2_f32_f16 v0, v1, v5, v0
	;;#ASMEND
	;;#ASMSTART
	v_dot2_f32_f16 v0, v2, v6, v0
	;;#ASMEND
	;;#ASMSTART
	v_dot2_f32_f16 v0, v3, v7, v0
	;;#ASMEND
	;;#ASMSTART
	v_dot2_f32_f16 v0, v4, v8, v0
	;;#ASMEND
	ds_load_b128 v[1:4], v62 offset:48
	ds_load_b128 v[5:8], v51 offset:48
	s_wait_dscnt 0x0
	;;#ASMSTART
	v_dot2_f32_f16 v0, v1, v5, v0
	;;#ASMEND
	;;#ASMSTART
	v_dot2_f32_f16 v0, v2, v6, v0
	;;#ASMEND
	;;#ASMSTART
	v_dot2_f32_f16 v0, v3, v7, v0
	;;#ASMEND
	;;#ASMSTART
	v_dot2_f32_f16 v0, v4, v8, v0
	;;#ASMEND
	ds_load_b128 v[1:4], v62 offset:64
	ds_load_b128 v[5:8], v51 offset:64
	s_wait_dscnt 0x0
	;;#ASMSTART
	v_dot2_f32_f16 v0, v1, v5, v0
	;;#ASMEND
	;;#ASMSTART
	v_dot2_f32_f16 v0, v2, v6, v0
	;;#ASMEND
	;;#ASMSTART
	v_dot2_f32_f16 v0, v3, v7, v0
	;;#ASMEND
	;;#ASMSTART
	v_dot2_f32_f16 v0, v4, v8, v0
	;;#ASMEND
	ds_load_b128 v[1:4], v62 offset:80
	ds_load_b128 v[5:8], v51 offset:80
	s_wait_dscnt 0x0
	;;#ASMSTART
	v_dot2_f32_f16 v0, v1, v5, v0
	;;#ASMEND
	;;#ASMSTART
	v_dot2_f32_f16 v0, v2, v6, v0
	;;#ASMEND
	;; [unrolled: 3-line block ×4, first 2 shown]
	s_wait_loadcnt 0x0
	s_barrier_signal -1
	s_barrier_wait -1
	global_inv scope:SCOPE_SE
	s_and_saveexec_b32 s7, vcc_lo
	s_cbranch_execz .LBB27_17
; %bb.16:                               ;   in Loop: Header=BB27_11 Depth=1
	v_add_co_u32 v1, s6, s8, v42
	s_wait_alu 0xf1ff
	v_add_co_ci_u32_e64 v2, null, s9, v43, s6
	s_delay_alu instid0(VALU_DEP_2) | instskip(SKIP_1) | instid1(VALU_DEP_2)
	v_add_co_u32 v1, s6, v1, v71
	s_wait_alu 0xf1ff
	v_add_co_ci_u32_e64 v2, null, 0, v2, s6
	global_load_b128 v[1:4], v[1:2], off offset:160
	s_wait_loadcnt 0x0
	ds_store_b128 v63, v[1:4]
.LBB27_17:                              ;   in Loop: Header=BB27_11 Depth=1
	s_wait_alu 0xfffe
	s_or_b32 exec_lo, exec_lo, s7
	s_and_saveexec_b32 s7, s3
	s_cbranch_execz .LBB27_19
; %bb.18:                               ;   in Loop: Header=BB27_11 Depth=1
	v_add_co_u32 v1, s6, s8, v44
	s_wait_alu 0xf1ff
	v_add_co_ci_u32_e64 v2, null, s9, v45, s6
	s_delay_alu instid0(VALU_DEP_2) | instskip(SKIP_1) | instid1(VALU_DEP_2)
	v_add_co_u32 v1, s6, v1, v72
	s_wait_alu 0xf1ff
	v_add_co_ci_u32_e64 v2, null, 0, v2, s6
	global_load_b128 v[1:4], v[1:2], off offset:96
	s_wait_loadcnt 0x0
	ds_store_b128 v64, v[1:4]
.LBB27_19:                              ;   in Loop: Header=BB27_11 Depth=1
	s_wait_alu 0xfffe
	s_or_b32 exec_lo, exec_lo, s7
	s_wait_loadcnt_dscnt 0x0
	s_barrier_signal -1
	s_barrier_wait -1
	global_inv scope:SCOPE_SE
	ds_load_b128 v[1:4], v62
	ds_load_b128 v[5:8], v51 offset:96
	v_add_nc_u32_e32 v9, s14, v41
	s_wait_dscnt 0x0
	;;#ASMSTART
	v_dot2_f32_f16 v0, v1, v5, v0
	;;#ASMEND
	;;#ASMSTART
	v_dot2_f32_f16 v0, v2, v6, v0
	;;#ASMEND
	;;#ASMSTART
	v_dot2_f32_f16 v0, v3, v7, v0
	;;#ASMEND
	;;#ASMSTART
	v_dot2_f32_f16 v0, v4, v8, v0
	;;#ASMEND
	ds_load_b128 v[1:4], v62 offset:16
	ds_load_b128 v[5:8], v51 offset:112
	s_wait_dscnt 0x0
	;;#ASMSTART
	v_dot2_f32_f16 v0, v1, v5, v0
	;;#ASMEND
	;;#ASMSTART
	v_dot2_f32_f16 v0, v2, v6, v0
	;;#ASMEND
	;;#ASMSTART
	v_dot2_f32_f16 v0, v3, v7, v0
	;;#ASMEND
	;;#ASMSTART
	v_dot2_f32_f16 v0, v4, v8, v0
	;;#ASMEND
	ds_load_b128 v[1:4], v62 offset:32
	ds_load_b128 v[5:8], v51 offset:128
	;; [unrolled: 15-line block ×5, first 2 shown]
	s_wait_dscnt 0x0
	;;#ASMSTART
	v_dot2_f32_f16 v0, v1, v5, v0
	;;#ASMEND
	;;#ASMSTART
	v_dot2_f32_f16 v0, v2, v6, v0
	;;#ASMEND
	v_max_num_f32_e32 v2, v76, v76
	v_ashrrev_i32_e32 v10, 31, v9
	;;#ASMSTART
	v_dot2_f32_f16 v0, v3, v7, v0
	;;#ASMEND
	;;#ASMSTART
	v_dot2_f32_f16 v0, v4, v8, v0
	;;#ASMEND
	s_delay_alu instid0(VALU_DEP_1) | instskip(NEXT) | instid1(VALU_DEP_1)
	v_lshlrev_b64_e32 v[9:10], 1, v[9:10]
	v_add_co_u32 v9, s6, s34, v9
	s_wait_alu 0xf1ff
	s_delay_alu instid0(VALU_DEP_2)
	v_add_co_ci_u32_e64 v10, null, s35, v10, s6
	v_cmp_gt_i32_e64 s6, 32, v61
	global_load_u16 v1, v[9:10], off
	s_wait_loadcnt 0x0
	s_barrier_signal -1
	s_barrier_wait -1
	global_inv scope:SCOPE_SE
	v_cvt_f32_f16_e32 v1, v1
	s_delay_alu instid0(VALU_DEP_1) | instskip(SKIP_3) | instid1(VALU_DEP_3)
	v_add_f32_e32 v0, v0, v1
	s_wait_alu 0xf1ff
	v_cndmask_b32_e64 v1, v55, v61, s6
	v_cmp_gt_i32_e64 s6, 32, v60
	v_add_f32_e32 v3, 0x40051340, v0
	s_delay_alu instid0(VALU_DEP_1) | instskip(SKIP_1) | instid1(VALU_DEP_3)
	v_dual_max_num_f32 v2, v2, v3 :: v_dual_lshlrev_b32 v1, 2, v1
	s_wait_alu 0xf1ff
	v_cndmask_b32_e64 v3, v55, v60, s6
	v_cmp_gt_i32_e64 s6, 32, v59
	ds_bpermute_b32 v1, v1, v2
	v_lshlrev_b32_e32 v3, 2, v3
	s_wait_dscnt 0x0
	v_max_num_f32_e32 v1, v1, v1
	s_delay_alu instid0(VALU_DEP_1)
	v_max_num_f32_e32 v1, v2, v1
	ds_bpermute_b32 v2, v3, v1
	s_wait_alu 0xf1ff
	v_cndmask_b32_e64 v3, v55, v59, s6
	v_cmp_gt_i32_e64 s6, 32, v58
	s_wait_dscnt 0x0
	s_delay_alu instid0(VALU_DEP_2) | instskip(NEXT) | instid1(VALU_DEP_1)
	v_dual_max_num_f32 v2, v2, v2 :: v_dual_lshlrev_b32 v3, 2, v3
	v_max_num_f32_e32 v1, v1, v2
	ds_bpermute_b32 v2, v3, v1
	s_wait_alu 0xf1ff
	v_cndmask_b32_e64 v3, v55, v58, s6
	v_cmp_gt_i32_e64 s6, 32, v57
	s_wait_dscnt 0x0
	s_delay_alu instid0(VALU_DEP_2) | instskip(NEXT) | instid1(VALU_DEP_1)
	v_dual_max_num_f32 v2, v2, v2 :: v_dual_lshlrev_b32 v3, 2, v3
	v_max_num_f32_e32 v1, v1, v2
	ds_bpermute_b32 v2, v3, v1
	s_wait_alu 0xf1ff
	v_cndmask_b32_e64 v3, v55, v57, s6
	s_wait_dscnt 0x0
	v_max_num_f32_e32 v2, v2, v2
	s_delay_alu instid0(VALU_DEP_1) | instskip(NEXT) | instid1(VALU_DEP_3)
	v_max_num_f32_e32 v1, v1, v2
	v_lshlrev_b32_e32 v3, 2, v3
	ds_bpermute_b32 v2, v3, v1
	s_wait_dscnt 0x0
	v_max_num_f32_e32 v2, v2, v2
	s_delay_alu instid0(VALU_DEP_1) | instskip(NEXT) | instid1(VALU_DEP_1)
	v_max_num_f32_e32 v50, v1, v2
	v_sub_f32_e32 v0, v0, v50
	s_delay_alu instid0(VALU_DEP_1) | instskip(SKIP_1) | instid1(VALU_DEP_2)
	v_mul_f32_e32 v1, 0x3fb8aa3b, v0
	v_cmp_ngt_f32_e64 s6, 0xc2ce8ed0, v0
	v_fma_f32 v2, 0x3fb8aa3b, v0, -v1
	v_rndne_f32_e32 v3, v1
	s_delay_alu instid0(VALU_DEP_1) | instskip(NEXT) | instid1(VALU_DEP_1)
	v_dual_fmac_f32 v2, 0x32a5705f, v0 :: v_dual_sub_f32 v1, v1, v3
	v_add_f32_e32 v1, v1, v2
	v_cvt_i32_f32_e32 v2, v3
	s_delay_alu instid0(VALU_DEP_2) | instskip(NEXT) | instid1(TRANS32_DEP_1)
	v_exp_f32_e32 v1, v1
	v_ldexp_f32 v1, v1, v2
	s_wait_alu 0xf1ff
	s_delay_alu instid0(VALU_DEP_1) | instskip(SKIP_2) | instid1(VALU_DEP_1)
	v_cndmask_b32_e64 v1, 0, v1, s6
	v_cmp_nlt_f32_e64 s6, 0x42b17218, v0
	s_wait_alu 0xf1ff
	v_cndmask_b32_e64 v75, 0x7f800000, v1, s6
	s_mul_u64 s[6:7], s[14:15], s[26:27]
	s_wait_alu 0xfffe
	s_lshl_b64 s[6:7], s[6:7], 2
	s_delay_alu instid0(VALU_DEP_1)
	v_cvt_f16_f32_e32 v0, v75
	s_wait_alu 0xfffe
	s_add_nc_u64 s[8:9], s[38:39], s[6:7]
	ds_store_b16 v68, v0
	s_and_saveexec_b32 s7, s4
	s_cbranch_execz .LBB27_21
; %bb.20:                               ;   in Loop: Header=BB27_11 Depth=1
	s_wait_alu 0xfffe
	v_add_co_u32 v0, s6, s8, v46
	s_wait_alu 0xf1ff
	v_add_co_ci_u32_e64 v1, null, s9, v47, s6
	s_delay_alu instid0(VALU_DEP_2) | instskip(SKIP_1) | instid1(VALU_DEP_2)
	v_add_co_u32 v0, s6, v0, v72
	s_wait_alu 0xf1ff
	v_add_co_ci_u32_e64 v1, null, 0, v1, s6
	global_load_b128 v[0:3], v[0:1], off offset:128
	s_wait_loadcnt 0x0
	ds_store_b128 v69, v[0:3]
.LBB27_21:                              ;   in Loop: Header=BB27_11 Depth=1
	s_wait_alu 0xfffe
	s_or_b32 exec_lo, exec_lo, s7
	v_lshlrev_b32_e32 v79, 2, v67
	s_and_saveexec_b32 s7, s5
	s_cbranch_execz .LBB27_23
; %bb.22:                               ;   in Loop: Header=BB27_11 Depth=1
	v_add_co_u32 v0, s6, s8, v48
	s_wait_alu 0xf1ff
	v_add_co_ci_u32_e64 v1, null, s9, v49, s6
	s_delay_alu instid0(VALU_DEP_2) | instskip(SKIP_1) | instid1(VALU_DEP_2)
	v_add_co_u32 v0, s6, v0, v79
	s_wait_alu 0xf1ff
	v_add_co_ci_u32_e64 v1, null, 0, v1, s6
	global_load_b128 v[0:3], v[0:1], off
	s_wait_loadcnt 0x0
	ds_store_b128 v70, v[0:3]
.LBB27_23:                              ;   in Loop: Header=BB27_11 Depth=1
	s_wait_alu 0xfffe
	s_or_b32 exec_lo, exec_lo, s7
	v_add_nc_u32_e32 v78, 0x400, v54
	v_add_nc_u32_e32 v77, 0x800, v54
	s_wait_loadcnt_dscnt 0x0
	s_barrier_signal -1
	s_barrier_wait -1
	global_inv scope:SCOPE_SE
	ds_load_2addr_b64 v[32:35], v54 offset1:24
	ds_load_b128 v[20:23], v66
	ds_load_b128 v[0:3], v66 offset:16
	ds_load_2addr_b64 v[24:27], v54 offset0:48 offset1:72
	ds_load_2addr_b64 v[36:39], v54 offset0:96 offset1:120
	;; [unrolled: 1-line block ×7, first 2 shown]
	v_sub_f32_e32 v76, v76, v50
	s_or_b32 s6, s14, 16
	s_wait_loadcnt_dscnt 0x0
	s_wait_alu 0xfffe
	s_ashr_i32 s7, s6, 31
	s_barrier_signal -1
	s_wait_alu 0xfffe
	s_mul_u64 s[8:9], s[6:7], s[26:27]
	v_cmp_ngt_f32_e64 s6, 0xc2ce8ed0, v76
	v_cmp_nlt_f32_e64 s7, 0x42b17218, v76
	s_wait_alu 0xfffe
	s_lshl_b64 s[8:9], s[8:9], 2
	s_barrier_wait -1
	s_wait_alu 0xfffe
	s_add_nc_u64 s[40:41], s[38:39], s[8:9]
	global_inv scope:SCOPE_SE
	s_and_saveexec_b32 s9, s4
	s_cbranch_execz .LBB27_25
; %bb.24:                               ;   in Loop: Header=BB27_11 Depth=1
	s_wait_alu 0xfffe
	v_add_co_u32 v80, s8, s40, v46
	s_wait_alu 0xf1ff
	v_add_co_ci_u32_e64 v81, null, s41, v47, s8
	s_delay_alu instid0(VALU_DEP_2) | instskip(SKIP_1) | instid1(VALU_DEP_2)
	v_add_co_u32 v80, s8, v80, v72
	s_wait_alu 0xf1ff
	v_add_co_ci_u32_e64 v81, null, 0, v81, s8
	global_load_b128 v[80:83], v[80:81], off offset:128
	s_wait_loadcnt 0x0
	ds_store_b128 v69, v[80:83]
.LBB27_25:                              ;   in Loop: Header=BB27_11 Depth=1
	s_wait_alu 0xfffe
	s_or_b32 exec_lo, exec_lo, s9
	s_and_saveexec_b32 s9, s5
	s_cbranch_execz .LBB27_27
; %bb.26:                               ;   in Loop: Header=BB27_11 Depth=1
	v_add_co_u32 v80, s8, s40, v48
	s_wait_alu 0xf1ff
	v_add_co_ci_u32_e64 v81, null, s41, v49, s8
	s_delay_alu instid0(VALU_DEP_2) | instskip(SKIP_1) | instid1(VALU_DEP_2)
	v_add_co_u32 v79, s8, v80, v79
	s_wait_alu 0xf1ff
	v_add_co_ci_u32_e64 v80, null, 0, v81, s8
	global_load_b128 v[79:82], v[79:80], off
	s_wait_loadcnt 0x0
	ds_store_b128 v70, v[79:82]
.LBB27_27:                              ;   in Loop: Header=BB27_11 Depth=1
	s_wait_alu 0xfffe
	s_or_b32 exec_lo, exec_lo, s9
	v_mul_f32_e32 v79, 0x3fb8aa3b, v76
	s_wait_loadcnt_dscnt 0x0
	s_barrier_signal -1
	s_barrier_wait -1
	global_inv scope:SCOPE_SE
	v_fma_f32 v80, 0x3fb8aa3b, v76, -v79
	v_rndne_f32_e32 v81, v79
	s_delay_alu instid0(VALU_DEP_2) | instskip(NEXT) | instid1(VALU_DEP_2)
	v_fmac_f32_e32 v80, 0x32a5705f, v76
	v_sub_f32_e32 v76, v79, v81
	v_cvt_i32_f32_e32 v79, v81
	s_delay_alu instid0(VALU_DEP_2) | instskip(NEXT) | instid1(VALU_DEP_1)
	v_add_f32_e32 v76, v76, v80
	v_exp_f32_e32 v76, v76
	s_delay_alu instid0(TRANS32_DEP_1) | instskip(SKIP_2) | instid1(VALU_DEP_3)
	v_ldexp_f32 v76, v76, v79
	v_and_b32_e32 v79, 0xffff, v20
	v_lshrrev_b32_e32 v20, 16, v20
	v_cndmask_b32_e64 v76, 0, v76, s6
	s_delay_alu instid0(VALU_DEP_3) | instskip(NEXT) | instid1(VALU_DEP_3)
	v_mul_u32_u24_e32 v79, 0x10001, v79
	v_mul_u32_u24_e32 v20, 0x10001, v20
	s_delay_alu instid0(VALU_DEP_3) | instskip(NEXT) | instid1(VALU_DEP_3)
	v_cndmask_b32_e64 v76, 0x7f800000, v76, s7
	v_pk_mul_f16 v32, v32, v79
	v_pk_mul_f16 v33, v33, v79
	v_and_b32_e32 v79, 0xffff, v21
	v_lshrrev_b32_e32 v21, 16, v21
	v_cvt_f16_f32_e32 v80, v76
	v_fmac_f32_e32 v75, v74, v76
	s_delay_alu instid0(VALU_DEP_3) | instskip(NEXT) | instid1(VALU_DEP_3)
	v_mul_u32_u24_e32 v21, 0x10001, v21
	v_and_b32_e32 v80, 0xffff, v80
	s_delay_alu instid0(VALU_DEP_1) | instskip(NEXT) | instid1(VALU_DEP_1)
	v_mul_u32_u24_e32 v80, 0x10001, v80
	v_pk_fma_f16 v32, v65, v80, v32
	v_pk_fma_f16 v33, v73, v80, v33
	v_mul_u32_u24_e32 v65, 0x10001, v79
	s_delay_alu instid0(VALU_DEP_3) | instskip(NEXT) | instid1(VALU_DEP_3)
	v_pk_fma_f16 v32, v34, v20, v32
	v_pk_fma_f16 v20, v35, v20, v33
	v_and_b32_e32 v33, 0xffff, v22
	v_lshrrev_b32_e32 v22, 16, v22
	s_delay_alu instid0(VALU_DEP_4) | instskip(NEXT) | instid1(VALU_DEP_4)
	v_pk_fma_f16 v24, v24, v65, v32
	v_pk_fma_f16 v20, v25, v65, v20
	s_delay_alu instid0(VALU_DEP_4) | instskip(NEXT) | instid1(VALU_DEP_4)
	v_mul_u32_u24_e32 v25, 0x10001, v33
	v_mul_u32_u24_e32 v22, 0x10001, v22
	s_delay_alu instid0(VALU_DEP_4) | instskip(NEXT) | instid1(VALU_DEP_4)
	v_pk_fma_f16 v24, v26, v21, v24
	v_pk_fma_f16 v20, v27, v21, v20
	v_and_b32_e32 v21, 0xffff, v23
	v_lshrrev_b32_e32 v23, 16, v23
	s_delay_alu instid0(VALU_DEP_4) | instskip(NEXT) | instid1(VALU_DEP_4)
	v_pk_fma_f16 v24, v36, v25, v24
	v_pk_fma_f16 v20, v37, v25, v20
	s_delay_alu instid0(VALU_DEP_4) | instskip(NEXT) | instid1(VALU_DEP_4)
	v_mul_u32_u24_e32 v21, 0x10001, v21
	v_mul_u32_u24_e32 v23, 0x10001, v23
	s_delay_alu instid0(VALU_DEP_4) | instskip(NEXT) | instid1(VALU_DEP_4)
	v_pk_fma_f16 v24, v38, v22, v24
	v_pk_fma_f16 v20, v39, v22, v20
	v_lshrrev_b32_e32 v22, 16, v0
	v_and_b32_e32 v0, 0xffff, v0
	s_delay_alu instid0(VALU_DEP_4) | instskip(NEXT) | instid1(VALU_DEP_4)
	v_pk_fma_f16 v24, v28, v21, v24
	v_pk_fma_f16 v20, v29, v21, v20
	v_lshrrev_b32_e32 v21, 16, v1
	s_delay_alu instid0(VALU_DEP_4)
	v_mul_u32_u24_e32 v0, 0x10001, v0
	v_and_b32_e32 v1, 0xffff, v1
	v_pk_fma_f16 v24, v30, v23, v24
	v_pk_fma_f16 v20, v31, v23, v20
	v_mul_u32_u24_e32 v22, 0x10001, v22
	v_and_b32_e32 v23, 0xffff, v2
	v_mul_u32_u24_e32 v1, 0x10001, v1
	v_pk_fma_f16 v16, v16, v0, v24
	v_pk_fma_f16 v0, v17, v0, v20
	v_mul_u32_u24_e32 v21, 0x10001, v21
	s_delay_alu instid0(VALU_DEP_3) | instskip(NEXT) | instid1(VALU_DEP_3)
	v_pk_fma_f16 v20, v18, v22, v16
	v_pk_fma_f16 v0, v19, v22, v0
	ds_load_b128 v[16:19], v66 offset:32
	v_pk_fma_f16 v12, v12, v1, v20
	v_pk_fma_f16 v0, v13, v1, v0
	v_lshrrev_b32_e32 v1, 16, v2
	v_mul_u32_u24_e32 v2, 0x10001, v23
	s_delay_alu instid0(VALU_DEP_4) | instskip(NEXT) | instid1(VALU_DEP_4)
	v_pk_fma_f16 v20, v14, v21, v12
	v_pk_fma_f16 v0, v15, v21, v0
	v_and_b32_e32 v21, 0xffff, v3
	ds_load_2addr_b64 v[12:15], v54 offset1:24
	v_mul_u32_u24_e32 v22, 0x10001, v1
	v_pk_fma_f16 v8, v8, v2, v20
	v_pk_fma_f16 v9, v9, v2, v0
	v_lshrrev_b32_e32 v20, 16, v3
	v_mul_u32_u24_e32 v21, 0x10001, v21
	ds_load_b128 v[0:3], v66 offset:48
	v_pk_fma_f16 v23, v10, v22, v8
	v_pk_fma_f16 v22, v11, v22, v9
	ds_load_2addr_b64 v[8:11], v54 offset0:48 offset1:72
	v_mul_u32_u24_e32 v20, 0x10001, v20
	s_wait_dscnt 0x3
	v_and_b32_e32 v24, 0xffff, v16
	v_pk_fma_f16 v4, v4, v21, v23
	v_pk_fma_f16 v5, v5, v21, v22
	v_lshrrev_b32_e32 v16, 16, v16
	v_and_b32_e32 v23, 0xffff, v17
	v_mul_u32_u24_e32 v21, 0x10001, v24
	v_pk_fma_f16 v22, v6, v20, v4
	v_pk_fma_f16 v20, v7, v20, v5
	ds_load_2addr_b64 v[4:7], v54 offset0:96 offset1:120
	v_mul_u32_u24_e32 v16, 0x10001, v16
	v_lshrrev_b32_e32 v17, 16, v17
	s_wait_dscnt 0x3
	v_pk_fma_f16 v12, v12, v21, v22
	v_pk_fma_f16 v13, v13, v21, v20
	v_mul_u32_u24_e32 v20, 0x10001, v23
	v_and_b32_e32 v24, 0xffff, v18
	v_mul_u32_u24_e32 v17, 0x10001, v17
	v_pk_fma_f16 v21, v14, v16, v12
	v_pk_fma_f16 v16, v15, v16, v13
	ds_load_2addr_b64 v[12:15], v54 offset0:144 offset1:168
	v_and_b32_e32 v28, 0xffff, v19
	s_wait_dscnt 0x2
	v_pk_fma_f16 v8, v8, v20, v21
	v_pk_fma_f16 v9, v9, v20, v16
	v_lshrrev_b32_e32 v16, 16, v18
	v_mul_u32_u24_e32 v18, 0x10001, v24
	ds_load_2addr_b64 v[20:23], v54 offset0:192 offset1:216
	v_pk_fma_f16 v24, v10, v17, v8
	v_pk_fma_f16 v17, v11, v17, v9
	v_mul_u32_u24_e32 v16, 0x10001, v16
	ds_load_2addr_b64 v[8:11], v78 offset0:112 offset1:136
	s_wait_dscnt 0x3
	v_pk_fma_f16 v4, v4, v18, v24
	v_pk_fma_f16 v5, v5, v18, v17
	v_lshrrev_b32_e32 v17, 16, v19
	v_mul_u32_u24_e32 v18, 0x10001, v28
	v_and_b32_e32 v28, 0xffff, v0
	v_pk_fma_f16 v19, v6, v16, v4
	v_pk_fma_f16 v16, v7, v16, v5
	v_mul_u32_u24_e32 v17, 0x10001, v17
	v_lshrrev_b32_e32 v0, 16, v0
	ds_load_2addr_b64 v[24:27], v77 offset0:32 offset1:56
	s_wait_dscnt 0x3
	v_pk_fma_f16 v12, v12, v18, v19
	v_pk_fma_f16 v13, v13, v18, v16
	v_mul_u32_u24_e32 v16, 0x10001, v28
	v_mul_u32_u24_e32 v0, 0x10001, v0
	ds_load_2addr_b64 v[4:7], v77 offset0:80 offset1:104
	v_pk_fma_f16 v12, v14, v17, v12
	v_pk_fma_f16 v13, v15, v17, v13
	v_and_b32_e32 v14, 0xffff, v1
	v_lshrrev_b32_e32 v1, 16, v1
	s_wait_loadcnt_dscnt 0x0
	v_pk_fma_f16 v12, v20, v16, v12
	v_pk_fma_f16 v13, v21, v16, v13
	v_mul_u32_u24_e32 v14, 0x10001, v14
	v_mul_u32_u24_e32 v1, 0x10001, v1
	s_barrier_signal -1
	v_pk_fma_f16 v12, v22, v0, v12
	v_pk_fma_f16 v0, v23, v0, v13
	v_and_b32_e32 v13, 0xffff, v2
	s_barrier_wait -1
	global_inv scope:SCOPE_SE
	v_pk_fma_f16 v8, v8, v14, v12
	v_pk_fma_f16 v0, v9, v14, v0
	s_load_b32 s6, s[20:21], 0x4
	v_lshrrev_b32_e32 v2, 16, v2
	v_mul_u32_u24_e32 v9, 0x10001, v13
	v_pk_fma_f16 v8, v10, v1, v8
	v_pk_fma_f16 v0, v11, v1, v0
	v_and_b32_e32 v1, 0xffff, v3
	v_mul_u32_u24_e32 v2, 0x10001, v2
	v_lshrrev_b32_e32 v3, 16, v3
	v_pk_fma_f16 v8, v24, v9, v8
	v_pk_fma_f16 v0, v25, v9, v0
	v_mul_u32_u24_e32 v1, 0x10001, v1
	s_delay_alu instid0(VALU_DEP_3) | instskip(NEXT) | instid1(VALU_DEP_3)
	v_pk_fma_f16 v8, v26, v2, v8
	v_pk_fma_f16 v0, v27, v2, v0
	v_mul_u32_u24_e32 v2, 0x10001, v3
	s_delay_alu instid0(VALU_DEP_3) | instskip(NEXT) | instid1(VALU_DEP_3)
	v_pk_fma_f16 v3, v4, v1, v8
	v_pk_fma_f16 v0, v5, v1, v0
	s_wait_kmcnt 0x0
	s_lshl_b32 s6, s6, 5
	s_wait_alu 0xfffe
	s_add_co_i32 s14, s6, s14
	v_pk_fma_f16 v65, v6, v2, v3
	v_pk_fma_f16 v73, v7, v2, v0
	s_wait_alu 0xfffe
	s_cmp_ge_i32 s14, s30
	s_cbranch_scc1 .LBB27_29
; %bb.28:                               ;   in Loop: Header=BB27_11 Depth=1
	v_mov_b32_e32 v76, v50
	v_mov_b32_e32 v74, v75
	s_branch .LBB27_11
.LBB27_29:
	v_mov_b32_e32 v1, v55
.LBB27_30:
	v_cmp_lt_i32_e32 vcc_lo, v61, v56
	s_cmp_lg_u64 s[12:13], 0
	s_cselect_b32 s3, -1, 0
	s_cmp_eq_u32 s10, 0
	s_wait_alu 0xfffd
	v_cndmask_b32_e32 v0, v1, v61, vcc_lo
	v_cmp_lt_i32_e32 vcc_lo, v60, v56
	s_cselect_b32 s4, -1, 0
	s_wait_alu 0xfffe
	s_and_b32 s3, s4, s3
	s_wait_alu 0xfffd
	v_cndmask_b32_e32 v2, v1, v60, vcc_lo
	v_cmp_lt_i32_e32 vcc_lo, v59, v56
	s_wait_alu 0xfffd
	s_delay_alu instid0(VALU_DEP_2) | instskip(SKIP_1) | instid1(VALU_DEP_2)
	v_dual_cndmask_b32 v3, v1, v59 :: v_dual_lshlrev_b32 v2, 2, v2
	v_cmp_lt_i32_e32 vcc_lo, v58, v56
	v_lshlrev_b32_e32 v3, 2, v3
	v_lshlrev_b32_e32 v0, 2, v0
	ds_bpermute_b32 v0, v0, v75
	s_wait_dscnt 0x0
	v_add_f32_e32 v0, v75, v0
	ds_bpermute_b32 v2, v2, v0
	s_wait_dscnt 0x0
	v_add_f32_e32 v0, v0, v2
	ds_bpermute_b32 v2, v3, v0
	s_wait_alu 0xfffd
	v_cndmask_b32_e32 v3, v1, v58, vcc_lo
	v_cmp_lt_i32_e32 vcc_lo, v57, v56
	s_delay_alu instid0(VALU_DEP_2)
	v_lshlrev_b32_e32 v3, 2, v3
	s_wait_alu 0xfffd
	v_cndmask_b32_e32 v1, v1, v57, vcc_lo
	s_wait_alu 0xfffe
	s_and_b32 vcc_lo, exec_lo, s3
	s_wait_dscnt 0x0
	s_delay_alu instid0(VALU_DEP_1)
	v_dual_add_f32 v0, v0, v2 :: v_dual_lshlrev_b32 v1, 2, v1
	ds_bpermute_b32 v2, v3, v0
	s_wait_dscnt 0x0
	v_add_f32_e32 v0, v0, v2
	ds_bpermute_b32 v1, v1, v0
	s_wait_dscnt 0x0
	v_add_f32_e32 v51, v0, v1
	s_wait_alu 0xfffe
	s_cbranch_vccz .LBB27_32
; %bb.31:
	v_add_nc_u32_e32 v0, s11, v52
	s_delay_alu instid0(VALU_DEP_1) | instskip(NEXT) | instid1(VALU_DEP_1)
	v_ashrrev_i32_e32 v1, 31, v0
	v_lshlrev_b64_e32 v[0:1], 2, v[0:1]
	s_delay_alu instid0(VALU_DEP_1) | instskip(SKIP_1) | instid1(VALU_DEP_2)
	v_add_co_u32 v0, vcc_lo, s12, v0
	s_wait_alu 0xfffd
	v_add_co_ci_u32_e64 v1, null, s13, v1, vcc_lo
	global_load_b32 v0, v[0:1], off
	s_wait_loadcnt 0x0
	v_dual_max_num_f32 v1, v50, v50 :: v_dual_max_num_f32 v2, v0, v0
	s_delay_alu instid0(VALU_DEP_1) | instskip(NEXT) | instid1(VALU_DEP_1)
	v_max_num_f32_e32 v1, v1, v2
	v_sub_f32_e32 v0, v0, v1
	s_delay_alu instid0(VALU_DEP_1) | instskip(SKIP_2) | instid1(VALU_DEP_3)
	v_mul_f32_e32 v6, 0x3fb8aa3b, v0
	v_sub_f32_e32 v2, v50, v1
	v_mov_b32_e32 v50, v1
	v_rndne_f32_e32 v8, v6
	s_delay_alu instid0(VALU_DEP_3) | instskip(NEXT) | instid1(VALU_DEP_1)
	v_mul_f32_e32 v3, 0x3fb8aa3b, v2
	v_fma_f32 v4, 0x3fb8aa3b, v2, -v3
	v_rndne_f32_e32 v5, v3
	s_delay_alu instid0(VALU_DEP_1) | instskip(SKIP_1) | instid1(VALU_DEP_2)
	v_dual_fmac_f32 v4, 0x32a5705f, v2 :: v_dual_sub_f32 v3, v3, v5
	v_cvt_i32_f32_e32 v5, v5
	v_add_f32_e32 v3, v3, v4
	v_cmp_ngt_f32_e32 vcc_lo, 0xc2ce8ed0, v2
	v_sub_f32_e32 v4, v6, v8
	s_delay_alu instid0(VALU_DEP_3) | instskip(NEXT) | instid1(TRANS32_DEP_1)
	v_exp_f32_e32 v3, v3
	v_ldexp_f32 v3, v3, v5
	v_cvt_i32_f32_e32 v5, v8
	s_wait_alu 0xfffd
	s_delay_alu instid0(VALU_DEP_2) | instskip(SKIP_2) | instid1(VALU_DEP_2)
	v_cndmask_b32_e32 v3, 0, v3, vcc_lo
	v_fma_f32 v7, 0x3fb8aa3b, v0, -v6
	v_cmp_nlt_f32_e32 vcc_lo, 0x42b17218, v2
	v_fmac_f32_e32 v7, 0x32a5705f, v0
	s_wait_alu 0xfffd
	v_cndmask_b32_e32 v2, 0x7f800000, v3, vcc_lo
	v_cmp_ngt_f32_e32 vcc_lo, 0xc2ce8ed0, v0
	s_delay_alu instid0(VALU_DEP_3) | instskip(NEXT) | instid1(VALU_DEP_1)
	v_add_f32_e32 v4, v4, v7
	v_exp_f32_e32 v4, v4
	s_delay_alu instid0(TRANS32_DEP_1) | instskip(SKIP_1) | instid1(VALU_DEP_1)
	v_ldexp_f32 v4, v4, v5
	s_wait_alu 0xfffd
	v_cndmask_b32_e32 v3, 0, v4, vcc_lo
	v_cmp_nlt_f32_e32 vcc_lo, 0x42b17218, v0
	s_wait_alu 0xfffd
	s_delay_alu instid0(VALU_DEP_2) | instskip(NEXT) | instid1(VALU_DEP_1)
	v_cndmask_b32_e32 v0, 0x7f800000, v3, vcc_lo
	v_fmac_f32_e32 v0, v51, v2
	s_delay_alu instid0(VALU_DEP_1) | instskip(SKIP_1) | instid1(VALU_DEP_1)
	v_mov_b32_e32 v51, v0
	v_cvt_f16_f32_e32 v4, v2
	v_and_b32_e32 v3, 0xffff, v4
	s_delay_alu instid0(VALU_DEP_1) | instskip(NEXT) | instid1(VALU_DEP_1)
	v_mul_u32_u24_e32 v2, 0x10001, v3
	v_pk_mul_f16 v65, v65, v2
	v_pk_mul_f16 v73, v73, v2
.LBB27_32:
	v_add_nc_u32_e32 v0, s31, v53
	s_mov_b32 s3, exec_lo
	s_delay_alu instid0(VALU_DEP_1)
	v_cmpx_gt_i32_e64 s22, v0
	s_cbranch_execz .LBB27_37
; %bb.33:
	v_mad_co_u64_u32 v[0:1], null, s28, s22, v[0:1]
	s_load_b32 s0, s[0:1], 0xd4
	v_mul_lo_u32 v0, v0, s23
	s_delay_alu instid0(VALU_DEP_1) | instskip(SKIP_2) | instid1(VALU_DEP_1)
	v_add3_u32 v0, s11, v52, v0
	s_wait_kmcnt 0x0
	s_cmp_lg_u32 s0, 1
	v_mad_co_u64_u32 v[0:1], null, s0, v0, s[10:11]
	s_cselect_b32 s0, -1, 0
	s_and_saveexec_b32 s1, s2
	s_cbranch_execz .LBB27_35
; %bb.34:
	v_div_scale_f32 v1, null, v51, v51, 1.0
	v_div_scale_f32 v4, vcc_lo, 1.0, v51, 1.0
	v_lshrrev_b32_e32 v6, 16, v65
	s_delay_alu instid0(VALU_DEP_3) | instskip(SKIP_1) | instid1(VALU_DEP_2)
	v_rcp_f32_e32 v2, v1
	v_cvt_f32_f16_e32 v9, v65
	v_cvt_f32_f16_e32 v8, v6
	s_delay_alu instid0(TRANS32_DEP_1) | instskip(NEXT) | instid1(VALU_DEP_1)
	v_fma_f32 v3, -v1, v2, 1.0
	v_fmac_f32_e32 v2, v3, v2
	s_delay_alu instid0(VALU_DEP_1) | instskip(NEXT) | instid1(VALU_DEP_1)
	v_mul_f32_e32 v3, v4, v2
	v_fma_f32 v5, -v1, v3, v4
	s_delay_alu instid0(VALU_DEP_1) | instskip(NEXT) | instid1(VALU_DEP_1)
	v_fmac_f32_e32 v3, v5, v2
	v_fma_f32 v1, -v1, v3, v4
	v_lshrrev_b32_e32 v4, 16, v73
	s_wait_alu 0xfffd
	s_delay_alu instid0(VALU_DEP_2) | instskip(SKIP_3) | instid1(VALU_DEP_4)
	v_div_fmas_f32 v1, v1, v2, v3
	v_mul_lo_u32 v3, 0x60, v0
	v_mov_b32_e32 v2, 0
	v_cvt_f32_f16_e32 v4, v4
	v_div_fixup_f32 v5, v1, v51, 1.0
	s_delay_alu instid0(VALU_DEP_4) | instskip(SKIP_1) | instid1(VALU_DEP_2)
	v_lshl_add_u32 v1, v40, 2, v3
	s_wait_alu 0xfffe
	v_cndmask_b32_e64 v7, v5, 1.0, s0
	v_cvt_f32_f16_e32 v3, v73
	s_delay_alu instid0(VALU_DEP_3) | instskip(NEXT) | instid1(VALU_DEP_3)
	v_lshlrev_b64_e32 v[5:6], 2, v[1:2]
	v_mul_f32_e32 v4, v7, v4
	s_delay_alu instid0(VALU_DEP_3)
	v_mul_f32_e32 v3, v7, v3
	v_mul_f32_e32 v2, v7, v8
	;; [unrolled: 1-line block ×3, first 2 shown]
	v_add_co_u32 v5, vcc_lo, s16, v5
	s_wait_alu 0xfffd
	v_add_co_ci_u32_e64 v6, null, s17, v6, vcc_lo
	global_store_b128 v[5:6], v[1:4], off
.LBB27_35:
	s_wait_alu 0xfffe
	s_or_b32 exec_lo, exec_lo, s1
	v_cmp_eq_u32_e32 vcc_lo, 0, v40
	s_and_b32 s0, vcc_lo, s0
	s_wait_alu 0xfffe
	s_and_b32 exec_lo, exec_lo, s0
	s_cbranch_execz .LBB27_37
; %bb.36:
	v_ashrrev_i32_e32 v1, 31, v0
	s_delay_alu instid0(VALU_DEP_1) | instskip(NEXT) | instid1(VALU_DEP_1)
	v_lshlrev_b64_e32 v[0:1], 3, v[0:1]
	v_add_co_u32 v0, vcc_lo, s18, v0
	s_wait_alu 0xfffd
	s_delay_alu instid0(VALU_DEP_2)
	v_add_co_ci_u32_e64 v1, null, s19, v1, vcc_lo
	global_store_b64 v[0:1], v[50:51], off
.LBB27_37:
	s_endpgm
	.section	.rodata,"a",@progbits
	.p2align	6, 0x0
	.amdhsa_kernel _ZL15flash_attn_tileILi96ELi96ELi2ELi4ELb0EEvPKcS1_S1_S1_S1_PKiPfP15HIP_vector_typeIfLj2EEffffjfiS5_IjLj3EEiiiiiiiiiiiliiliiiiil
		.amdhsa_group_segment_fixed_size 5760
		.amdhsa_private_segment_fixed_size 0
		.amdhsa_kernarg_size 464
		.amdhsa_user_sgpr_count 2
		.amdhsa_user_sgpr_dispatch_ptr 0
		.amdhsa_user_sgpr_queue_ptr 0
		.amdhsa_user_sgpr_kernarg_segment_ptr 1
		.amdhsa_user_sgpr_dispatch_id 0
		.amdhsa_user_sgpr_private_segment_size 0
		.amdhsa_wavefront_size32 1
		.amdhsa_uses_dynamic_stack 0
		.amdhsa_enable_private_segment 0
		.amdhsa_system_sgpr_workgroup_id_x 1
		.amdhsa_system_sgpr_workgroup_id_y 1
		.amdhsa_system_sgpr_workgroup_id_z 1
		.amdhsa_system_sgpr_workgroup_info 0
		.amdhsa_system_vgpr_workitem_id 1
		.amdhsa_next_free_vgpr 84
		.amdhsa_next_free_sgpr 48
		.amdhsa_reserve_vcc 1
		.amdhsa_float_round_mode_32 0
		.amdhsa_float_round_mode_16_64 0
		.amdhsa_float_denorm_mode_32 3
		.amdhsa_float_denorm_mode_16_64 3
		.amdhsa_fp16_overflow 0
		.amdhsa_workgroup_processor_mode 1
		.amdhsa_memory_ordered 1
		.amdhsa_forward_progress 1
		.amdhsa_inst_pref_size 46
		.amdhsa_round_robin_scheduling 0
		.amdhsa_exception_fp_ieee_invalid_op 0
		.amdhsa_exception_fp_denorm_src 0
		.amdhsa_exception_fp_ieee_div_zero 0
		.amdhsa_exception_fp_ieee_overflow 0
		.amdhsa_exception_fp_ieee_underflow 0
		.amdhsa_exception_fp_ieee_inexact 0
		.amdhsa_exception_int_div_zero 0
	.end_amdhsa_kernel
	.section	.text._ZL15flash_attn_tileILi96ELi96ELi2ELi4ELb0EEvPKcS1_S1_S1_S1_PKiPfP15HIP_vector_typeIfLj2EEffffjfiS5_IjLj3EEiiiiiiiiiiiliiliiiiil,"axG",@progbits,_ZL15flash_attn_tileILi96ELi96ELi2ELi4ELb0EEvPKcS1_S1_S1_S1_PKiPfP15HIP_vector_typeIfLj2EEffffjfiS5_IjLj3EEiiiiiiiiiiiliiliiiiil,comdat
.Lfunc_end27:
	.size	_ZL15flash_attn_tileILi96ELi96ELi2ELi4ELb0EEvPKcS1_S1_S1_S1_PKiPfP15HIP_vector_typeIfLj2EEffffjfiS5_IjLj3EEiiiiiiiiiiiliiliiiiil, .Lfunc_end27-_ZL15flash_attn_tileILi96ELi96ELi2ELi4ELb0EEvPKcS1_S1_S1_S1_PKiPfP15HIP_vector_typeIfLj2EEffffjfiS5_IjLj3EEiiiiiiiiiiiliiliiiiil
                                        ; -- End function
	.set _ZL15flash_attn_tileILi96ELi96ELi2ELi4ELb0EEvPKcS1_S1_S1_S1_PKiPfP15HIP_vector_typeIfLj2EEffffjfiS5_IjLj3EEiiiiiiiiiiiliiliiiiil.num_vgpr, 84
	.set _ZL15flash_attn_tileILi96ELi96ELi2ELi4ELb0EEvPKcS1_S1_S1_S1_PKiPfP15HIP_vector_typeIfLj2EEffffjfiS5_IjLj3EEiiiiiiiiiiiliiliiiiil.num_agpr, 0
	.set _ZL15flash_attn_tileILi96ELi96ELi2ELi4ELb0EEvPKcS1_S1_S1_S1_PKiPfP15HIP_vector_typeIfLj2EEffffjfiS5_IjLj3EEiiiiiiiiiiiliiliiiiil.numbered_sgpr, 48
	.set _ZL15flash_attn_tileILi96ELi96ELi2ELi4ELb0EEvPKcS1_S1_S1_S1_PKiPfP15HIP_vector_typeIfLj2EEffffjfiS5_IjLj3EEiiiiiiiiiiiliiliiiiil.num_named_barrier, 0
	.set _ZL15flash_attn_tileILi96ELi96ELi2ELi4ELb0EEvPKcS1_S1_S1_S1_PKiPfP15HIP_vector_typeIfLj2EEffffjfiS5_IjLj3EEiiiiiiiiiiiliiliiiiil.private_seg_size, 0
	.set _ZL15flash_attn_tileILi96ELi96ELi2ELi4ELb0EEvPKcS1_S1_S1_S1_PKiPfP15HIP_vector_typeIfLj2EEffffjfiS5_IjLj3EEiiiiiiiiiiiliiliiiiil.uses_vcc, 1
	.set _ZL15flash_attn_tileILi96ELi96ELi2ELi4ELb0EEvPKcS1_S1_S1_S1_PKiPfP15HIP_vector_typeIfLj2EEffffjfiS5_IjLj3EEiiiiiiiiiiiliiliiiiil.uses_flat_scratch, 0
	.set _ZL15flash_attn_tileILi96ELi96ELi2ELi4ELb0EEvPKcS1_S1_S1_S1_PKiPfP15HIP_vector_typeIfLj2EEffffjfiS5_IjLj3EEiiiiiiiiiiiliiliiiiil.has_dyn_sized_stack, 0
	.set _ZL15flash_attn_tileILi96ELi96ELi2ELi4ELb0EEvPKcS1_S1_S1_S1_PKiPfP15HIP_vector_typeIfLj2EEffffjfiS5_IjLj3EEiiiiiiiiiiiliiliiiiil.has_recursion, 0
	.set _ZL15flash_attn_tileILi96ELi96ELi2ELi4ELb0EEvPKcS1_S1_S1_S1_PKiPfP15HIP_vector_typeIfLj2EEffffjfiS5_IjLj3EEiiiiiiiiiiiliiliiiiil.has_indirect_call, 0
	.section	.AMDGPU.csdata,"",@progbits
; Kernel info:
; codeLenInByte = 5828
; TotalNumSgprs: 50
; NumVgprs: 84
; ScratchSize: 0
; MemoryBound: 0
; FloatMode: 240
; IeeeMode: 1
; LDSByteSize: 5760 bytes/workgroup (compile time only)
; SGPRBlocks: 0
; VGPRBlocks: 10
; NumSGPRsForWavesPerEU: 50
; NumVGPRsForWavesPerEU: 84
; Occupancy: 16
; WaveLimiterHint : 1
; COMPUTE_PGM_RSRC2:SCRATCH_EN: 0
; COMPUTE_PGM_RSRC2:USER_SGPR: 2
; COMPUTE_PGM_RSRC2:TRAP_HANDLER: 0
; COMPUTE_PGM_RSRC2:TGID_X_EN: 1
; COMPUTE_PGM_RSRC2:TGID_Y_EN: 1
; COMPUTE_PGM_RSRC2:TGID_Z_EN: 1
; COMPUTE_PGM_RSRC2:TIDIG_COMP_CNT: 1
	.section	.text._ZL33flash_attn_stream_k_fixup_uniformILi96ELi2ELi4EEvPfPK15HIP_vector_typeIfLj2EEiiiiiiS1_IjLj3EES5_S5_,"axG",@progbits,_ZL33flash_attn_stream_k_fixup_uniformILi96ELi2ELi4EEvPfPK15HIP_vector_typeIfLj2EEiiiiiiS1_IjLj3EES5_S5_,comdat
	.globl	_ZL33flash_attn_stream_k_fixup_uniformILi96ELi2ELi4EEvPfPK15HIP_vector_typeIfLj2EEiiiiiiS1_IjLj3EES5_S5_ ; -- Begin function _ZL33flash_attn_stream_k_fixup_uniformILi96ELi2ELi4EEvPfPK15HIP_vector_typeIfLj2EEiiiiiiS1_IjLj3EES5_S5_
	.p2align	8
	.type	_ZL33flash_attn_stream_k_fixup_uniformILi96ELi2ELi4EEvPfPK15HIP_vector_typeIfLj2EEiiiiiiS1_IjLj3EES5_S5_,@function
_ZL33flash_attn_stream_k_fixup_uniformILi96ELi2ELi4EEvPfPK15HIP_vector_typeIfLj2EEiiiiiiS1_IjLj3EES5_S5_: ; @_ZL33flash_attn_stream_k_fixup_uniformILi96ELi2ELi4EEvPfPK15HIP_vector_typeIfLj2EEiiiiiiS1_IjLj3EES5_S5_
; %bb.0:
	s_clause 0x1
	s_load_b256 s[4:11], s[0:1], 0x1c
	s_load_b128 s[12:15], s[0:1], 0x3c
	s_wait_kmcnt 0x0
	s_mul_hi_u32 s2, s7, ttmp9
	s_delay_alu instid0(SALU_CYCLE_1) | instskip(NEXT) | instid1(SALU_CYCLE_1)
	s_add_co_i32 s2, ttmp9, s2
	s_lshr_b32 s2, s2, s8
	s_delay_alu instid0(SALU_CYCLE_1) | instskip(SKIP_2) | instid1(SALU_CYCLE_1)
	s_mul_i32 s3, s2, s9
	s_load_b64 s[8:9], s[0:1], 0x10
	s_sub_co_i32 s3, ttmp9, s3
	s_mul_hi_u32 s7, s3, s10
	s_delay_alu instid0(SALU_CYCLE_1) | instskip(NEXT) | instid1(SALU_CYCLE_1)
	s_add_co_i32 s7, s3, s7
	s_lshr_b32 s7, s7, s11
	s_lshr_b32 s11, ttmp7, 16
	s_mul_i32 s10, s7, s12
	s_delay_alu instid0(SALU_CYCLE_1) | instskip(NEXT) | instid1(SALU_CYCLE_1)
	s_sub_co_i32 s3, s3, s10
	s_mul_hi_u32 s10, s3, s13
	s_delay_alu instid0(SALU_CYCLE_1) | instskip(NEXT) | instid1(SALU_CYCLE_1)
	s_add_co_i32 s10, s3, s10
	s_lshr_b32 s13, s10, s14
	s_delay_alu instid0(SALU_CYCLE_1) | instskip(SKIP_4) | instid1(SALU_CYCLE_1)
	s_mul_i32 s10, s13, s15
	s_lshl_b32 s13, s13, 2
	s_sub_co_i32 s12, s3, s10
	s_and_b32 s10, ttmp7, 0xffff
	s_lshl_b32 s3, s12, 1
	s_add_co_i32 s3, s3, s10
	s_wait_kmcnt 0x0
	s_cmp_lt_i32 s3, s8
	s_cselect_b32 s3, -1, 0
	s_add_co_i32 s13, s13, s11
	s_delay_alu instid0(SALU_CYCLE_1) | instskip(SKIP_1) | instid1(SALU_CYCLE_1)
	s_cmp_lt_i32 s13, s5
	s_cselect_b32 s14, -1, 0
	s_and_b32 s3, s3, s14
	s_delay_alu instid0(SALU_CYCLE_1)
	s_and_not1_b32 vcc_lo, exec_lo, s3
	s_cbranch_vccnz .LBB28_6
; %bb.1:
	s_mul_i32 s8, s2, s8
	s_mul_i32 s7, s7, s5
	s_add_co_i32 s8, s8, s10
	s_add_co_i32 s5, s13, s7
	s_mul_i32 s8, s8, s9
	s_load_b128 s[0:3], s[0:1], 0x0
	s_mul_i32 s7, s9, s12
	s_add_co_i32 s5, s5, s8
	s_mulk_i32 s7, 0xc0
	s_mulk_i32 s5, 0x60
	s_mul_i32 s8, s6, ttmp9
	v_add3_u32 v1, s5, s7, v0
	s_lshl_b32 s5, s10, 2
	s_add_co_i32 s9, s8, s6
	s_delay_alu instid0(SALU_CYCLE_1) | instskip(NEXT) | instid1(VALU_DEP_1)
	s_add_co_i32 s7, s9, -2
	v_ashrrev_i32_e32 v2, 31, v1
	s_delay_alu instid0(VALU_DEP_1) | instskip(SKIP_1) | instid1(VALU_DEP_1)
	v_lshlrev_b64_e32 v[1:2], 2, v[1:2]
	s_wait_kmcnt 0x0
	v_add_co_u32 v1, vcc_lo, s0, v1
	s_delay_alu instid0(VALU_DEP_1)
	v_add_co_ci_u32_e64 v2, null, s1, v2, vcc_lo
	s_wait_alu 0xfffe
	s_add_co_i32 s0, s5, s11
	s_lshl_b32 s1, s9, 3
	global_load_b32 v5, v[1:2], off
	s_wait_alu 0xfffe
	s_add_co_i32 s0, s0, s1
	s_wait_alu 0xfffe
	s_add_co_i32 s0, s0, -8
	s_wait_alu 0xfffe
	s_ashr_i32 s1, s0, 31
	s_wait_alu 0xfffe
	s_lshl_b64 s[0:1], s[0:1], 3
	s_cmp_lt_i32 s7, s8
	s_wait_alu 0xfffe
	s_add_nc_u64 s[0:1], s[2:3], s[0:1]
	s_load_b32 s12, s[0:1], 0x4
	s_cbranch_scc1 .LBB28_4
; %bb.2:
	s_load_b32 s0, s[0:1], 0x0
	s_add_co_i32 s1, ttmp9, 1
	s_mulk_i32 s10, 0x180
	s_wait_alu 0xfffe
	s_mul_i32 s1, s6, s1
	s_lshl_b32 s14, s4, 5
	s_wait_alu 0xfffe
	s_lshl_b32 s13, s1, 3
	s_mulk_i32 s1, 0x300
	s_add_co_i32 s13, s11, s13
	s_mulk_i32 s11, 0x60
	s_lshl_b32 s4, s4, 3
	s_add_co_i32 s10, s11, s10
	s_ashr_i32 s15, s14, 31
	s_wait_alu 0xfffe
	s_add_co_i32 s10, s10, s1
	s_add_co_i32 s1, s13, s4
	v_add3_u32 v3, s10, v0, 0xfffffa00
	s_wait_kmcnt 0x0
	v_mov_b32_e32 v6, s12
	s_lshl_b64 s[6:7], s[14:15], 2
	s_wait_alu 0xfffe
	s_add_co_i32 s4, s1, s5
	s_add_nc_u64 s[6:7], s[2:3], s[6:7]
	s_add_co_i32 s1, s9, -1
	s_wait_alu 0xfffe
	s_add_co_i32 s4, s4, -16
.LBB28_3:                               ; =>This Inner Loop Header: Depth=1
	v_ashrrev_i32_e32 v4, 31, v3
	s_wait_alu 0xfffe
	s_ashr_i32 s5, s4, 31
	v_mov_b32_e32 v10, v6
	s_wait_alu 0xfffe
	s_lshl_b64 s[10:11], s[4:5], 3
	s_wait_loadcnt 0x0
	v_mov_b32_e32 v9, v5
	v_lshlrev_b64_e32 v[7:8], 2, v[3:4]
	s_wait_alu 0xfffe
	s_add_nc_u64 s[10:11], s[2:3], s[10:11]
	v_max_num_f32_e64 v4, s0, s0
	s_load_b64 s[10:11], s[10:11], 0x0
	v_add_nc_u32_e32 v3, 0xfffffd00, v3
	v_add_co_u32 v7, vcc_lo, s6, v7
	s_wait_alu 0xfffd
	v_add_co_ci_u32_e64 v8, null, s7, v8, vcc_lo
	v_readfirstlane_b32 s5, v4
	global_load_b32 v0, v[7:8], off
	s_wait_kmcnt 0x0
	v_max_num_f32_e64 v4, s10, s10
	s_delay_alu instid0(VALU_DEP_1) | instskip(SKIP_2) | instid1(SALU_CYCLE_2)
	v_readfirstlane_b32 s9, v4
	s_max_num_f32 s5, s5, s9
	s_wait_alu 0xfffe
	s_sub_f32 s0, s0, s5
	s_sub_f32 s9, s10, s5
	s_wait_alu 0xfffe
	s_delay_alu instid0(SALU_CYCLE_1) | instskip(NEXT) | instid1(SALU_CYCLE_1)
	s_mul_f32 s10, s0, 0x3fb8aa3b
	s_mul_f32 s12, s9, 0x3fb8aa3b
	s_wait_alu 0xfffe
	s_delay_alu instid0(SALU_CYCLE_1)
	s_xor_b32 s13, s10, 0x80000000
	s_rndne_f32 s14, s10
	s_wait_alu 0xfffe
	s_fmamk_f32 s13, s0, 0x3fb8aa3b, s13
	s_cmp_nlt_f32 s0, 0xc2ce8ed0
	s_rndne_f32 s15, s12
	s_sub_f32 s10, s10, s14
	s_wait_alu 0xfffe
	s_fmamk_f32 s13, s0, 0x32a5705f, s13
	s_cvt_i32_f32 s14, s14
	s_cselect_b32 vcc_lo, -1, 0
	s_cmp_ngt_f32 s0, 0x42b17218
	s_wait_alu 0xfffe
	s_add_f32 s10, s10, s13
	s_sub_f32 s13, s12, s15
	s_wait_alu 0xfffe
	s_delay_alu instid0(SALU_CYCLE_1) | instskip(SKIP_1) | instid1(TRANS32_DEP_1)
	v_s_exp_f32 s10, s10
	s_wait_alu 0xf1ff
	v_ldexp_f32 v4, s10, s14
	s_cvt_i32_f32 s10, s15
	s_delay_alu instid0(VALU_DEP_1) | instskip(SKIP_3) | instid1(VALU_DEP_1)
	v_cndmask_b32_e32 v4, 0, v4, vcc_lo
	s_cselect_b32 vcc_lo, -1, 0
	s_cmp_ge_f32 s0, 0xc1a00000
	s_wait_alu 0xfffe
	v_cndmask_b32_e32 v4, 0x7f800000, v4, vcc_lo
	s_cselect_b32 vcc_lo, -1, 0
	s_xor_b32 s0, s12, 0x80000000
	s_cmp_nlt_f32 s9, 0xc2ce8ed0
	s_wait_alu 0xfffe
	s_fmamk_f32 s0, s9, 0x3fb8aa3b, s0
	s_wait_alu 0xfffe
	s_delay_alu instid0(SALU_CYCLE_2) | instskip(SKIP_1) | instid1(SALU_CYCLE_2)
	s_fmamk_f32 s0, s9, 0x32a5705f, s0
	s_wait_alu 0xfffe
	s_add_f32 s0, s13, s0
	s_wait_alu 0xfffe
	s_delay_alu instid0(SALU_CYCLE_2) | instskip(SKIP_1) | instid1(TRANS32_DEP_1)
	v_s_exp_f32 s0, s0
	s_wait_alu 0xf1ff
	v_ldexp_f32 v7, s0, s10
	s_cselect_b32 s0, -1, 0
	s_cmp_ngt_f32 s9, 0x42b17218
	s_wait_alu 0xfffe
	s_delay_alu instid0(VALU_DEP_1) | instskip(SKIP_3) | instid1(VALU_DEP_1)
	v_cndmask_b32_e64 v7, 0, v7, s0
	s_cselect_b32 s0, -1, 0
	s_cmp_ge_f32 s9, 0xc1a00000
	s_wait_alu 0xfffe
	v_cndmask_b32_e64 v7, 0x7f800000, v7, s0
	s_cselect_b32 s0, -1, 0
	s_add_co_i32 s1, s1, -1
	s_add_co_i32 s4, s4, -8
	s_wait_alu 0xfffe
	s_cmp_le_i32 s1, s8
	v_cndmask_b32_e64 v7, 0, v7, s0
	s_mov_b32 s0, s5
	s_wait_loadcnt 0x0
	s_delay_alu instid0(VALU_DEP_1) | instskip(NEXT) | instid1(VALU_DEP_1)
	v_dual_mul_f32 v5, v0, v7 :: v_dual_cndmask_b32 v4, 0, v4
	v_dual_mul_f32 v8, s11, v7 :: v_dual_fmac_f32 v5, v9, v4
	s_delay_alu instid0(VALU_DEP_1) | instskip(NEXT) | instid1(VALU_DEP_1)
	v_mov_b32_e32 v6, v8
	v_fmac_f32_e32 v6, v10, v4
	s_cbranch_scc0 .LBB28_3
	s_branch .LBB28_5
.LBB28_4:
	s_wait_kmcnt 0x0
	v_mov_b32_e32 v6, s12
.LBB28_5:
	s_wait_loadcnt 0x0
	s_delay_alu instid0(VALU_DEP_1) | instskip(NEXT) | instid1(VALU_DEP_1)
	v_div_scale_f32 v0, null, v6, v6, v5
	v_rcp_f32_e32 v3, v0
	s_delay_alu instid0(TRANS32_DEP_1) | instskip(NEXT) | instid1(VALU_DEP_1)
	v_fma_f32 v4, -v0, v3, 1.0
	v_fmac_f32_e32 v3, v4, v3
	v_div_scale_f32 v4, vcc_lo, v5, v6, v5
	s_delay_alu instid0(VALU_DEP_1) | instskip(NEXT) | instid1(VALU_DEP_1)
	v_mul_f32_e32 v7, v4, v3
	v_fma_f32 v8, -v0, v7, v4
	s_delay_alu instid0(VALU_DEP_1) | instskip(NEXT) | instid1(VALU_DEP_1)
	v_fmac_f32_e32 v7, v8, v3
	v_fma_f32 v0, -v0, v7, v4
	s_wait_alu 0xfffd
	s_delay_alu instid0(VALU_DEP_1) | instskip(NEXT) | instid1(VALU_DEP_1)
	v_div_fmas_f32 v0, v0, v3, v7
	v_div_fixup_f32 v0, v0, v6, v5
	global_store_b32 v[1:2], v0, off
.LBB28_6:
	s_endpgm
	.section	.rodata,"a",@progbits
	.p2align	6, 0x0
	.amdhsa_kernel _ZL33flash_attn_stream_k_fixup_uniformILi96ELi2ELi4EEvPfPK15HIP_vector_typeIfLj2EEiiiiiiS1_IjLj3EES5_S5_
		.amdhsa_group_segment_fixed_size 0
		.amdhsa_private_segment_fixed_size 0
		.amdhsa_kernarg_size 76
		.amdhsa_user_sgpr_count 2
		.amdhsa_user_sgpr_dispatch_ptr 0
		.amdhsa_user_sgpr_queue_ptr 0
		.amdhsa_user_sgpr_kernarg_segment_ptr 1
		.amdhsa_user_sgpr_dispatch_id 0
		.amdhsa_user_sgpr_private_segment_size 0
		.amdhsa_wavefront_size32 1
		.amdhsa_uses_dynamic_stack 0
		.amdhsa_enable_private_segment 0
		.amdhsa_system_sgpr_workgroup_id_x 1
		.amdhsa_system_sgpr_workgroup_id_y 1
		.amdhsa_system_sgpr_workgroup_id_z 1
		.amdhsa_system_sgpr_workgroup_info 0
		.amdhsa_system_vgpr_workitem_id 0
		.amdhsa_next_free_vgpr 11
		.amdhsa_next_free_sgpr 16
		.amdhsa_reserve_vcc 1
		.amdhsa_float_round_mode_32 0
		.amdhsa_float_round_mode_16_64 0
		.amdhsa_float_denorm_mode_32 3
		.amdhsa_float_denorm_mode_16_64 3
		.amdhsa_fp16_overflow 0
		.amdhsa_workgroup_processor_mode 1
		.amdhsa_memory_ordered 1
		.amdhsa_forward_progress 1
		.amdhsa_inst_pref_size 9
		.amdhsa_round_robin_scheduling 0
		.amdhsa_exception_fp_ieee_invalid_op 0
		.amdhsa_exception_fp_denorm_src 0
		.amdhsa_exception_fp_ieee_div_zero 0
		.amdhsa_exception_fp_ieee_overflow 0
		.amdhsa_exception_fp_ieee_underflow 0
		.amdhsa_exception_fp_ieee_inexact 0
		.amdhsa_exception_int_div_zero 0
	.end_amdhsa_kernel
	.section	.text._ZL33flash_attn_stream_k_fixup_uniformILi96ELi2ELi4EEvPfPK15HIP_vector_typeIfLj2EEiiiiiiS1_IjLj3EES5_S5_,"axG",@progbits,_ZL33flash_attn_stream_k_fixup_uniformILi96ELi2ELi4EEvPfPK15HIP_vector_typeIfLj2EEiiiiiiS1_IjLj3EES5_S5_,comdat
.Lfunc_end28:
	.size	_ZL33flash_attn_stream_k_fixup_uniformILi96ELi2ELi4EEvPfPK15HIP_vector_typeIfLj2EEiiiiiiS1_IjLj3EES5_S5_, .Lfunc_end28-_ZL33flash_attn_stream_k_fixup_uniformILi96ELi2ELi4EEvPfPK15HIP_vector_typeIfLj2EEiiiiiiS1_IjLj3EES5_S5_
                                        ; -- End function
	.set _ZL33flash_attn_stream_k_fixup_uniformILi96ELi2ELi4EEvPfPK15HIP_vector_typeIfLj2EEiiiiiiS1_IjLj3EES5_S5_.num_vgpr, 11
	.set _ZL33flash_attn_stream_k_fixup_uniformILi96ELi2ELi4EEvPfPK15HIP_vector_typeIfLj2EEiiiiiiS1_IjLj3EES5_S5_.num_agpr, 0
	.set _ZL33flash_attn_stream_k_fixup_uniformILi96ELi2ELi4EEvPfPK15HIP_vector_typeIfLj2EEiiiiiiS1_IjLj3EES5_S5_.numbered_sgpr, 16
	.set _ZL33flash_attn_stream_k_fixup_uniformILi96ELi2ELi4EEvPfPK15HIP_vector_typeIfLj2EEiiiiiiS1_IjLj3EES5_S5_.num_named_barrier, 0
	.set _ZL33flash_attn_stream_k_fixup_uniformILi96ELi2ELi4EEvPfPK15HIP_vector_typeIfLj2EEiiiiiiS1_IjLj3EES5_S5_.private_seg_size, 0
	.set _ZL33flash_attn_stream_k_fixup_uniformILi96ELi2ELi4EEvPfPK15HIP_vector_typeIfLj2EEiiiiiiS1_IjLj3EES5_S5_.uses_vcc, 1
	.set _ZL33flash_attn_stream_k_fixup_uniformILi96ELi2ELi4EEvPfPK15HIP_vector_typeIfLj2EEiiiiiiS1_IjLj3EES5_S5_.uses_flat_scratch, 0
	.set _ZL33flash_attn_stream_k_fixup_uniformILi96ELi2ELi4EEvPfPK15HIP_vector_typeIfLj2EEiiiiiiS1_IjLj3EES5_S5_.has_dyn_sized_stack, 0
	.set _ZL33flash_attn_stream_k_fixup_uniformILi96ELi2ELi4EEvPfPK15HIP_vector_typeIfLj2EEiiiiiiS1_IjLj3EES5_S5_.has_recursion, 0
	.set _ZL33flash_attn_stream_k_fixup_uniformILi96ELi2ELi4EEvPfPK15HIP_vector_typeIfLj2EEiiiiiiS1_IjLj3EES5_S5_.has_indirect_call, 0
	.section	.AMDGPU.csdata,"",@progbits
; Kernel info:
; codeLenInByte = 1148
; TotalNumSgprs: 18
; NumVgprs: 11
; ScratchSize: 0
; MemoryBound: 0
; FloatMode: 240
; IeeeMode: 1
; LDSByteSize: 0 bytes/workgroup (compile time only)
; SGPRBlocks: 0
; VGPRBlocks: 1
; NumSGPRsForWavesPerEU: 18
; NumVGPRsForWavesPerEU: 11
; Occupancy: 16
; WaveLimiterHint : 0
; COMPUTE_PGM_RSRC2:SCRATCH_EN: 0
; COMPUTE_PGM_RSRC2:USER_SGPR: 2
; COMPUTE_PGM_RSRC2:TRAP_HANDLER: 0
; COMPUTE_PGM_RSRC2:TGID_X_EN: 1
; COMPUTE_PGM_RSRC2:TGID_Y_EN: 1
; COMPUTE_PGM_RSRC2:TGID_Z_EN: 1
; COMPUTE_PGM_RSRC2:TIDIG_COMP_CNT: 0
	.section	.text._ZL33flash_attn_stream_k_fixup_generalILi96ELi2ELi4EEvPfPK15HIP_vector_typeIfLj2EEiiiiS1_IjLj3EES5_S5_S5_,"axG",@progbits,_ZL33flash_attn_stream_k_fixup_generalILi96ELi2ELi4EEvPfPK15HIP_vector_typeIfLj2EEiiiiS1_IjLj3EES5_S5_S5_,comdat
	.globl	_ZL33flash_attn_stream_k_fixup_generalILi96ELi2ELi4EEvPfPK15HIP_vector_typeIfLj2EEiiiiS1_IjLj3EES5_S5_S5_ ; -- Begin function _ZL33flash_attn_stream_k_fixup_generalILi96ELi2ELi4EEvPfPK15HIP_vector_typeIfLj2EEiiiiS1_IjLj3EES5_S5_S5_
	.p2align	8
	.type	_ZL33flash_attn_stream_k_fixup_generalILi96ELi2ELi4EEvPfPK15HIP_vector_typeIfLj2EEiiiiS1_IjLj3EES5_S5_S5_,@function
_ZL33flash_attn_stream_k_fixup_generalILi96ELi2ELi4EEvPfPK15HIP_vector_typeIfLj2EEiiiiS1_IjLj3EES5_S5_S5_: ; @_ZL33flash_attn_stream_k_fixup_generalILi96ELi2ELi4EEvPfPK15HIP_vector_typeIfLj2EEiiiiS1_IjLj3EES5_S5_S5_
; %bb.0:
	s_clause 0x1
	s_load_b128 s[4:7], s[0:1], 0x10
	s_load_b32 s16, s[0:1], 0x50
	s_mov_b32 s2, ttmp9
	s_ashr_i32 s3, ttmp9, 31
	s_mov_b32 s17, 0
	s_delay_alu instid0(SALU_CYCLE_1) | instskip(SKIP_3) | instid1(SALU_CYCLE_1)
	s_mov_b32 s8, s17
	s_wait_kmcnt 0x0
	s_ashr_i32 s19, s7, 31
	s_mov_b32 s18, s7
	s_mul_u64 s[2:3], s[18:19], s[2:3]
	s_delay_alu instid0(SALU_CYCLE_1) | instskip(NEXT) | instid1(SALU_CYCLE_1)
	s_mov_b32 s9, s3
	s_cmp_lg_u64 s[8:9], 0
	s_cbranch_scc0 .LBB29_21
; %bb.1:
	s_add_nc_u64 s[8:9], s[16:17], 0
	s_mov_b32 s15, s17
	s_xor_b64 s[8:9], s[8:9], 0
	s_mov_b32 s23, s17
	s_cvt_f32_u32 s7, s8
	s_cvt_f32_u32 s10, s9
	s_sub_nc_u64 s[12:13], 0, s[8:9]
	s_delay_alu instid0(SALU_CYCLE_2) | instskip(NEXT) | instid1(SALU_CYCLE_3)
	s_fmamk_f32 s7, s10, 0x4f800000, s7
	v_s_rcp_f32 s7, s7
	s_delay_alu instid0(TRANS32_DEP_1) | instskip(SKIP_1) | instid1(SALU_CYCLE_2)
	s_mul_f32 s7, s7, 0x5f7ffffc
	s_wait_alu 0xfffe
	s_mul_f32 s10, s7, 0x2f800000
	s_delay_alu instid0(SALU_CYCLE_3) | instskip(NEXT) | instid1(SALU_CYCLE_3)
	s_trunc_f32 s10, s10
	s_fmamk_f32 s7, s10, 0xcf800000, s7
	s_cvt_u32_f32 s11, s10
	s_wait_alu 0xfffe
	s_delay_alu instid0(SALU_CYCLE_1) | instskip(NEXT) | instid1(SALU_CYCLE_3)
	s_cvt_u32_f32 s10, s7
	s_mul_u64 s[20:21], s[12:13], s[10:11]
	s_delay_alu instid0(SALU_CYCLE_1)
	s_mul_hi_u32 s25, s10, s21
	s_mul_i32 s24, s10, s21
	s_mul_hi_u32 s14, s10, s20
	s_mul_i32 s22, s11, s20
	s_add_nc_u64 s[14:15], s[14:15], s[24:25]
	s_mul_hi_u32 s7, s11, s20
	s_mul_hi_u32 s26, s11, s21
	s_add_co_u32 s14, s14, s22
	s_wait_alu 0xfffe
	s_add_co_ci_u32 s22, s15, s7
	s_mul_i32 s20, s11, s21
	s_add_co_ci_u32 s21, s26, 0
	s_delay_alu instid0(SALU_CYCLE_1)
	s_add_nc_u64 s[14:15], s[22:23], s[20:21]
	s_mov_b32 s21, s17
	s_add_co_u32 s10, s10, s14
	s_cselect_b32 s7, -1, 0
	s_wait_alu 0xfffe
	s_cmp_lg_u32 s7, 0
	s_add_co_ci_u32 s11, s11, s15
	s_mov_b32 s15, s17
	s_mul_u64 s[12:13], s[12:13], s[10:11]
	s_delay_alu instid0(SALU_CYCLE_1)
	s_mul_hi_u32 s23, s10, s13
	s_mul_i32 s22, s10, s13
	s_mul_hi_u32 s14, s10, s12
	s_mul_i32 s20, s11, s12
	s_add_nc_u64 s[14:15], s[14:15], s[22:23]
	s_mul_hi_u32 s7, s11, s12
	s_mul_hi_u32 s24, s11, s13
	s_mul_i32 s12, s11, s13
	s_add_co_u32 s13, s14, s20
	s_wait_alu 0xfffe
	s_add_co_ci_u32 s20, s15, s7
	s_add_co_ci_u32 s13, s24, 0
	s_mov_b32 s15, s17
	s_add_nc_u64 s[12:13], s[20:21], s[12:13]
	s_delay_alu instid0(SALU_CYCLE_1) | instskip(SKIP_1) | instid1(SALU_CYCLE_1)
	s_add_co_u32 s7, s10, s12
	s_cselect_b32 s10, -1, 0
	s_cmp_lg_u32 s10, 0
	s_add_co_ci_u32 s20, s11, s13
	s_ashr_i32 s10, s3, 31
	s_delay_alu instid0(SALU_CYCLE_1) | instskip(NEXT) | instid1(SALU_CYCLE_1)
	s_mov_b32 s11, s10
	s_add_nc_u64 s[12:13], s[2:3], s[10:11]
	s_delay_alu instid0(SALU_CYCLE_1) | instskip(NEXT) | instid1(SALU_CYCLE_1)
	s_xor_b64 s[12:13], s[12:13], s[10:11]
	s_mul_hi_u32 s23, s12, s20
	s_mul_i32 s22, s12, s20
	s_wait_alu 0xfffe
	s_mul_hi_u32 s14, s12, s7
	s_mul_hi_u32 s24, s13, s7
	s_mul_i32 s7, s13, s7
	s_add_nc_u64 s[14:15], s[14:15], s[22:23]
	s_mul_hi_u32 s3, s13, s20
	s_wait_alu 0xfffe
	s_add_co_u32 s7, s14, s7
	s_mul_i32 s22, s13, s20
	s_add_co_ci_u32 s20, s15, s24
	s_add_co_ci_u32 s23, s3, 0
	s_delay_alu instid0(SALU_CYCLE_1) | instskip(NEXT) | instid1(SALU_CYCLE_1)
	s_add_nc_u64 s[14:15], s[20:21], s[22:23]
	s_mul_u64 s[20:21], s[8:9], s[14:15]
	s_delay_alu instid0(SALU_CYCLE_1)
	s_sub_co_u32 s3, s12, s20
	s_cselect_b32 s7, -1, 0
	s_sub_co_i32 s12, s13, s21
	s_wait_alu 0xfffe
	s_cmp_lg_u32 s7, 0
	s_sub_co_ci_u32 s12, s12, s9
	s_sub_co_u32 s20, s3, s8
	s_cselect_b32 s22, -1, 0
	s_delay_alu instid0(SALU_CYCLE_1) | instskip(SKIP_2) | instid1(SALU_CYCLE_1)
	s_cmp_lg_u32 s22, 0
	s_add_nc_u64 s[22:23], s[14:15], 1
	s_sub_co_ci_u32 s12, s12, 0
	s_cmp_ge_u32 s12, s9
	s_cselect_b32 s24, -1, 0
	s_cmp_ge_u32 s20, s8
	s_cselect_b32 s20, -1, 0
	s_cmp_eq_u32 s12, s9
	s_cselect_b32 s12, s20, s24
	s_add_nc_u64 s[24:25], s[14:15], 2
	s_cmp_lg_u32 s12, 0
	s_cselect_b32 s12, s24, s22
	s_cselect_b32 s20, s25, s23
	s_cmp_lg_u32 s7, 0
	s_sub_co_ci_u32 s7, s13, s21
	s_wait_alu 0xfffe
	s_cmp_ge_u32 s7, s9
	s_cselect_b32 s13, -1, 0
	s_cmp_ge_u32 s3, s8
	s_cselect_b32 s3, -1, 0
	s_cmp_eq_u32 s7, s9
	s_cselect_b32 s3, s3, s13
	s_delay_alu instid0(SALU_CYCLE_1) | instskip(SKIP_4) | instid1(SALU_CYCLE_1)
	s_cmp_lg_u32 s3, 0
	s_mov_b32 s3, s17
	s_cselect_b32 s9, s20, s15
	s_cselect_b32 s8, s12, s14
	s_xor_b64 s[10:11], s[10:11], 0
	s_xor_b64 s[8:9], s[8:9], s[10:11]
	s_delay_alu instid0(SALU_CYCLE_1)
	s_sub_nc_u64 s[20:21], s[8:9], s[10:11]
	s_and_not1_b32 vcc_lo, exec_lo, s3
	s_cbranch_vccnz .LBB29_3
.LBB29_2:
	v_cvt_f32_u32_e32 v1, s16
	s_sub_co_i32 s7, 0, s16
	s_delay_alu instid0(VALU_DEP_1) | instskip(NEXT) | instid1(TRANS32_DEP_1)
	v_rcp_iflag_f32_e32 v1, v1
	v_mul_f32_e32 v1, 0x4f7ffffe, v1
	s_delay_alu instid0(VALU_DEP_1) | instskip(NEXT) | instid1(VALU_DEP_1)
	v_cvt_u32_f32_e32 v1, v1
	v_readfirstlane_b32 s3, v1
	s_wait_alu 0xfffe
	s_mul_i32 s7, s7, s3
	s_wait_alu 0xfffe
	s_mul_hi_u32 s7, s3, s7
	s_wait_alu 0xfffe
	s_add_co_i32 s3, s3, s7
	s_delay_alu instid0(SALU_CYCLE_1) | instskip(NEXT) | instid1(SALU_CYCLE_1)
	s_mul_hi_u32 s3, s2, s3
	s_mul_i32 s7, s3, s16
	s_wait_alu 0xfffe
	s_sub_co_i32 s2, s2, s7
	s_add_co_i32 s7, s3, 1
	s_sub_co_i32 s8, s2, s16
	s_cmp_ge_u32 s2, s16
	s_wait_alu 0xfffe
	s_cselect_b32 s3, s7, s3
	s_cselect_b32 s2, s8, s2
	s_add_co_i32 s7, s3, 1
	s_cmp_ge_u32 s2, s16
	s_wait_alu 0xfffe
	s_cselect_b32 s20, s7, s3
.LBB29_3:
	s_add_co_i32 s2, ttmp9, 1
	s_mov_b32 s8, 0
	s_ashr_i32 s3, s2, 31
	s_delay_alu instid0(SALU_CYCLE_1) | instskip(NEXT) | instid1(SALU_CYCLE_1)
	s_mul_u64 s[2:3], s[18:19], s[2:3]
	s_mov_b32 s9, s3
	s_delay_alu instid0(SALU_CYCLE_1)
	s_cmp_lg_u64 s[8:9], 0
	s_cbranch_scc0 .LBB29_22
; %bb.4:
	s_add_nc_u64 s[10:11], s[16:17], 0
	s_mov_b32 s23, s8
	s_xor_b64 s[10:11], s[10:11], 0
	s_mov_b32 s27, s8
	s_cvt_f32_u32 s7, s10
	s_cvt_f32_u32 s9, s11
	s_sub_nc_u64 s[14:15], 0, s[10:11]
	s_wait_alu 0xfffe
	s_delay_alu instid0(SALU_CYCLE_1) | instskip(SKIP_1) | instid1(SALU_CYCLE_2)
	s_fmamk_f32 s7, s9, 0x4f800000, s7
	s_wait_alu 0xfffe
	v_s_rcp_f32 s7, s7
	s_delay_alu instid0(TRANS32_DEP_1) | instskip(SKIP_1) | instid1(SALU_CYCLE_2)
	s_mul_f32 s7, s7, 0x5f7ffffc
	s_wait_alu 0xfffe
	s_mul_f32 s9, s7, 0x2f800000
	s_delay_alu instid0(SALU_CYCLE_3) | instskip(NEXT) | instid1(SALU_CYCLE_3)
	s_trunc_f32 s9, s9
	s_fmamk_f32 s7, s9, 0xcf800000, s7
	s_cvt_u32_f32 s13, s9
	s_wait_alu 0xfffe
	s_delay_alu instid0(SALU_CYCLE_1) | instskip(NEXT) | instid1(SALU_CYCLE_3)
	s_cvt_u32_f32 s12, s7
	s_mul_u64 s[24:25], s[14:15], s[12:13]
	s_delay_alu instid0(SALU_CYCLE_1)
	s_mul_hi_u32 s29, s12, s25
	s_mul_i32 s28, s12, s25
	s_mul_hi_u32 s22, s12, s24
	s_mul_i32 s9, s13, s24
	s_add_nc_u64 s[22:23], s[22:23], s[28:29]
	s_mul_hi_u32 s7, s13, s24
	s_mul_hi_u32 s21, s13, s25
	s_add_co_u32 s9, s22, s9
	s_wait_alu 0xfffe
	s_add_co_ci_u32 s26, s23, s7
	s_mul_i32 s24, s13, s25
	s_add_co_ci_u32 s25, s21, 0
	s_delay_alu instid0(SALU_CYCLE_1)
	s_add_nc_u64 s[22:23], s[26:27], s[24:25]
	s_mov_b32 s25, s8
	s_add_co_u32 s12, s12, s22
	s_cselect_b32 s7, -1, 0
	s_wait_alu 0xfffe
	s_cmp_lg_u32 s7, 0
	s_add_co_ci_u32 s13, s13, s23
	s_mov_b32 s23, s8
	s_mul_u64 s[14:15], s[14:15], s[12:13]
	s_delay_alu instid0(SALU_CYCLE_1)
	s_mul_hi_u32 s27, s12, s15
	s_mul_i32 s26, s12, s15
	s_mul_hi_u32 s22, s12, s14
	s_mul_i32 s9, s13, s14
	s_add_nc_u64 s[22:23], s[22:23], s[26:27]
	s_mul_hi_u32 s7, s13, s14
	s_mul_hi_u32 s21, s13, s15
	s_add_co_u32 s9, s22, s9
	s_wait_alu 0xfffe
	s_add_co_ci_u32 s24, s23, s7
	s_mul_i32 s14, s13, s15
	s_add_co_ci_u32 s15, s21, 0
	s_mov_b32 s23, s8
	s_add_nc_u64 s[14:15], s[24:25], s[14:15]
	s_delay_alu instid0(SALU_CYCLE_1) | instskip(SKIP_1) | instid1(SALU_CYCLE_1)
	s_add_co_u32 s7, s12, s14
	s_cselect_b32 s9, -1, 0
	s_cmp_lg_u32 s9, 0
	s_add_co_ci_u32 s9, s13, s15
	s_ashr_i32 s12, s3, 31
	s_delay_alu instid0(SALU_CYCLE_1) | instskip(NEXT) | instid1(SALU_CYCLE_1)
	s_mov_b32 s13, s12
	s_add_nc_u64 s[14:15], s[2:3], s[12:13]
	s_delay_alu instid0(SALU_CYCLE_1) | instskip(NEXT) | instid1(SALU_CYCLE_1)
	s_xor_b64 s[14:15], s[14:15], s[12:13]
	s_mul_hi_u32 s27, s14, s9
	s_mul_i32 s26, s14, s9
	s_wait_alu 0xfffe
	s_mul_hi_u32 s22, s14, s7
	s_mul_hi_u32 s21, s15, s7
	s_mul_i32 s7, s15, s7
	s_add_nc_u64 s[22:23], s[22:23], s[26:27]
	s_mul_hi_u32 s3, s15, s9
	s_wait_alu 0xfffe
	s_add_co_u32 s7, s22, s7
	s_add_co_ci_u32 s24, s23, s21
	s_mul_i32 s26, s15, s9
	s_add_co_ci_u32 s27, s3, 0
	s_delay_alu instid0(SALU_CYCLE_1) | instskip(NEXT) | instid1(SALU_CYCLE_1)
	s_add_nc_u64 s[22:23], s[24:25], s[26:27]
	s_mul_u64 s[24:25], s[10:11], s[22:23]
	s_add_nc_u64 s[26:27], s[22:23], 1
	s_sub_co_u32 s3, s14, s24
	s_cselect_b32 s7, -1, 0
	s_sub_co_i32 s9, s15, s25
	s_wait_alu 0xfffe
	s_cmp_lg_u32 s7, 0
	s_add_nc_u64 s[28:29], s[22:23], 2
	s_sub_co_ci_u32 s9, s9, s11
	s_sub_co_u32 s14, s3, s10
	s_cselect_b32 s21, -1, 0
	s_delay_alu instid0(SALU_CYCLE_1) | instskip(SKIP_1) | instid1(SALU_CYCLE_1)
	s_cmp_lg_u32 s21, 0
	s_sub_co_ci_u32 s9, s9, 0
	s_cmp_ge_u32 s9, s11
	s_cselect_b32 s21, -1, 0
	s_cmp_ge_u32 s14, s10
	s_cselect_b32 s14, -1, 0
	s_cmp_eq_u32 s9, s11
	s_cselect_b32 s9, s14, s21
	s_delay_alu instid0(SALU_CYCLE_1)
	s_cmp_lg_u32 s9, 0
	s_cselect_b32 s9, s28, s26
	s_cselect_b32 s14, s29, s27
	s_cmp_lg_u32 s7, 0
	s_sub_co_ci_u32 s7, s15, s25
	s_wait_alu 0xfffe
	s_cmp_ge_u32 s7, s11
	s_cselect_b32 s15, -1, 0
	s_cmp_ge_u32 s3, s10
	s_cselect_b32 s3, -1, 0
	s_cmp_eq_u32 s7, s11
	s_cselect_b32 s3, s3, s15
	s_delay_alu instid0(SALU_CYCLE_1) | instskip(SKIP_3) | instid1(SALU_CYCLE_1)
	s_cmp_lg_u32 s3, 0
	s_cselect_b32 s11, s14, s23
	s_cselect_b32 s10, s9, s22
	s_xor_b64 s[12:13], s[12:13], 0
	s_xor_b64 s[10:11], s[10:11], s[12:13]
	s_delay_alu instid0(SALU_CYCLE_1)
	s_sub_nc_u64 s[10:11], s[10:11], s[12:13]
	s_load_b96 s[12:14], s[0:1], 0x44
	s_and_not1_b32 vcc_lo, exec_lo, s8
	s_cbranch_vccnz .LBB29_6
.LBB29_5:
	v_cvt_f32_u32_e32 v1, s16
	s_sub_co_i32 s7, 0, s16
	s_delay_alu instid0(VALU_DEP_1) | instskip(NEXT) | instid1(TRANS32_DEP_1)
	v_rcp_iflag_f32_e32 v1, v1
	v_mul_f32_e32 v1, 0x4f7ffffe, v1
	s_delay_alu instid0(VALU_DEP_1) | instskip(NEXT) | instid1(VALU_DEP_1)
	v_cvt_u32_f32_e32 v1, v1
	v_readfirstlane_b32 s3, v1
	s_wait_alu 0xfffe
	s_mul_i32 s7, s7, s3
	s_wait_alu 0xfffe
	s_mul_hi_u32 s7, s3, s7
	s_wait_alu 0xfffe
	s_add_co_i32 s3, s3, s7
	s_delay_alu instid0(SALU_CYCLE_1) | instskip(NEXT) | instid1(SALU_CYCLE_1)
	s_mul_hi_u32 s3, s2, s3
	s_mul_i32 s7, s3, s16
	s_wait_alu 0xfffe
	s_sub_co_i32 s2, s2, s7
	s_add_co_i32 s7, s3, 1
	s_sub_co_i32 s8, s2, s16
	s_cmp_ge_u32 s2, s16
	s_wait_alu 0xfffe
	s_cselect_b32 s3, s7, s3
	s_cselect_b32 s2, s8, s2
	s_add_co_i32 s7, s3, 1
	s_cmp_ge_u32 s2, s16
	s_wait_alu 0xfffe
	s_cselect_b32 s10, s7, s3
.LBB29_6:
	s_mov_b32 s21, 0
	s_wait_kmcnt 0x0
	s_mov_b32 s22, s12
	s_mov_b32 s23, s21
	s_cmp_eq_u32 s20, s10
	s_mul_u64 s[2:3], s[20:21], s[22:23]
	s_cselect_b32 s7, -1, 0
	s_add_co_i32 s2, s3, s20
	s_mov_b32 s11, s21
	s_lshr_b32 s12, s2, s13
	s_mul_u64 s[2:3], s[10:11], s[22:23]
	s_mul_i32 s2, s12, s14
	s_delay_alu instid0(SALU_CYCLE_1) | instskip(SKIP_2) | instid1(SALU_CYCLE_1)
	s_cmp_eq_u32 s2, s20
	s_cselect_b32 s2, -1, 0
	s_add_co_i32 s3, s3, s10
	s_lshr_b32 s3, s3, s13
	s_delay_alu instid0(SALU_CYCLE_1)
	s_cmp_eq_u32 s12, s3
	s_mul_i32 s3, s3, s14
	s_cselect_b32 s8, -1, 0
	s_cmp_lg_u32 s3, s10
	s_cselect_b32 s3, -1, 0
	s_wait_alu 0xfffe
	s_or_b32 s2, s7, s2
	s_and_b32 s3, s8, s3
	s_delay_alu instid0(SALU_CYCLE_1) | instskip(NEXT) | instid1(SALU_CYCLE_1)
	s_or_b32 s2, s2, s3
	s_and_b32 vcc_lo, exec_lo, s2
	s_cbranch_vccnz .LBB29_24
; %bb.7:
	s_load_b256 s[24:31], s[0:1], 0x20
	s_mov_b32 s3, s21
	s_wait_kmcnt 0x0
	s_mov_b32 s2, s24
	s_delay_alu instid0(SALU_CYCLE_1) | instskip(NEXT) | instid1(SALU_CYCLE_1)
	s_mul_u64 s[2:3], s[20:21], s[2:3]
	s_add_co_i32 s2, s3, s20
	s_delay_alu instid0(SALU_CYCLE_1) | instskip(SKIP_2) | instid1(SALU_CYCLE_1)
	s_lshr_b32 s7, s2, s25
	s_load_b32 s2, s[0:1], 0x40
	s_mul_i32 s3, s7, s26
	s_sub_co_i32 s3, s20, s3
	s_delay_alu instid0(SALU_CYCLE_1) | instskip(NEXT) | instid1(SALU_CYCLE_1)
	s_mul_hi_u32 s8, s3, s27
	s_add_co_i32 s8, s3, s8
	s_delay_alu instid0(SALU_CYCLE_1) | instskip(NEXT) | instid1(SALU_CYCLE_1)
	s_lshr_b32 s15, s8, s28
	s_mul_i32 s8, s15, s29
	s_delay_alu instid0(SALU_CYCLE_1) | instskip(NEXT) | instid1(SALU_CYCLE_1)
	s_sub_co_i32 s8, s3, s8
	s_mul_hi_u32 s3, s8, s30
	s_delay_alu instid0(SALU_CYCLE_1) | instskip(NEXT) | instid1(SALU_CYCLE_1)
	s_add_co_i32 s3, s8, s3
	s_lshr_b32 s10, s3, s31
	s_mov_b32 s3, s21
	s_wait_kmcnt 0x0
	s_mul_i32 s2, s10, s2
	s_lshl_b32 s24, s10, 2
	s_sub_co_i32 s2, s8, s2
	s_delay_alu instid0(SALU_CYCLE_1) | instskip(SKIP_2) | instid1(SALU_CYCLE_1)
	s_mul_u64 s[8:9], s[2:3], s[22:23]
	s_lshr_b32 s3, ttmp7, 16
	s_add_co_i32 s2, s2, s9
	s_lshr_b32 s21, s2, s13
	s_and_b32 s2, ttmp7, 0xffff
	s_lshl_b32 s8, s21, 1
	s_delay_alu instid0(SALU_CYCLE_1) | instskip(NEXT) | instid1(SALU_CYCLE_1)
	s_add_co_i32 s8, s8, s2
	s_cmp_lt_i32 s8, s4
	s_cselect_b32 s8, -1, 0
	s_add_co_i32 s24, s24, s3
	s_delay_alu instid0(SALU_CYCLE_1) | instskip(SKIP_1) | instid1(SALU_CYCLE_1)
	s_cmp_lt_i32 s24, s6
	s_cselect_b32 s9, -1, 0
	s_and_b32 s8, s8, s9
	s_delay_alu instid0(SALU_CYCLE_1)
	s_and_not1_b32 vcc_lo, exec_lo, s8
	s_cbranch_vccnz .LBB29_24
; %bb.8:
	s_mul_i32 s4, s7, s4
	s_load_b128 s[8:11], s[0:1], 0x0
	s_add_co_i32 s0, s4, s2
	s_mul_i32 s15, s15, s6
	s_mul_i32 s0, s0, s5
	s_add_co_i32 s1, s24, s15
	s_mul_i32 s4, s5, s21
	s_add_co_i32 s0, s1, s0
	s_mulk_i32 s4, 0xc0
	s_mulk_i32 s0, 0x60
	s_lshl_b32 s15, s2, 2
	v_add3_u32 v1, s4, s0, v0
	s_add_nc_u64 s[0:1], s[16:17], 0
	s_add_co_i32 s15, s15, s3
	s_wait_alu 0xfffe
	s_xor_b64 s[6:7], s[0:1], 0
	s_lshl_b32 s0, ttmp9, 3
	v_ashrrev_i32_e32 v2, 31, v1
	s_wait_alu 0xfffe
	s_cvt_f32_u32 s1, s6
	s_cvt_f32_u32 s2, s7
	s_add_co_i32 s0, s15, s0
	v_cvt_f32_u32_e32 v3, s16
	v_lshlrev_b64_e32 v[1:2], 2, v[1:2]
	s_wait_alu 0xfffe
	s_fmamk_f32 s2, s2, 0x4f800000, s1
	s_ashr_i32 s1, s0, 31
	s_add_co_i32 s34, ttmp9, -1
	s_wait_alu 0xfffe
	s_lshl_b64 s[0:1], s[0:1], 3
	v_s_rcp_f32 s2, s2
	s_wait_kmcnt 0x0
	v_add_co_u32 v1, vcc_lo, s8, v1
	s_delay_alu instid0(VALU_DEP_1)
	v_add_co_ci_u32_e64 v2, null, s9, v2, vcc_lo
	s_wait_alu 0xfffe
	s_add_nc_u64 s[0:1], s[10:11], s[0:1]
	v_rcp_iflag_f32_e32 v3, v3
	s_load_b64 s[26:27], s[0:1], 0x0
	global_load_b32 v5, v[1:2], off
	s_mul_f32 s2, s2, 0x5f7ffffc
	s_mov_b32 s8, 0
	s_lshl_b32 s0, s16, 5
	s_wait_alu 0xfffe
	s_mov_b32 s1, s8
	s_mul_f32 s3, s2, 0x2f800000
	s_wait_alu 0xfffe
	s_lshl_b64 s[0:1], s[0:1], 2
	s_sub_nc_u64 s[30:31], 0, s[6:7]
	v_mul_f32_e32 v6, 0x4f7ffffe, v3
	s_trunc_f32 s3, s3
	s_wait_alu 0xfffe
	s_add_nc_u64 s[24:25], s[10:11], s[0:1]
	v_mad_co_u64_u32 v[3:4], null, 0x60, s15, v[0:1]
	s_fmamk_f32 s0, s3, 0xcf800000, s2
	v_cvt_u32_f32_e32 v0, v6
	s_cvt_u32_f32 s29, s3
	s_wait_alu 0xfffe
	s_cvt_u32_f32 s28, s0
	s_wait_kmcnt 0x0
	v_mov_b32_e32 v4, s27
.LBB29_9:                               ; =>This Inner Loop Header: Depth=1
	s_wait_alu 0xfffe
	s_ashr_i32 s35, s34, 31
	s_mov_b32 s2, -1
	s_wait_alu 0xfffe
	s_mul_u64 s[0:1], s[34:35], s[18:19]
                                        ; implicit-def: $sgpr38_sgpr39
	s_wait_alu 0xfffe
	s_mov_b32 s9, s1
	s_wait_alu 0xfffe
	s_cmp_lg_u64 s[8:9], 0
	s_cbranch_scc0 .LBB29_11
; %bb.10:                               ;   in Loop: Header=BB29_9 Depth=1
	s_mul_u64 s[2:3], s[30:31], s[28:29]
	s_mov_b32 s37, s8
	s_wait_alu 0xfffe
	s_mul_hi_u32 s5, s28, s3
	s_mul_i32 s4, s28, s3
	s_mul_hi_u32 s36, s28, s2
	s_mul_hi_u32 s9, s29, s2
	s_wait_alu 0xfffe
	s_add_nc_u64 s[4:5], s[36:37], s[4:5]
	s_mul_i32 s2, s29, s2
	s_mul_hi_u32 s17, s29, s3
	s_wait_alu 0xfffe
	s_add_co_u32 s2, s4, s2
	s_add_co_ci_u32 s2, s5, s9
	s_add_co_ci_u32 s5, s17, 0
	s_mul_i32 s4, s29, s3
	s_mov_b32 s3, s8
	s_mov_b32 s39, s8
	s_wait_alu 0xfffe
	s_add_nc_u64 s[2:3], s[2:3], s[4:5]
	s_wait_alu 0xfffe
	s_add_co_u32 s2, s28, s2
	s_cselect_b32 s4, -1, 0
	s_wait_alu 0xfffe
	s_cmp_lg_u32 s4, 0
	s_add_co_ci_u32 s3, s29, s3
	s_wait_alu 0xfffe
	s_mul_u64 s[4:5], s[30:31], s[2:3]
	s_wait_alu 0xfffe
	s_mul_hi_u32 s37, s2, s5
	s_mul_i32 s36, s2, s5
	s_mul_hi_u32 s38, s2, s4
	s_mul_hi_u32 s9, s3, s4
	s_mul_i32 s4, s3, s4
	s_wait_alu 0xfffe
	s_add_nc_u64 s[36:37], s[38:39], s[36:37]
	s_mul_hi_u32 s17, s3, s5
	s_wait_alu 0xfffe
	s_add_co_u32 s4, s36, s4
	s_add_co_ci_u32 s4, s37, s9
	s_add_co_ci_u32 s37, s17, 0
	s_mul_i32 s36, s3, s5
	s_mov_b32 s5, s8
	s_wait_alu 0xfffe
	s_add_nc_u64 s[4:5], s[4:5], s[36:37]
	s_mov_b32 s37, s8
	s_wait_alu 0xfffe
	s_add_co_u32 s9, s2, s4
	s_cselect_b32 s2, -1, 0
	s_wait_alu 0xfffe
	s_cmp_lg_u32 s2, 0
	s_add_co_ci_u32 s17, s3, s5
	s_ashr_i32 s2, s1, 31
	s_wait_alu 0xfffe
	s_mov_b32 s3, s2
	s_wait_alu 0xfffe
	s_add_nc_u64 s[4:5], s[0:1], s[2:3]
	s_wait_alu 0xfffe
	s_xor_b64 s[4:5], s[4:5], s[2:3]
	s_wait_alu 0xfffe
	s_mul_hi_u32 s39, s4, s17
	s_mul_i32 s38, s4, s17
	s_mul_hi_u32 s36, s4, s9
	s_mul_i32 s21, s5, s9
	s_wait_alu 0xfffe
	s_add_nc_u64 s[36:37], s[36:37], s[38:39]
	s_mul_hi_u32 s9, s5, s9
	s_mul_hi_u32 s1, s5, s17
	s_wait_alu 0xfffe
	s_add_co_u32 s21, s36, s21
	s_add_co_ci_u32 s36, s37, s9
	s_add_co_ci_u32 s39, s1, 0
	s_mul_i32 s38, s5, s17
	s_mov_b32 s37, s8
	s_wait_alu 0xfffe
	s_add_nc_u64 s[36:37], s[36:37], s[38:39]
	s_wait_alu 0xfffe
	s_mul_u64 s[38:39], s[6:7], s[36:37]
	s_add_nc_u64 s[40:41], s[36:37], 1
	s_sub_co_u32 s1, s4, s38
	s_cselect_b32 s4, -1, 0
	s_sub_co_i32 s9, s5, s39
	s_wait_alu 0xfffe
	s_cmp_lg_u32 s4, 0
	s_add_nc_u64 s[42:43], s[36:37], 2
	s_sub_co_ci_u32 s9, s9, s7
	s_sub_co_u32 s17, s1, s6
	s_cselect_b32 s21, -1, 0
	s_delay_alu instid0(SALU_CYCLE_1)
	s_cmp_lg_u32 s21, 0
	s_wait_alu 0xfffe
	s_sub_co_ci_u32 s9, s9, 0
	s_wait_alu 0xfffe
	s_cmp_ge_u32 s9, s7
	s_cselect_b32 s21, -1, 0
	s_cmp_ge_u32 s17, s6
	s_cselect_b32 s17, -1, 0
	s_cmp_eq_u32 s9, s7
	s_wait_alu 0xfffe
	s_cselect_b32 s9, s17, s21
	s_wait_alu 0xfffe
	s_cmp_lg_u32 s9, 0
	s_cselect_b32 s9, s42, s40
	s_cselect_b32 s17, s43, s41
	s_cmp_lg_u32 s4, 0
	s_sub_co_ci_u32 s4, s5, s39
	s_wait_alu 0xfffe
	s_cmp_ge_u32 s4, s7
	s_cselect_b32 s5, -1, 0
	s_cmp_ge_u32 s1, s6
	s_cselect_b32 s1, -1, 0
	s_cmp_eq_u32 s4, s7
	s_wait_alu 0xfffe
	s_cselect_b32 s1, s1, s5
	s_wait_alu 0xfffe
	s_cmp_lg_u32 s1, 0
	s_cselect_b32 s5, s17, s37
	s_cselect_b32 s4, s9, s36
	s_xor_b64 s[2:3], s[2:3], 0
	s_wait_alu 0xfffe
	s_xor_b64 s[4:5], s[4:5], s[2:3]
	s_wait_alu 0xfffe
	s_sub_nc_u64 s[38:39], s[4:5], s[2:3]
	s_mov_b32 s2, 0
.LBB29_11:                              ;   in Loop: Header=BB29_9 Depth=1
	s_wait_alu 0xfffe
	s_and_not1_b32 vcc_lo, exec_lo, s2
	s_wait_alu 0xfffe
	s_cbranch_vccnz .LBB29_13
; %bb.12:                               ;   in Loop: Header=BB29_9 Depth=1
	v_readfirstlane_b32 s1, v0
	s_sub_co_i32 s2, 0, s16
	s_wait_alu 0xfffe
	s_mul_i32 s2, s2, s1
	s_wait_alu 0xfffe
	s_mul_hi_u32 s2, s1, s2
	s_wait_alu 0xfffe
	s_add_co_i32 s1, s1, s2
	s_wait_alu 0xfffe
	s_mul_hi_u32 s1, s0, s1
	s_wait_alu 0xfffe
	s_mul_i32 s2, s1, s16
	s_wait_alu 0xfffe
	s_sub_co_i32 s0, s0, s2
	s_add_co_i32 s2, s1, 1
	s_wait_alu 0xfffe
	s_sub_co_i32 s3, s0, s16
	s_cmp_ge_u32 s0, s16
	s_cselect_b32 s1, s2, s1
	s_wait_alu 0xfffe
	s_cselect_b32 s0, s3, s0
	s_add_co_i32 s2, s1, 1
	s_wait_alu 0xfffe
	s_cmp_ge_u32 s0, s16
	s_cselect_b32 s38, s2, s1
.LBB29_13:                              ;   in Loop: Header=BB29_9 Depth=1
	v_readfirstlane_b32 s9, v0
	s_cmp_lg_u32 s20, s38
	s_mov_b32 s0, -1
                                        ; implicit-def: $sgpr21
                                        ; implicit-def: $vgpr6
                                        ; implicit-def: $vgpr7
                                        ; implicit-def: $sgpr17
                                        ; implicit-def: $sgpr27
	s_cbranch_scc1 .LBB29_16
; %bb.14:                               ;   in Loop: Header=BB29_9 Depth=1
	s_wait_alu 0xfffe
	s_and_not1_b32 vcc_lo, exec_lo, s0
	s_wait_alu 0xfffe
	s_cbranch_vccz .LBB29_19
.LBB29_15:                              ;   in Loop: Header=BB29_9 Depth=1
	s_and_not1_b32 vcc_lo, exec_lo, s21
	s_wait_alu 0xfffe
	s_cbranch_vccnz .LBB29_20
	s_branch .LBB29_23
.LBB29_16:                              ;   in Loop: Header=BB29_9 Depth=1
	s_add_co_i32 s0, s34, s16
	s_mov_b32 s1, s8
	s_wait_alu 0xfffe
	s_lshl_b32 s0, s0, 3
	v_max_num_f32_e64 v6, s26, s26
	s_wait_alu 0xfffe
	s_add_co_i32 s0, s0, s15
	s_mov_b32 s39, s8
	s_wait_alu 0xfffe
	s_lshl_b64 s[0:1], s[0:1], 3
	s_mul_u64 s[40:41], s[38:39], s[22:23]
	s_wait_alu 0xfffe
	s_add_nc_u64 s[0:1], s[10:11], s[0:1]
	s_mov_b32 s27, s20
	s_load_b64 s[36:37], s[0:1], 0x0
	v_readfirstlane_b32 s0, v6
	s_wait_kmcnt 0x0
	v_max_num_f32_e64 v7, s36, s36
	s_delay_alu instid0(VALU_DEP_1) | instskip(SKIP_2) | instid1(SALU_CYCLE_2)
	v_readfirstlane_b32 s1, v7
	s_max_num_f32 s9, s0, s1
	s_wait_alu 0xfffe
	s_sub_f32 s33, s26, s9
	s_sub_f32 s35, s36, s9
	s_wait_alu 0xfffe
	s_delay_alu instid0(SALU_CYCLE_1)
	s_cmp_nlt_f32 s33, 0xc2ce8ed0
	s_cselect_b32 s0, -1, 0
	s_cmp_ngt_f32 s33, 0x42b17218
	s_cselect_b32 s1, -1, 0
	s_cmp_ge_f32 s33, 0xc1a00000
	s_cselect_b32 s2, -1, 0
	s_cmp_nlt_f32 s35, 0xc2ce8ed0
	s_cselect_b32 s3, -1, 0
	s_cmp_ngt_f32 s35, 0x42b17218
	s_cselect_b32 s4, -1, 0
	s_cmp_ge_f32 s35, 0xc1a00000
	s_cselect_b32 s5, -1, 0
	s_add_co_i32 s17, s41, s38
	s_wait_alu 0xfffe
	s_lshr_b32 s17, s17, s13
	s_wait_alu 0xfffe
	s_mul_i32 s21, s17, s14
	s_delay_alu instid0(SALU_CYCLE_1)
	s_cmp_eq_u32 s21, s38
	s_cselect_b32 s21, -1, 0
	s_cmp_lt_u32 s17, s12
	s_cselect_b32 s17, -1, 0
	s_wait_alu 0xfffe
	s_or_b32 s17, s17, s21
	s_mov_b32 s21, -1
	s_wait_alu 0xfffe
	s_and_b32 vcc_lo, exec_lo, s17
	s_mov_b32 s17, s34
	s_wait_alu 0xfffe
	s_cbranch_vccnz .LBB29_18
; %bb.17:                               ;   in Loop: Header=BB29_9 Depth=1
	s_add_co_i32 s17, s34, -1
	s_mov_b32 s21, 0
	s_mov_b32 s27, s38
.LBB29_18:                              ;   in Loop: Header=BB29_9 Depth=1
	v_mad_co_u64_u32 v[6:7], null, 0x300, s34, v[3:4]
	s_mul_f32 s36, s35, 0x3fb8aa3b
	s_mul_f32 s38, s33, 0x3fb8aa3b
	s_wait_alu 0xfffe
	s_delay_alu instid0(SALU_CYCLE_1)
	s_xor_b32 s39, s36, 0x80000000
	s_rndne_f32 s40, s36
	v_ashrrev_i32_e32 v7, 31, v6
	s_fmamk_f32 s39, s35, 0x3fb8aa3b, s39
	s_xor_b32 s41, s38, 0x80000000
	s_sub_f32 s36, s36, s40
	s_rndne_f32 s42, s38
	v_lshlrev_b64_e32 v[6:7], 2, v[6:7]
	s_fmamk_f32 s35, s35, 0x32a5705f, s39
	s_fmamk_f32 s39, s33, 0x3fb8aa3b, s41
	s_sub_f32 s38, s38, s42
	s_wait_alu 0xfffe
	s_add_f32 s35, s36, s35
	v_add_co_u32 v6, vcc_lo, s24, v6
	s_wait_alu 0xfffd
	v_add_co_ci_u32_e64 v7, null, s25, v7, vcc_lo
	s_fmamk_f32 s33, s33, 0x32a5705f, s39
	s_wait_alu 0xfffe
	v_s_exp_f32 s35, s35
	s_cvt_i32_f32 s36, s40
	global_load_b32 v6, v[6:7], off
	s_add_f32 s33, s38, s33
	s_wait_alu 0xfffe
	s_delay_alu instid0(SALU_CYCLE_2) | instskip(SKIP_2) | instid1(VALU_DEP_1)
	v_s_exp_f32 s33, s33
	v_ldexp_f32 v7, s35, s36
	s_cvt_i32_f32 s35, s42
	v_cndmask_b32_e64 v7, 0, v7, s3
	s_wait_alu 0xf1fe
	s_delay_alu instid0(TRANS32_DEP_1) | instid1(SALU_CYCLE_1)
	v_ldexp_f32 v8, s33, s35
	s_delay_alu instid0(VALU_DEP_2) | instskip(NEXT) | instid1(VALU_DEP_2)
	v_cndmask_b32_e64 v7, 0x7f800000, v7, s4
	v_cndmask_b32_e64 v8, 0, v8, s0
	s_delay_alu instid0(VALU_DEP_2) | instskip(NEXT) | instid1(VALU_DEP_2)
	v_cndmask_b32_e64 v7, 0, v7, s5
	v_cndmask_b32_e64 v8, 0x7f800000, v8, s1
	s_delay_alu instid0(VALU_DEP_1) | instskip(SKIP_1) | instid1(VALU_DEP_3)
	v_cndmask_b32_e64 v8, 0, v8, s2
	s_wait_loadcnt 0x0
	v_mul_f32_e32 v6, v6, v7
	v_mul_f32_e32 v7, s37, v7
	s_delay_alu instid0(VALU_DEP_1) | instskip(NEXT) | instid1(VALU_DEP_3)
	v_fmac_f32_e32 v7, v4, v8
	v_fmac_f32_e32 v6, v5, v8
	s_cbranch_execnz .LBB29_15
.LBB29_19:                              ;   in Loop: Header=BB29_9 Depth=1
	s_wait_loadcnt 0x0
	v_dual_mov_b32 v7, v4 :: v_dual_mov_b32 v6, v5
	s_add_co_i32 s17, s34, -1
	s_mov_b32 s27, s20
	s_mov_b32 s9, s26
	s_cbranch_execz .LBB29_23
.LBB29_20:                              ;   in Loop: Header=BB29_9 Depth=1
	s_wait_loadcnt 0x0
	v_dual_mov_b32 v4, v7 :: v_dual_mov_b32 v5, v6
	s_wait_alu 0xfffe
	s_mov_b32 s20, s27
	s_mov_b32 s34, s17
	;; [unrolled: 1-line block ×3, first 2 shown]
	s_branch .LBB29_9
.LBB29_21:
                                        ; implicit-def: $sgpr20_sgpr21
	s_branch .LBB29_2
.LBB29_22:
                                        ; implicit-def: $sgpr10_sgpr11
	s_load_b96 s[12:14], s[0:1], 0x44
	s_branch .LBB29_5
.LBB29_23:
	v_div_scale_f32 v0, null, v7, v7, v6
	s_delay_alu instid0(VALU_DEP_1) | instskip(NEXT) | instid1(TRANS32_DEP_1)
	v_rcp_f32_e32 v3, v0
	v_fma_f32 v4, -v0, v3, 1.0
	s_delay_alu instid0(VALU_DEP_1) | instskip(SKIP_2) | instid1(VALU_DEP_1)
	v_fmac_f32_e32 v3, v4, v3
	v_div_scale_f32 v4, vcc_lo, v6, v7, v6
	s_wait_loadcnt 0x0
	v_mul_f32_e32 v5, v4, v3
	s_delay_alu instid0(VALU_DEP_1) | instskip(NEXT) | instid1(VALU_DEP_1)
	v_fma_f32 v8, -v0, v5, v4
	v_fmac_f32_e32 v5, v8, v3
	s_delay_alu instid0(VALU_DEP_1) | instskip(SKIP_1) | instid1(VALU_DEP_1)
	v_fma_f32 v0, -v0, v5, v4
	s_wait_alu 0xfffd
	v_div_fmas_f32 v0, v0, v3, v5
	s_delay_alu instid0(VALU_DEP_1)
	v_div_fixup_f32 v0, v0, v7, v6
	global_store_b32 v[1:2], v0, off
.LBB29_24:
	s_endpgm
	.section	.rodata,"a",@progbits
	.p2align	6, 0x0
	.amdhsa_kernel _ZL33flash_attn_stream_k_fixup_generalILi96ELi2ELi4EEvPfPK15HIP_vector_typeIfLj2EEiiiiS1_IjLj3EES5_S5_S5_
		.amdhsa_group_segment_fixed_size 0
		.amdhsa_private_segment_fixed_size 0
		.amdhsa_kernarg_size 336
		.amdhsa_user_sgpr_count 2
		.amdhsa_user_sgpr_dispatch_ptr 0
		.amdhsa_user_sgpr_queue_ptr 0
		.amdhsa_user_sgpr_kernarg_segment_ptr 1
		.amdhsa_user_sgpr_dispatch_id 0
		.amdhsa_user_sgpr_private_segment_size 0
		.amdhsa_wavefront_size32 1
		.amdhsa_uses_dynamic_stack 0
		.amdhsa_enable_private_segment 0
		.amdhsa_system_sgpr_workgroup_id_x 1
		.amdhsa_system_sgpr_workgroup_id_y 1
		.amdhsa_system_sgpr_workgroup_id_z 1
		.amdhsa_system_sgpr_workgroup_info 0
		.amdhsa_system_vgpr_workitem_id 0
		.amdhsa_next_free_vgpr 9
		.amdhsa_next_free_sgpr 44
		.amdhsa_reserve_vcc 1
		.amdhsa_float_round_mode_32 0
		.amdhsa_float_round_mode_16_64 0
		.amdhsa_float_denorm_mode_32 3
		.amdhsa_float_denorm_mode_16_64 3
		.amdhsa_fp16_overflow 0
		.amdhsa_workgroup_processor_mode 1
		.amdhsa_memory_ordered 1
		.amdhsa_forward_progress 1
		.amdhsa_inst_pref_size 28
		.amdhsa_round_robin_scheduling 0
		.amdhsa_exception_fp_ieee_invalid_op 0
		.amdhsa_exception_fp_denorm_src 0
		.amdhsa_exception_fp_ieee_div_zero 0
		.amdhsa_exception_fp_ieee_overflow 0
		.amdhsa_exception_fp_ieee_underflow 0
		.amdhsa_exception_fp_ieee_inexact 0
		.amdhsa_exception_int_div_zero 0
	.end_amdhsa_kernel
	.section	.text._ZL33flash_attn_stream_k_fixup_generalILi96ELi2ELi4EEvPfPK15HIP_vector_typeIfLj2EEiiiiS1_IjLj3EES5_S5_S5_,"axG",@progbits,_ZL33flash_attn_stream_k_fixup_generalILi96ELi2ELi4EEvPfPK15HIP_vector_typeIfLj2EEiiiiS1_IjLj3EES5_S5_S5_,comdat
.Lfunc_end29:
	.size	_ZL33flash_attn_stream_k_fixup_generalILi96ELi2ELi4EEvPfPK15HIP_vector_typeIfLj2EEiiiiS1_IjLj3EES5_S5_S5_, .Lfunc_end29-_ZL33flash_attn_stream_k_fixup_generalILi96ELi2ELi4EEvPfPK15HIP_vector_typeIfLj2EEiiiiS1_IjLj3EES5_S5_S5_
                                        ; -- End function
	.set _ZL33flash_attn_stream_k_fixup_generalILi96ELi2ELi4EEvPfPK15HIP_vector_typeIfLj2EEiiiiS1_IjLj3EES5_S5_S5_.num_vgpr, 9
	.set _ZL33flash_attn_stream_k_fixup_generalILi96ELi2ELi4EEvPfPK15HIP_vector_typeIfLj2EEiiiiS1_IjLj3EES5_S5_S5_.num_agpr, 0
	.set _ZL33flash_attn_stream_k_fixup_generalILi96ELi2ELi4EEvPfPK15HIP_vector_typeIfLj2EEiiiiS1_IjLj3EES5_S5_S5_.numbered_sgpr, 44
	.set _ZL33flash_attn_stream_k_fixup_generalILi96ELi2ELi4EEvPfPK15HIP_vector_typeIfLj2EEiiiiS1_IjLj3EES5_S5_S5_.num_named_barrier, 0
	.set _ZL33flash_attn_stream_k_fixup_generalILi96ELi2ELi4EEvPfPK15HIP_vector_typeIfLj2EEiiiiS1_IjLj3EES5_S5_S5_.private_seg_size, 0
	.set _ZL33flash_attn_stream_k_fixup_generalILi96ELi2ELi4EEvPfPK15HIP_vector_typeIfLj2EEiiiiS1_IjLj3EES5_S5_S5_.uses_vcc, 1
	.set _ZL33flash_attn_stream_k_fixup_generalILi96ELi2ELi4EEvPfPK15HIP_vector_typeIfLj2EEiiiiS1_IjLj3EES5_S5_S5_.uses_flat_scratch, 0
	.set _ZL33flash_attn_stream_k_fixup_generalILi96ELi2ELi4EEvPfPK15HIP_vector_typeIfLj2EEiiiiS1_IjLj3EES5_S5_S5_.has_dyn_sized_stack, 0
	.set _ZL33flash_attn_stream_k_fixup_generalILi96ELi2ELi4EEvPfPK15HIP_vector_typeIfLj2EEiiiiS1_IjLj3EES5_S5_S5_.has_recursion, 0
	.set _ZL33flash_attn_stream_k_fixup_generalILi96ELi2ELi4EEvPfPK15HIP_vector_typeIfLj2EEiiiiS1_IjLj3EES5_S5_S5_.has_indirect_call, 0
	.section	.AMDGPU.csdata,"",@progbits
; Kernel info:
; codeLenInByte = 3540
; TotalNumSgprs: 46
; NumVgprs: 9
; ScratchSize: 0
; MemoryBound: 0
; FloatMode: 240
; IeeeMode: 1
; LDSByteSize: 0 bytes/workgroup (compile time only)
; SGPRBlocks: 0
; VGPRBlocks: 1
; NumSGPRsForWavesPerEU: 46
; NumVGPRsForWavesPerEU: 9
; Occupancy: 16
; WaveLimiterHint : 0
; COMPUTE_PGM_RSRC2:SCRATCH_EN: 0
; COMPUTE_PGM_RSRC2:USER_SGPR: 2
; COMPUTE_PGM_RSRC2:TRAP_HANDLER: 0
; COMPUTE_PGM_RSRC2:TGID_X_EN: 1
; COMPUTE_PGM_RSRC2:TGID_Y_EN: 1
; COMPUTE_PGM_RSRC2:TGID_Z_EN: 1
; COMPUTE_PGM_RSRC2:TIDIG_COMP_CNT: 0
	.section	.text._ZL15flash_attn_tileILi96ELi96ELi1ELi4ELb0EEvPKcS1_S1_S1_S1_PKiPfP15HIP_vector_typeIfLj2EEffffjfiS5_IjLj3EEiiiiiiiiiiiliiliiiiil,"axG",@progbits,_ZL15flash_attn_tileILi96ELi96ELi1ELi4ELb0EEvPKcS1_S1_S1_S1_PKiPfP15HIP_vector_typeIfLj2EEffffjfiS5_IjLj3EEiiiiiiiiiiiliiliiiiil,comdat
	.globl	_ZL15flash_attn_tileILi96ELi96ELi1ELi4ELb0EEvPKcS1_S1_S1_S1_PKiPfP15HIP_vector_typeIfLj2EEffffjfiS5_IjLj3EEiiiiiiiiiiiliiliiiiil ; -- Begin function _ZL15flash_attn_tileILi96ELi96ELi1ELi4ELb0EEvPKcS1_S1_S1_S1_PKiPfP15HIP_vector_typeIfLj2EEffffjfiS5_IjLj3EEiiiiiiiiiiiliiliiiiil
	.p2align	8
	.type	_ZL15flash_attn_tileILi96ELi96ELi1ELi4ELb0EEvPKcS1_S1_S1_S1_PKiPfP15HIP_vector_typeIfLj2EEffffjfiS5_IjLj3EEiiiiiiiiiiiliiliiiiil,@function
_ZL15flash_attn_tileILi96ELi96ELi1ELi4ELb0EEvPKcS1_S1_S1_S1_PKiPfP15HIP_vector_typeIfLj2EEffffjfiS5_IjLj3EEiiiiiiiiiiiliiliiiiil: ; @_ZL15flash_attn_tileILi96ELi96ELi1ELi4ELb0EEvPKcS1_S1_S1_S1_PKiPfP15HIP_vector_typeIfLj2EEffffjfiS5_IjLj3EEiiiiiiiiiiiliiliiiiil
; %bb.0:
	s_clause 0x1
	s_load_b128 s[20:23], s[0:1], 0x5c
	s_load_b64 s[30:31], s[0:1], 0x80
	s_lshr_b32 s5, ttmp7, 16
	s_mov_b32 s37, 0
	s_mov_b64 s[34:35], 0
	s_wait_kmcnt 0x0
	s_ashr_i32 s2, s23, 31
	s_delay_alu instid0(SALU_CYCLE_1) | instskip(NEXT) | instid1(SALU_CYCLE_1)
	s_lshr_b32 s2, s2, 30
	s_add_co_i32 s2, s23, s2
	s_delay_alu instid0(SALU_CYCLE_1) | instskip(NEXT) | instid1(SALU_CYCLE_1)
	s_ashr_i32 s2, s2, 2
	s_cvt_f32_u32 s3, s2
	s_sub_co_i32 s4, 0, s2
	s_delay_alu instid0(SALU_CYCLE_2) | instskip(NEXT) | instid1(TRANS32_DEP_1)
	v_rcp_iflag_f32_e32 v1, s3
	v_readfirstlane_b32 s3, v1
	s_mul_f32 s3, s3, 0x4f7ffffe
	s_wait_alu 0xfffe
	s_delay_alu instid0(SALU_CYCLE_2) | instskip(SKIP_1) | instid1(SALU_CYCLE_2)
	s_cvt_u32_f32 s3, s3
	s_wait_alu 0xfffe
	s_mul_i32 s4, s4, s3
	s_delay_alu instid0(SALU_CYCLE_1) | instskip(NEXT) | instid1(SALU_CYCLE_1)
	s_mul_hi_u32 s4, s3, s4
	s_add_co_i32 s3, s3, s4
	s_wait_alu 0xfffe
	s_mul_hi_u32 s3, s5, s3
	s_wait_alu 0xfffe
	s_mul_i32 s4, s3, s2
	s_add_co_i32 s6, s3, 1
	s_sub_co_i32 s4, s5, s4
	s_delay_alu instid0(SALU_CYCLE_1)
	s_sub_co_i32 s7, s4, s2
	s_cmp_ge_u32 s4, s2
	s_cselect_b32 s3, s6, s3
	s_cselect_b32 s4, s7, s4
	s_wait_alu 0xfffe
	s_add_co_i32 s6, s3, 1
	s_cmp_ge_u32 s4, s2
	s_cselect_b32 s28, s6, s3
	s_abs_i32 s2, s31
	s_abs_i32 s6, s23
	s_wait_alu 0xfffe
	s_cvt_f32_u32 s3, s2
	s_sub_co_i32 s4, 0, s2
	s_lshl_b32 s25, s5, 2
	s_mul_i32 s26, s28, s23
	s_wait_alu 0xfffe
	v_rcp_iflag_f32_e32 v1, s3
	s_delay_alu instid0(TRANS32_DEP_1) | instskip(SKIP_2) | instid1(SALU_CYCLE_2)
	v_readfirstlane_b32 s3, v1
	s_mul_f32 s3, s3, 0x4f7ffffe
	s_wait_alu 0xfffe
	s_cvt_u32_f32 s3, s3
	s_wait_alu 0xfffe
	s_delay_alu instid0(SALU_CYCLE_2) | instskip(NEXT) | instid1(SALU_CYCLE_1)
	s_mul_i32 s4, s4, s3
	s_mul_hi_u32 s4, s3, s4
	s_delay_alu instid0(SALU_CYCLE_1)
	s_add_co_i32 s3, s3, s4
	s_xor_b32 s4, s23, s31
	s_wait_alu 0xfffe
	s_mul_hi_u32 s3, s6, s3
	s_ashr_i32 s24, s4, 31
	s_wait_alu 0xfffe
	s_mul_i32 s5, s3, s2
	s_delay_alu instid0(SALU_CYCLE_1)
	s_sub_co_i32 s4, s6, s5
	s_add_co_i32 s5, s3, 1
	s_sub_co_i32 s6, s4, s2
	s_cmp_ge_u32 s4, s2
	s_cselect_b32 s3, s5, s3
	s_cselect_b32 s4, s6, s4
	s_wait_alu 0xfffe
	s_add_co_i32 s5, s3, 1
	s_cmp_ge_u32 s4, s2
	s_cselect_b32 s2, s5, s3
	s_load_b512 s[4:19], s[0:1], 0x0
	s_xor_b32 s2, s2, s24
	s_wait_alu 0xfffe
	s_sub_co_i32 s33, s2, s24
	s_load_b64 s[2:3], s[0:1], 0xb8
	s_abs_i32 s31, s33
	s_delay_alu instid0(SALU_CYCLE_1) | instskip(NEXT) | instid1(SALU_CYCLE_3)
	s_cvt_f32_u32 s24, s31
	v_rcp_iflag_f32_e32 v1, s24
	s_wait_kmcnt 0x0
	s_cmp_eq_u64 s[10:11], 0
	s_delay_alu instid0(TRANS32_DEP_1)
	v_readfirstlane_b32 s24, v1
	s_cbranch_scc1 .LBB30_2
; %bb.1:
	s_abs_i32 s2, s2
	s_load_b64 s[34:35], s[0:1], 0xc8
	s_cvt_f32_u32 s27, s2
	s_sub_co_i32 s29, 0, s2
	s_delay_alu instid0(SALU_CYCLE_2) | instskip(NEXT) | instid1(TRANS32_DEP_1)
	v_rcp_iflag_f32_e32 v1, s27
	v_readfirstlane_b32 s27, v1
	s_mul_f32 s27, s27, 0x4f7ffffe
	s_wait_alu 0xfffe
	s_delay_alu instid0(SALU_CYCLE_2) | instskip(SKIP_1) | instid1(SALU_CYCLE_2)
	s_cvt_u32_f32 s27, s27
	s_wait_alu 0xfffe
	s_mul_i32 s29, s29, s27
	s_delay_alu instid0(SALU_CYCLE_1) | instskip(NEXT) | instid1(SALU_CYCLE_1)
	s_mul_hi_u32 s29, s27, s29
	s_add_co_i32 s27, s27, s29
	s_wait_alu 0xfffe
	s_mul_hi_u32 s27, s28, s27
	s_wait_alu 0xfffe
	s_mul_i32 s27, s27, s2
	s_wait_alu 0xfffe
	s_sub_co_i32 s27, s28, s27
	s_wait_alu 0xfffe
	s_sub_co_i32 s29, s27, s2
	s_cmp_ge_u32 s27, s2
	s_cselect_b32 s27, s29, s27
	s_wait_alu 0xfffe
	s_sub_co_i32 s29, s27, s2
	s_cmp_ge_u32 s27, s2
	s_cselect_b32 s38, s29, s27
	s_delay_alu instid0(SALU_CYCLE_1) | instskip(SKIP_2) | instid1(SALU_CYCLE_1)
	s_ashr_i32 s39, s38, 31
	s_wait_kmcnt 0x0
	s_mul_u64 s[34:35], s[34:35], s[38:39]
	s_add_nc_u64 s[34:35], s[10:11], s[34:35]
.LBB30_2:
	v_and_b32_e32 v40, 0x3ff, v0
	v_bfe_u32 v0, v0, 10, 10
	s_movk_i32 s10, 0xc0
	s_sub_co_i32 s11, s25, s26
	s_delay_alu instid0(VALU_DEP_2) | instskip(NEXT) | instid1(VALU_DEP_2)
	v_cmp_gt_u32_e64 s2, 24, v40
	v_mad_u32_u24 v53, v0, s10, 0xe80
	v_lshlrev_b32_e32 v54, 3, v40
	v_and_b32_e32 v51, 3, v0
	v_lshrrev_b32_e32 v52, 2, v0
	s_and_saveexec_b32 s10, s2
	s_cbranch_execz .LBB30_4
; %bb.3:
	s_delay_alu instid0(VALU_DEP_1) | instskip(SKIP_1) | instid1(VALU_DEP_1)
	v_add_nc_u32_e32 v1, ttmp9, v52
	s_load_b96 s[40:42], s[0:1], 0x70
	v_mul_hi_u32 v2, s20, v1
	s_delay_alu instid0(VALU_DEP_1) | instskip(NEXT) | instid1(VALU_DEP_1)
	v_add_nc_u32_e32 v2, v1, v2
	v_lshrrev_b32_e32 v2, s21, v2
	s_wait_kmcnt 0x0
	s_ashr_i32 s39, s41, 31
	s_mov_b32 s38, s41
	s_delay_alu instid0(VALU_DEP_1)
	v_mul_lo_u32 v2, v2, s22
	s_mul_i32 s26, s11, s41
	s_ashr_i32 s41, s40, 31
	s_lshr_b64 s[44:45], s[38:39], 2
	s_lshr_b32 s25, s39, 2
	s_mul_i32 s38, s28, s42
	s_wait_alu 0xfffe
	s_ashr_i32 s27, s26, 31
	s_ashr_i32 s39, s38, 31
	v_sub_nc_u32_e32 v7, v1, v2
	v_mad_co_u64_u32 v[1:2], null, s44, v51, 0
	s_lshr_b64 s[44:45], s[40:41], 2
	s_add_nc_u64 s[4:5], s[4:5], s[38:39]
	s_wait_alu 0xfffe
	v_mad_co_u64_u32 v[3:4], null, s44, v7, 0
	s_add_nc_u64 s[4:5], s[4:5], s[26:27]
	v_mad_co_u64_u32 v[5:6], null, s25, v51, v[2:3]
	s_lshr_b32 s25, s41, 2
	s_wait_alu 0xfffe
	v_mad_co_u64_u32 v[6:7], null, s25, v7, v[4:5]
	v_dual_mov_b32 v2, v5 :: v_dual_lshlrev_b32 v5, 4, v40
	s_delay_alu instid0(VALU_DEP_1) | instskip(NEXT) | instid1(VALU_DEP_3)
	v_lshlrev_b64_e32 v[1:2], 2, v[1:2]
	v_mov_b32_e32 v4, v6
	s_delay_alu instid0(VALU_DEP_2) | instskip(NEXT) | instid1(VALU_DEP_2)
	v_add_co_u32 v1, vcc_lo, s4, v1
	v_lshlrev_b64_e32 v[3:4], 2, v[3:4]
	s_delay_alu instid0(VALU_DEP_4) | instskip(SKIP_4) | instid1(VALU_DEP_2)
	v_add_co_ci_u32_e64 v2, null, s5, v2, vcc_lo
	s_load_b32 s4, s[0:1], 0x40
	v_add_co_u32 v1, vcc_lo, v1, v3
	s_wait_alu 0xfffd
	v_add_co_ci_u32_e64 v2, null, v2, v4, vcc_lo
	v_add_co_u32 v1, vcc_lo, v1, v5
	s_wait_alu 0xfffd
	s_delay_alu instid0(VALU_DEP_2)
	v_add_co_ci_u32_e64 v2, null, 0, v2, vcc_lo
	v_add_nc_u32_e32 v5, v53, v54
	global_load_b128 v[1:4], v[1:2], off
	s_wait_loadcnt 0x0
	s_wait_kmcnt 0x0
	v_fma_mixlo_f16 v2, s4, v2, 0
	v_fma_mixlo_f16 v1, s4, v1, 0
	;; [unrolled: 1-line block ×4, first 2 shown]
	s_delay_alu instid0(VALU_DEP_4) | instskip(NEXT) | instid1(VALU_DEP_4)
	v_lshlrev_b32_e32 v2, 16, v2
	v_and_b32_e32 v1, 0xffff, v1
	s_delay_alu instid0(VALU_DEP_4) | instskip(NEXT) | instid1(VALU_DEP_4)
	v_and_b32_e32 v3, 0xffff, v3
	v_lshlrev_b32_e32 v4, 16, v4
	s_delay_alu instid0(VALU_DEP_3) | instskip(NEXT) | instid1(VALU_DEP_2)
	v_or_b32_e32 v1, v2, v1
	v_or3_b32 v2, v4, v3, 0
	s_delay_alu instid0(VALU_DEP_2)
	v_or3_b32 v1, 0, 0, v1
	ds_store_b64 v5, v[1:2]
.LBB30_4:
	s_wait_alu 0xfffe
	s_or_b32 exec_lo, exec_lo, s10
	s_cmp_eq_u64 s[14:15], 0
	s_wait_dscnt 0x0
	s_barrier_signal -1
	s_barrier_wait -1
	global_inv scope:SCOPE_SE
	s_cbranch_scc1 .LBB30_6
; %bb.5:
	s_load_b32 s4, s[0:1], 0xd0
	s_mov_b32 s5, 0
	s_wait_kmcnt 0x0
	s_mul_i32 s4, s4, s28
	s_wait_alu 0xfffe
	s_add_co_i32 s4, s4, ttmp9
	s_wait_alu 0xfffe
	s_lshl_b64 s[4:5], s[4:5], 2
	s_wait_alu 0xfffe
	s_add_nc_u64 s[4:5], s[14:15], s[4:5]
	s_load_b32 s30, s[4:5], 0x0
.LBB30_6:
	s_and_b32 s10, ttmp7, 0xffff
	v_mbcnt_lo_u32_b32 v55, -1, 0
	s_wait_alu 0xfffe
	s_lshl_b32 s14, s10, 5
	s_wait_kmcnt 0x0
	s_cmp_lt_i32 s14, s30
	s_cbranch_scc1 .LBB30_9
; %bb.7:
	v_mbcnt_lo_u32_b32 v1, -1, 0
	v_mov_b32_e32 v56, 32
	s_delay_alu instid0(VALU_DEP_2)
	v_xor_b32_e32 v61, 16, v1
	v_xor_b32_e32 v60, 8, v1
	;; [unrolled: 1-line block ×5, first 2 shown]
	s_mov_b32 s29, 0
	s_cbranch_execz .LBB30_10
; %bb.8:
	v_dual_mov_b32 v73, 0 :: v_dual_mov_b32 v50, 0xfeffffff
	v_dual_mov_b32 v75, 0 :: v_dual_mov_b32 v62, 0
	s_branch .LBB30_22
.LBB30_9:
                                        ; implicit-def: $vgpr1
                                        ; implicit-def: $vgpr56
                                        ; implicit-def: $vgpr61
                                        ; implicit-def: $vgpr60
                                        ; implicit-def: $vgpr59
                                        ; implicit-def: $vgpr58
                                        ; implicit-def: $vgpr57
	s_mov_b32 s29, 0
.LBB30_10:
	s_mul_f32 s15, s24, 0x4f7ffffe
	s_clause 0x1
	s_load_b128 s[24:27], s[0:1], 0x98
	s_load_b64 s[4:5], s[0:1], 0x8c
	v_dual_mov_b32 v62, 0 :: v_dual_add_nc_u32 v5, ttmp9, v52
	s_cvt_u32_f32 s15, s15
	s_sub_co_i32 s38, 0, s31
	v_lshrrev_b32_e32 v1, 1, v40
	s_delay_alu instid0(VALU_DEP_2)
	v_mul_hi_u32 v2, s20, v5
	s_mul_i32 s38, s38, s15
	s_abs_i32 s36, s11
	s_mul_hi_u32 s38, s15, s38
	s_mov_b32 s39, s37
	s_add_co_i32 s38, s15, s38
	v_lshl_add_u32 v4, v0, 4, v1
	s_ashr_i32 s42, s11, 31
	v_dual_mov_b32 v56, 32 :: v_dual_add_nc_u32 v1, v5, v2
	s_ashr_i32 s33, s33, 31
	s_mul_u64 s[38:39], s[36:37], s[38:39]
	v_dual_mov_b32 v73, 0 :: v_dual_lshlrev_b32 v6, 2, v40
	v_lshrrev_b32_e32 v3, 2, v40
	s_xor_b32 s15, s42, s33
	s_mul_i32 s33, s39, s31
	v_lshrrev_b32_e32 v2, s21, v1
	s_sub_co_i32 s33, s36, s33
	s_wait_kmcnt 0x0
	s_ashr_i32 s36, s4, 2
	v_lshl_add_u32 v8, v0, 3, v3
	v_cmp_gt_u32_e32 vcc_lo, 32, v4
	v_dual_mov_b32 v74, 0 :: v_dual_and_b32 v11, 4, v6
	v_mul_u32_u24_e32 v7, 0x70, v4
	v_mul_lo_u32 v3, s36, v4
	v_lshrrev_b32_e32 v4, 3, v40
	s_load_b64 s[40:41], s[0:1], 0xa8
	v_mul_lo_u32 v12, v2, s22
	v_lshlrev_b32_e32 v13, 2, v11
	s_ashr_i32 s26, s26, 2
	v_lshl_add_u32 v14, v0, 2, v4
	v_dual_mov_b32 v76, 0xfeffffff :: v_dual_and_b32 v9, 12, v6
	s_ashr_i32 s3, s3, 1
	s_add_co_i32 s37, s39, 1
	s_sub_co_i32 s4, s33, s31
	s_cmp_ge_u32 s33, s31
	v_mul_lo_u32 v1, s36, v8
	v_add3_u32 v65, v7, v13, 64
	v_sub_nc_u32_e32 v12, v5, v12
	s_wait_alu 0xfffe
	v_mul_lo_u32 v5, s26, v14
	v_mul_lo_u32 v7, s26, v8
	s_cselect_b32 s37, s37, s39
	s_cselect_b32 s4, s4, s33
	v_lshlrev_b32_e32 v10, 2, v9
	s_wait_alu 0xfffe
	s_add_co_i32 s33, s37, 1
	v_lshl_add_u32 v66, v0, 6, 0x1180
	v_mul_u32_u24_e32 v0, 0xc0, v8
	v_and_b32_e32 v13, 28, v6
	s_cmp_ge_u32 s4, s31
	v_mad_u32_u24 v63, 0x70, v8, v10
	s_cselect_b32 s4, s33, s37
	v_ashrrev_i32_e32 v2, 31, v1
	v_ashrrev_i32_e32 v4, 31, v3
	v_mad_co_u64_u32 v[41:42], null, v12, s3, v[40:41]
	v_cmp_gt_u32_e64 s3, 16, v8
	v_ashrrev_i32_e32 v6, 31, v5
	v_ashrrev_i32_e32 v8, 31, v7
	s_wait_alu 0xfffe
	s_xor_b32 s4, s4, s15
	v_or_b32_e32 v0, v0, v10
	v_lshlrev_b32_e32 v10, 2, v13
	s_mul_u64 s[24:25], s[24:25], s[28:29]
	s_wait_kmcnt 0x0
	s_mul_u64 s[38:39], s[40:41], s[28:29]
	s_wait_alu 0xfffe
	s_sub_co_i32 s15, s4, s15
	s_add_nc_u64 s[6:7], s[6:7], s[24:25]
	s_mul_i32 s4, s15, s5
	s_add_nc_u64 s[24:25], s[8:9], s[38:39]
	s_mul_i32 s38, s15, s27
	v_lshlrev_b64_e32 v[42:43], 2, v[3:4]
	v_lshlrev_b64_e32 v[44:45], 2, v[1:2]
	;; [unrolled: 1-line block ×4, first 2 shown]
	v_mul_u32_u24_e32 v64, 0x70, v40
	v_lshl_add_u32 v67, v40, 1, v66
	v_add_nc_u32_e32 v68, 0x80, v0
	v_mad_u32_u24 v69, 0xc0, v14, v10
	v_lshlrev_b32_e32 v70, 2, v9
	v_xor_b32_e32 v61, 16, v55
	v_xor_b32_e32 v60, 8, v55
	;; [unrolled: 1-line block ×5, first 2 shown]
	v_lshlrev_b32_e32 v71, 2, v13
	v_lshlrev_b32_e32 v72, 2, v11
	s_wait_alu 0xfffe
	s_ashr_i32 s5, s4, 31
	s_ashr_i32 s39, s38, 31
	s_wait_alu 0xfffe
	s_add_nc_u64 s[8:9], s[6:7], s[4:5]
	s_add_nc_u64 s[24:25], s[24:25], s[38:39]
	s_ashr_i32 s37, s36, 31
	s_ashr_i32 s27, s26, 31
	s_add_nc_u64 s[20:21], s[0:1], 0xd0
.LBB30_11:                              ; =>This Inner Loop Header: Depth=1
	s_ashr_i32 s15, s14, 31
	s_wait_alu 0xfffe
	s_mul_u64 s[4:5], s[14:15], s[36:37]
	s_wait_alu 0xfffe
	s_lshl_b64 s[4:5], s[4:5], 2
	s_wait_alu 0xfffe
	s_add_nc_u64 s[6:7], s[8:9], s[4:5]
	s_and_saveexec_b32 s5, vcc_lo
	s_cbranch_execz .LBB30_13
; %bb.12:                               ;   in Loop: Header=BB30_11 Depth=1
	s_wait_alu 0xfffe
	v_add_co_u32 v0, s4, s6, v42
	s_wait_alu 0xf1ff
	v_add_co_ci_u32_e64 v1, null, s7, v43, s4
	s_delay_alu instid0(VALU_DEP_2) | instskip(SKIP_1) | instid1(VALU_DEP_2)
	v_add_co_u32 v0, s4, v0, v72
	s_wait_alu 0xf1ff
	v_add_co_ci_u32_e64 v1, null, 0, v1, s4
	global_load_b128 v[0:3], v[0:1], off offset:64
	s_wait_loadcnt 0x0
	ds_store_b128 v65, v[0:3]
.LBB30_13:                              ;   in Loop: Header=BB30_11 Depth=1
	s_wait_alu 0xfffe
	s_or_b32 exec_lo, exec_lo, s5
	v_add_co_u32 v0, s4, s6, v44
	s_wait_alu 0xf1ff
	v_add_co_ci_u32_e64 v1, null, s7, v45, s4
	s_delay_alu instid0(VALU_DEP_2) | instskip(SKIP_1) | instid1(VALU_DEP_2)
	v_add_co_u32 v0, s4, v0, v70
	s_wait_alu 0xf1ff
	v_add_co_ci_u32_e64 v1, null, 0, v1, s4
	global_load_b128 v[2:5], v[0:1], off
	s_wait_loadcnt 0x0
	ds_store_b128 v63, v[2:5]
	s_wait_dscnt 0x0
	s_barrier_signal -1
	s_barrier_wait -1
	global_inv scope:SCOPE_SE
	ds_load_b128 v[3:6], v64
	ds_load_b128 v[7:10], v53
	v_mov_b32_e32 v2, 0
	s_wait_dscnt 0x0
	;;#ASMSTART
	v_dot2_f32_f16 v2, v3, v7, v2
	;;#ASMEND
	;;#ASMSTART
	v_dot2_f32_f16 v2, v4, v8, v2
	;;#ASMEND
	;;#ASMSTART
	v_dot2_f32_f16 v2, v5, v9, v2
	;;#ASMEND
	;;#ASMSTART
	v_dot2_f32_f16 v2, v6, v10, v2
	;;#ASMEND
	ds_load_b128 v[3:6], v64 offset:16
	ds_load_b128 v[7:10], v53 offset:16
	s_wait_dscnt 0x0
	;;#ASMSTART
	v_dot2_f32_f16 v2, v3, v7, v2
	;;#ASMEND
	;;#ASMSTART
	v_dot2_f32_f16 v2, v4, v8, v2
	;;#ASMEND
	;;#ASMSTART
	v_dot2_f32_f16 v2, v5, v9, v2
	;;#ASMEND
	;;#ASMSTART
	v_dot2_f32_f16 v2, v6, v10, v2
	;;#ASMEND
	ds_load_b128 v[3:6], v64 offset:32
	ds_load_b128 v[7:10], v53 offset:32
	;; [unrolled: 15-line block ×5, first 2 shown]
	s_wait_dscnt 0x0
	;;#ASMSTART
	v_dot2_f32_f16 v2, v3, v7, v2
	;;#ASMEND
	;;#ASMSTART
	v_dot2_f32_f16 v2, v4, v8, v2
	;;#ASMEND
	;; [unrolled: 3-line block ×4, first 2 shown]
	s_wait_loadcnt 0x0
	s_barrier_signal -1
	s_barrier_wait -1
	global_inv scope:SCOPE_SE
	s_and_saveexec_b32 s5, vcc_lo
	s_cbranch_execz .LBB30_15
; %bb.14:                               ;   in Loop: Header=BB30_11 Depth=1
	v_add_co_u32 v3, s4, s6, v42
	s_wait_alu 0xf1ff
	v_add_co_ci_u32_e64 v4, null, s7, v43, s4
	s_delay_alu instid0(VALU_DEP_2) | instskip(SKIP_1) | instid1(VALU_DEP_2)
	v_add_co_u32 v3, s4, v3, v72
	s_wait_alu 0xf1ff
	v_add_co_ci_u32_e64 v4, null, 0, v4, s4
	global_load_b128 v[3:6], v[3:4], off offset:160
	s_wait_loadcnt 0x0
	ds_store_b128 v65, v[3:6]
.LBB30_15:                              ;   in Loop: Header=BB30_11 Depth=1
	s_wait_alu 0xfffe
	s_or_b32 exec_lo, exec_lo, s5
	global_load_b128 v[3:6], v[0:1], off offset:96
	v_add_nc_u32_e32 v0, s14, v41
	s_delay_alu instid0(VALU_DEP_1) | instskip(NEXT) | instid1(VALU_DEP_1)
	v_ashrrev_i32_e32 v1, 31, v0
	v_lshlrev_b64_e32 v[0:1], 1, v[0:1]
	s_delay_alu instid0(VALU_DEP_1) | instskip(SKIP_1) | instid1(VALU_DEP_2)
	v_add_co_u32 v0, s4, s34, v0
	s_wait_alu 0xf1ff
	v_add_co_ci_u32_e64 v1, null, s35, v1, s4
	v_cmp_gt_i32_e64 s4, 32, v61
	s_wait_loadcnt 0x0
	ds_store_b128 v63, v[3:6]
	s_wait_dscnt 0x0
	s_barrier_signal -1
	s_barrier_wait -1
	global_inv scope:SCOPE_SE
	ds_load_b128 v[3:6], v64
	ds_load_b128 v[7:10], v53 offset:96
	s_wait_dscnt 0x0
	;;#ASMSTART
	v_dot2_f32_f16 v2, v3, v7, v2
	;;#ASMEND
	;;#ASMSTART
	v_dot2_f32_f16 v2, v4, v8, v2
	;;#ASMEND
	;;#ASMSTART
	v_dot2_f32_f16 v2, v5, v9, v2
	;;#ASMEND
	;;#ASMSTART
	v_dot2_f32_f16 v2, v6, v10, v2
	;;#ASMEND
	ds_load_b128 v[3:6], v64 offset:16
	ds_load_b128 v[7:10], v53 offset:112
	s_wait_dscnt 0x0
	;;#ASMSTART
	v_dot2_f32_f16 v2, v3, v7, v2
	;;#ASMEND
	;;#ASMSTART
	v_dot2_f32_f16 v2, v4, v8, v2
	;;#ASMEND
	;;#ASMSTART
	v_dot2_f32_f16 v2, v5, v9, v2
	;;#ASMEND
	;;#ASMSTART
	v_dot2_f32_f16 v2, v6, v10, v2
	;;#ASMEND
	ds_load_b128 v[3:6], v64 offset:32
	;; [unrolled: 15-line block ×5, first 2 shown]
	ds_load_b128 v[7:10], v53 offset:176
	s_wait_dscnt 0x0
	;;#ASMSTART
	v_dot2_f32_f16 v2, v3, v7, v2
	;;#ASMEND
	;;#ASMSTART
	v_dot2_f32_f16 v2, v4, v8, v2
	;;#ASMEND
	;; [unrolled: 3-line block ×4, first 2 shown]
	global_load_u16 v0, v[0:1], off
	s_wait_alu 0xf1ff
	v_cndmask_b32_e64 v1, v55, v61, s4
	v_cmp_gt_i32_e64 s4, 32, v60
	s_wait_loadcnt 0x0
	s_barrier_signal -1
	s_barrier_wait -1
	global_inv scope:SCOPE_SE
	v_lshlrev_b32_e32 v1, 2, v1
	v_cvt_f32_f16_e32 v0, v0
	s_delay_alu instid0(VALU_DEP_1) | instskip(SKIP_1) | instid1(VALU_DEP_2)
	v_add_f32_e32 v0, v2, v0
	v_max_num_f32_e32 v2, v76, v76
	v_add_f32_e32 v3, 0x40051340, v0
	s_delay_alu instid0(VALU_DEP_1)
	v_max_num_f32_e32 v2, v2, v3
	s_wait_alu 0xf1ff
	v_cndmask_b32_e64 v3, v55, v60, s4
	v_cmp_gt_i32_e64 s4, 32, v59
	ds_bpermute_b32 v1, v1, v2
	v_lshlrev_b32_e32 v3, 2, v3
	s_wait_dscnt 0x0
	v_max_num_f32_e32 v1, v1, v1
	s_delay_alu instid0(VALU_DEP_1)
	v_max_num_f32_e32 v1, v2, v1
	ds_bpermute_b32 v2, v3, v1
	s_wait_alu 0xf1ff
	v_cndmask_b32_e64 v3, v55, v59, s4
	v_cmp_gt_i32_e64 s4, 32, v58
	s_wait_dscnt 0x0
	s_delay_alu instid0(VALU_DEP_2) | instskip(NEXT) | instid1(VALU_DEP_1)
	v_dual_max_num_f32 v2, v2, v2 :: v_dual_lshlrev_b32 v3, 2, v3
	v_max_num_f32_e32 v1, v1, v2
	ds_bpermute_b32 v2, v3, v1
	s_wait_alu 0xf1ff
	v_cndmask_b32_e64 v3, v55, v58, s4
	v_cmp_gt_i32_e64 s4, 32, v57
	s_wait_dscnt 0x0
	s_delay_alu instid0(VALU_DEP_2) | instskip(NEXT) | instid1(VALU_DEP_1)
	v_dual_max_num_f32 v2, v2, v2 :: v_dual_lshlrev_b32 v3, 2, v3
	v_max_num_f32_e32 v1, v1, v2
	ds_bpermute_b32 v2, v3, v1
	s_wait_alu 0xf1ff
	v_cndmask_b32_e64 v3, v55, v57, s4
	s_wait_dscnt 0x0
	v_max_num_f32_e32 v2, v2, v2
	s_delay_alu instid0(VALU_DEP_1) | instskip(NEXT) | instid1(VALU_DEP_3)
	v_max_num_f32_e32 v1, v1, v2
	v_lshlrev_b32_e32 v3, 2, v3
	ds_bpermute_b32 v2, v3, v1
	s_wait_dscnt 0x0
	v_max_num_f32_e32 v2, v2, v2
	s_delay_alu instid0(VALU_DEP_1) | instskip(NEXT) | instid1(VALU_DEP_1)
	v_max_num_f32_e32 v50, v1, v2
	v_sub_f32_e32 v0, v0, v50
	s_delay_alu instid0(VALU_DEP_1) | instskip(SKIP_1) | instid1(VALU_DEP_2)
	v_mul_f32_e32 v1, 0x3fb8aa3b, v0
	v_cmp_ngt_f32_e64 s4, 0xc2ce8ed0, v0
	v_fma_f32 v2, 0x3fb8aa3b, v0, -v1
	v_rndne_f32_e32 v3, v1
	s_delay_alu instid0(VALU_DEP_1) | instskip(NEXT) | instid1(VALU_DEP_1)
	v_dual_fmac_f32 v2, 0x32a5705f, v0 :: v_dual_sub_f32 v1, v1, v3
	v_add_f32_e32 v1, v1, v2
	v_cvt_i32_f32_e32 v2, v3
	s_delay_alu instid0(VALU_DEP_2) | instskip(NEXT) | instid1(TRANS32_DEP_1)
	v_exp_f32_e32 v1, v1
	v_ldexp_f32 v1, v1, v2
	s_wait_alu 0xf1ff
	s_delay_alu instid0(VALU_DEP_1) | instskip(SKIP_2) | instid1(VALU_DEP_1)
	v_cndmask_b32_e64 v1, 0, v1, s4
	v_cmp_nlt_f32_e64 s4, 0x42b17218, v0
	s_wait_alu 0xf1ff
	v_cndmask_b32_e64 v75, 0x7f800000, v1, s4
	s_mul_u64 s[4:5], s[14:15], s[26:27]
	s_wait_alu 0xfffe
	s_lshl_b64 s[4:5], s[4:5], 2
	s_delay_alu instid0(VALU_DEP_1)
	v_cvt_f16_f32_e32 v0, v75
	s_wait_alu 0xfffe
	s_add_nc_u64 s[6:7], s[24:25], s[4:5]
	ds_store_b16 v67, v0
	s_and_saveexec_b32 s5, s3
	s_cbranch_execz .LBB30_17
; %bb.16:                               ;   in Loop: Header=BB30_11 Depth=1
	s_wait_alu 0xfffe
	v_add_co_u32 v0, s4, s6, v46
	s_wait_alu 0xf1ff
	v_add_co_ci_u32_e64 v1, null, s7, v47, s4
	s_delay_alu instid0(VALU_DEP_2) | instskip(SKIP_1) | instid1(VALU_DEP_2)
	v_add_co_u32 v0, s4, v0, v70
	s_wait_alu 0xf1ff
	v_add_co_ci_u32_e64 v1, null, 0, v1, s4
	global_load_b128 v[0:3], v[0:1], off offset:128
	s_wait_loadcnt 0x0
	ds_store_b128 v68, v[0:3]
.LBB30_17:                              ;   in Loop: Header=BB30_11 Depth=1
	s_wait_alu 0xfffe
	s_or_b32 exec_lo, exec_lo, s5
	v_add_co_u32 v0, s4, s6, v48
	s_wait_alu 0xf1ff
	v_add_co_ci_u32_e64 v1, null, s7, v49, s4
	v_add_nc_u32_e32 v78, 0x400, v54
	s_delay_alu instid0(VALU_DEP_3) | instskip(SKIP_1) | instid1(VALU_DEP_3)
	v_add_co_u32 v0, s4, v0, v71
	s_wait_alu 0xf1ff
	v_add_co_ci_u32_e64 v1, null, 0, v1, s4
	v_add_nc_u32_e32 v77, 0x800, v54
	v_sub_f32_e32 v76, v76, v50
	s_or_b32 s4, s14, 16
	global_load_b128 v[0:3], v[0:1], off
	s_wait_alu 0xfffe
	s_ashr_i32 s5, s4, 31
	s_wait_alu 0xfffe
	s_mul_u64 s[6:7], s[4:5], s[26:27]
	v_cmp_ngt_f32_e64 s4, 0xc2ce8ed0, v76
	v_cmp_nlt_f32_e64 s5, 0x42b17218, v76
	s_wait_alu 0xfffe
	s_lshl_b64 s[6:7], s[6:7], 2
	s_wait_alu 0xfffe
	s_add_nc_u64 s[38:39], s[24:25], s[6:7]
	s_wait_loadcnt 0x0
	ds_store_b128 v69, v[0:3]
	s_wait_dscnt 0x0
	s_barrier_signal -1
	s_barrier_wait -1
	global_inv scope:SCOPE_SE
	ds_load_2addr_b64 v[36:39], v54 offset1:24
	ds_load_b128 v[28:31], v66
	ds_load_b128 v[4:7], v66 offset:16
	ds_load_2addr_b64 v[32:35], v54 offset0:48 offset1:72
	ds_load_2addr_b64 v[24:27], v54 offset0:96 offset1:120
	;; [unrolled: 1-line block ×7, first 2 shown]
	s_wait_loadcnt_dscnt 0x0
	s_barrier_signal -1
	s_barrier_wait -1
	global_inv scope:SCOPE_SE
	s_and_saveexec_b32 s7, s3
	s_cbranch_execz .LBB30_19
; %bb.18:                               ;   in Loop: Header=BB30_11 Depth=1
	s_wait_alu 0xfffe
	v_add_co_u32 v79, s6, s38, v46
	s_wait_alu 0xf1ff
	v_add_co_ci_u32_e64 v80, null, s39, v47, s6
	s_delay_alu instid0(VALU_DEP_2) | instskip(SKIP_1) | instid1(VALU_DEP_2)
	v_add_co_u32 v79, s6, v79, v70
	s_wait_alu 0xf1ff
	v_add_co_ci_u32_e64 v80, null, 0, v80, s6
	global_load_b128 v[79:82], v[79:80], off offset:128
	s_wait_loadcnt 0x0
	ds_store_b128 v68, v[79:82]
.LBB30_19:                              ;   in Loop: Header=BB30_11 Depth=1
	s_wait_alu 0xfffe
	s_or_b32 exec_lo, exec_lo, s7
	v_add_co_u32 v79, s6, s38, v48
	s_wait_alu 0xf1ff
	v_add_co_ci_u32_e64 v80, null, s39, v49, s6
	v_mul_f32_e32 v83, 0x3fb8aa3b, v76
	s_delay_alu instid0(VALU_DEP_3) | instskip(SKIP_1) | instid1(VALU_DEP_3)
	v_add_co_u32 v79, s6, v79, v71
	s_wait_alu 0xf1ff
	v_add_co_ci_u32_e64 v80, null, 0, v80, s6
	s_delay_alu instid0(VALU_DEP_3)
	v_fma_f32 v84, 0x3fb8aa3b, v76, -v83
	v_rndne_f32_e32 v85, v83
	global_load_b128 v[79:82], v[79:80], off
	v_fmac_f32_e32 v84, 0x32a5705f, v76
	v_sub_f32_e32 v76, v83, v85
	v_cvt_i32_f32_e32 v83, v85
	v_and_b32_e32 v85, 0xffff, v29
	v_lshrrev_b32_e32 v29, 16, v29
	s_delay_alu instid0(VALU_DEP_4) | instskip(NEXT) | instid1(VALU_DEP_2)
	v_add_f32_e32 v76, v76, v84
	v_mul_u32_u24_e32 v29, 0x10001, v29
	s_delay_alu instid0(VALU_DEP_2) | instskip(NEXT) | instid1(TRANS32_DEP_1)
	v_exp_f32_e32 v76, v76
	v_ldexp_f32 v76, v76, v83
	v_and_b32_e32 v83, 0xffff, v28
	v_lshrrev_b32_e32 v28, 16, v28
	s_delay_alu instid0(VALU_DEP_3) | instskip(NEXT) | instid1(VALU_DEP_3)
	v_cndmask_b32_e64 v76, 0, v76, s4
	v_mul_u32_u24_e32 v83, 0x10001, v83
	s_delay_alu instid0(VALU_DEP_3) | instskip(NEXT) | instid1(VALU_DEP_3)
	v_mul_u32_u24_e32 v28, 0x10001, v28
	v_cndmask_b32_e64 v76, 0x7f800000, v76, s5
	s_delay_alu instid0(VALU_DEP_3) | instskip(SKIP_1) | instid1(VALU_DEP_3)
	v_pk_mul_f16 v36, v36, v83
	v_pk_mul_f16 v37, v37, v83
	v_cvt_f16_f32_e32 v84, v76
	v_fmac_f32_e32 v75, v74, v76
	s_delay_alu instid0(VALU_DEP_2) | instskip(NEXT) | instid1(VALU_DEP_1)
	v_and_b32_e32 v84, 0xffff, v84
	v_mul_u32_u24_e32 v84, 0x10001, v84
	s_delay_alu instid0(VALU_DEP_1) | instskip(SKIP_2) | instid1(VALU_DEP_3)
	v_pk_fma_f16 v36, v62, v84, v36
	v_pk_fma_f16 v37, v73, v84, v37
	v_mul_u32_u24_e32 v62, 0x10001, v85
	v_pk_fma_f16 v36, v38, v28, v36
	s_delay_alu instid0(VALU_DEP_3) | instskip(SKIP_2) | instid1(VALU_DEP_4)
	v_pk_fma_f16 v28, v39, v28, v37
	v_and_b32_e32 v38, 0xffff, v30
	v_lshrrev_b32_e32 v30, 16, v30
	v_pk_fma_f16 v32, v32, v62, v36
	s_delay_alu instid0(VALU_DEP_4) | instskip(NEXT) | instid1(VALU_DEP_4)
	v_pk_fma_f16 v28, v33, v62, v28
	v_mul_u32_u24_e32 v36, 0x10001, v38
	v_and_b32_e32 v33, 0xffff, v31
	v_mul_u32_u24_e32 v30, 0x10001, v30
	v_pk_fma_f16 v32, v34, v29, v32
	v_pk_fma_f16 v28, v35, v29, v28
	v_lshrrev_b32_e32 v29, 16, v31
	v_mul_u32_u24_e32 v31, 0x10001, v33
	s_delay_alu instid0(VALU_DEP_4) | instskip(NEXT) | instid1(VALU_DEP_4)
	v_pk_fma_f16 v24, v24, v36, v32
	v_pk_fma_f16 v25, v25, v36, v28
	s_delay_alu instid0(VALU_DEP_4) | instskip(NEXT) | instid1(VALU_DEP_3)
	v_mul_u32_u24_e32 v28, 0x10001, v29
	v_pk_fma_f16 v24, v26, v30, v24
	s_delay_alu instid0(VALU_DEP_3) | instskip(SKIP_2) | instid1(VALU_DEP_4)
	v_pk_fma_f16 v25, v27, v30, v25
	v_and_b32_e32 v26, 0xffff, v4
	v_lshrrev_b32_e32 v4, 16, v4
	v_pk_fma_f16 v20, v20, v31, v24
	s_delay_alu instid0(VALU_DEP_4) | instskip(NEXT) | instid1(VALU_DEP_4)
	v_pk_fma_f16 v21, v21, v31, v25
	v_mul_u32_u24_e32 v24, 0x10001, v26
	s_delay_alu instid0(VALU_DEP_4) | instskip(NEXT) | instid1(VALU_DEP_4)
	v_mul_u32_u24_e32 v4, 0x10001, v4
	v_pk_fma_f16 v20, v22, v28, v20
	s_delay_alu instid0(VALU_DEP_4) | instskip(SKIP_2) | instid1(VALU_DEP_4)
	v_pk_fma_f16 v21, v23, v28, v21
	v_and_b32_e32 v22, 0xffff, v5
	v_lshrrev_b32_e32 v5, 16, v5
	v_pk_fma_f16 v16, v16, v24, v20
	s_delay_alu instid0(VALU_DEP_4) | instskip(NEXT) | instid1(VALU_DEP_4)
	v_pk_fma_f16 v17, v17, v24, v21
	v_mul_u32_u24_e32 v22, 0x10001, v22
	v_and_b32_e32 v20, 0xffff, v6
	v_mul_u32_u24_e32 v5, 0x10001, v5
	v_pk_fma_f16 v16, v18, v4, v16
	v_pk_fma_f16 v4, v19, v4, v17
	v_lshrrev_b32_e32 v6, 16, v6
	v_mul_u32_u24_e32 v20, 0x10001, v20
	s_delay_alu instid0(VALU_DEP_4) | instskip(NEXT) | instid1(VALU_DEP_4)
	v_pk_fma_f16 v12, v12, v22, v16
	v_pk_fma_f16 v4, v13, v22, v4
	v_and_b32_e32 v13, 0xffff, v7
	s_delay_alu instid0(VALU_DEP_3) | instskip(NEXT) | instid1(VALU_DEP_3)
	v_pk_fma_f16 v12, v14, v5, v12
	v_pk_fma_f16 v15, v15, v5, v4
	v_mul_u32_u24_e32 v14, 0x10001, v6
	s_delay_alu instid0(VALU_DEP_4) | instskip(NEXT) | instid1(VALU_DEP_4)
	v_mul_u32_u24_e32 v21, 0x10001, v13
	v_pk_fma_f16 v8, v8, v20, v12
	v_lshrrev_b32_e32 v12, 16, v7
	v_pk_fma_f16 v9, v9, v20, v15
	s_delay_alu instid0(VALU_DEP_3) | instskip(NEXT) | instid1(VALU_DEP_3)
	v_pk_fma_f16 v8, v10, v14, v8
	v_mul_u32_u24_e32 v20, 0x10001, v12
	s_delay_alu instid0(VALU_DEP_3) | instskip(NEXT) | instid1(VALU_DEP_3)
	v_pk_fma_f16 v22, v11, v14, v9
	v_pk_fma_f16 v0, v0, v21, v8
	s_delay_alu instid0(VALU_DEP_2) | instskip(NEXT) | instid1(VALU_DEP_2)
	v_pk_fma_f16 v1, v1, v21, v22
	v_pk_fma_f16 v21, v2, v20, v0
	s_delay_alu instid0(VALU_DEP_2)
	v_pk_fma_f16 v20, v3, v20, v1
	s_wait_loadcnt 0x0
	ds_store_b128 v69, v[79:82]
	s_wait_dscnt 0x0
	s_barrier_signal -1
	s_barrier_wait -1
	global_inv scope:SCOPE_SE
	ds_load_b128 v[16:19], v66 offset:32
	ds_load_2addr_b64 v[4:7], v54 offset1:24
	ds_load_b128 v[8:11], v66 offset:48
	ds_load_2addr_b64 v[12:15], v54 offset0:48 offset1:72
	ds_load_2addr_b64 v[0:3], v54 offset0:96 offset1:120
	s_wait_dscnt 0x4
	v_and_b32_e32 v23, 0xffff, v16
	v_lshrrev_b32_e32 v16, 16, v16
	v_and_b32_e32 v24, 0xffff, v18
	v_and_b32_e32 v28, 0xffff, v19
	s_delay_alu instid0(VALU_DEP_4)
	v_mul_u32_u24_e32 v22, 0x10001, v23
	v_and_b32_e32 v23, 0xffff, v17
	v_mul_u32_u24_e32 v16, 0x10001, v16
	v_lshrrev_b32_e32 v17, 16, v17
	s_wait_dscnt 0x3
	v_pk_fma_f16 v4, v4, v22, v21
	v_pk_fma_f16 v5, v5, v22, v20
	v_mul_u32_u24_e32 v20, 0x10001, v23
	v_mul_u32_u24_e32 v17, 0x10001, v17
	s_delay_alu instid0(VALU_DEP_4) | instskip(NEXT) | instid1(VALU_DEP_4)
	v_pk_fma_f16 v21, v6, v16, v4
	v_pk_fma_f16 v16, v7, v16, v5
	ds_load_2addr_b64 v[4:7], v54 offset0:144 offset1:168
	s_wait_dscnt 0x2
	v_pk_fma_f16 v12, v12, v20, v21
	v_pk_fma_f16 v13, v13, v20, v16
	v_lshrrev_b32_e32 v16, 16, v18
	v_mul_u32_u24_e32 v18, 0x10001, v24
	ds_load_2addr_b64 v[20:23], v54 offset0:192 offset1:216
	v_pk_fma_f16 v24, v14, v17, v12
	v_pk_fma_f16 v17, v15, v17, v13
	v_mul_u32_u24_e32 v16, 0x10001, v16
	ds_load_2addr_b64 v[12:15], v78 offset0:112 offset1:136
	s_wait_dscnt 0x3
	v_pk_fma_f16 v0, v0, v18, v24
	v_pk_fma_f16 v1, v1, v18, v17
	v_lshrrev_b32_e32 v17, 16, v19
	v_mul_u32_u24_e32 v18, 0x10001, v28
	v_and_b32_e32 v28, 0xffff, v8
	v_pk_fma_f16 v19, v2, v16, v0
	v_pk_fma_f16 v16, v3, v16, v1
	v_mul_u32_u24_e32 v17, 0x10001, v17
	v_lshrrev_b32_e32 v8, 16, v8
	ds_load_2addr_b64 v[24:27], v77 offset0:32 offset1:56
	s_wait_dscnt 0x3
	v_pk_fma_f16 v4, v4, v18, v19
	v_pk_fma_f16 v5, v5, v18, v16
	v_mul_u32_u24_e32 v16, 0x10001, v28
	ds_load_2addr_b64 v[0:3], v77 offset0:80 offset1:104
	s_wait_loadcnt_dscnt 0x0
	v_pk_fma_f16 v4, v6, v17, v4
	v_pk_fma_f16 v5, v7, v17, v5
	v_and_b32_e32 v6, 0xffff, v9
	v_mul_u32_u24_e32 v7, 0x10001, v8
	v_lshrrev_b32_e32 v8, 16, v9
	v_pk_fma_f16 v4, v20, v16, v4
	v_pk_fma_f16 v5, v21, v16, v5
	v_mul_u32_u24_e32 v6, 0x10001, v6
	s_barrier_signal -1
	v_mul_u32_u24_e32 v8, 0x10001, v8
	v_pk_fma_f16 v4, v22, v7, v4
	v_pk_fma_f16 v5, v23, v7, v5
	v_and_b32_e32 v7, 0xffff, v10
	s_barrier_wait -1
	global_inv scope:SCOPE_SE
	v_pk_fma_f16 v4, v12, v6, v4
	v_pk_fma_f16 v5, v13, v6, v5
	s_load_b32 s4, s[20:21], 0x4
	v_lshrrev_b32_e32 v6, 16, v10
	v_mul_u32_u24_e32 v7, 0x10001, v7
	v_pk_fma_f16 v4, v14, v8, v4
	v_pk_fma_f16 v5, v15, v8, v5
	v_and_b32_e32 v8, 0xffff, v11
	v_mul_u32_u24_e32 v6, 0x10001, v6
	s_delay_alu instid0(VALU_DEP_4) | instskip(NEXT) | instid1(VALU_DEP_4)
	v_pk_fma_f16 v4, v24, v7, v4
	v_pk_fma_f16 v5, v25, v7, v5
	v_lshrrev_b32_e32 v7, 16, v11
	v_mul_u32_u24_e32 v8, 0x10001, v8
	s_delay_alu instid0(VALU_DEP_4) | instskip(NEXT) | instid1(VALU_DEP_4)
	v_pk_fma_f16 v4, v26, v6, v4
	v_pk_fma_f16 v5, v27, v6, v5
	s_delay_alu instid0(VALU_DEP_4) | instskip(NEXT) | instid1(VALU_DEP_3)
	v_mul_u32_u24_e32 v6, 0x10001, v7
	v_pk_fma_f16 v0, v0, v8, v4
	s_delay_alu instid0(VALU_DEP_3)
	v_pk_fma_f16 v1, v1, v8, v5
	s_wait_kmcnt 0x0
	s_lshl_b32 s4, s4, 5
	s_wait_alu 0xfffe
	s_add_co_i32 s14, s4, s14
	v_pk_fma_f16 v62, v2, v6, v0
	v_pk_fma_f16 v73, v3, v6, v1
	s_wait_alu 0xfffe
	s_cmp_ge_i32 s14, s30
	s_cbranch_scc1 .LBB30_21
; %bb.20:                               ;   in Loop: Header=BB30_11 Depth=1
	v_mov_b32_e32 v76, v50
	v_mov_b32_e32 v74, v75
	s_branch .LBB30_11
.LBB30_21:
	v_mov_b32_e32 v1, v55
.LBB30_22:
	v_cmp_lt_i32_e32 vcc_lo, v61, v56
	s_cmp_lg_u64 s[12:13], 0
	s_cselect_b32 s3, -1, 0
	s_cmp_eq_u32 s10, 0
	s_wait_alu 0xfffd
	v_cndmask_b32_e32 v0, v1, v61, vcc_lo
	v_cmp_lt_i32_e32 vcc_lo, v60, v56
	s_cselect_b32 s4, -1, 0
	s_wait_alu 0xfffe
	s_and_b32 s3, s4, s3
	s_wait_alu 0xfffd
	v_cndmask_b32_e32 v2, v1, v60, vcc_lo
	v_cmp_lt_i32_e32 vcc_lo, v59, v56
	s_wait_alu 0xfffd
	s_delay_alu instid0(VALU_DEP_2) | instskip(SKIP_1) | instid1(VALU_DEP_2)
	v_dual_cndmask_b32 v3, v1, v59 :: v_dual_lshlrev_b32 v2, 2, v2
	v_cmp_lt_i32_e32 vcc_lo, v58, v56
	v_lshlrev_b32_e32 v3, 2, v3
	v_lshlrev_b32_e32 v0, 2, v0
	ds_bpermute_b32 v0, v0, v75
	s_wait_dscnt 0x0
	v_add_f32_e32 v0, v75, v0
	ds_bpermute_b32 v2, v2, v0
	s_wait_dscnt 0x0
	v_add_f32_e32 v0, v0, v2
	ds_bpermute_b32 v2, v3, v0
	s_wait_alu 0xfffd
	v_cndmask_b32_e32 v3, v1, v58, vcc_lo
	v_cmp_lt_i32_e32 vcc_lo, v57, v56
	s_delay_alu instid0(VALU_DEP_2)
	v_lshlrev_b32_e32 v3, 2, v3
	s_wait_alu 0xfffd
	v_cndmask_b32_e32 v1, v1, v57, vcc_lo
	s_wait_alu 0xfffe
	s_and_b32 vcc_lo, exec_lo, s3
	s_wait_dscnt 0x0
	s_delay_alu instid0(VALU_DEP_1)
	v_dual_add_f32 v0, v0, v2 :: v_dual_lshlrev_b32 v1, 2, v1
	ds_bpermute_b32 v2, v3, v0
	s_wait_dscnt 0x0
	v_add_f32_e32 v2, v0, v2
	v_add_nc_u32_e32 v0, s11, v51
	ds_bpermute_b32 v1, v1, v2
	s_wait_dscnt 0x0
	v_add_f32_e32 v51, v2, v1
	s_wait_alu 0xfffe
	s_cbranch_vccz .LBB30_24
; %bb.23:
	v_ashrrev_i32_e32 v1, 31, v0
	s_delay_alu instid0(VALU_DEP_1) | instskip(NEXT) | instid1(VALU_DEP_1)
	v_lshlrev_b64_e32 v[1:2], 2, v[0:1]
	v_add_co_u32 v1, vcc_lo, s12, v1
	s_wait_alu 0xfffd
	s_delay_alu instid0(VALU_DEP_2) | instskip(SKIP_3) | instid1(VALU_DEP_1)
	v_add_co_ci_u32_e64 v2, null, s13, v2, vcc_lo
	global_load_b32 v1, v[1:2], off
	s_wait_loadcnt 0x0
	v_dual_max_num_f32 v2, v50, v50 :: v_dual_max_num_f32 v3, v1, v1
	v_max_num_f32_e32 v2, v2, v3
	s_delay_alu instid0(VALU_DEP_1) | instskip(NEXT) | instid1(VALU_DEP_1)
	v_sub_f32_e32 v1, v1, v2
	v_mul_f32_e32 v7, 0x3fb8aa3b, v1
	v_sub_f32_e32 v3, v50, v2
	v_mov_b32_e32 v50, v2
	s_delay_alu instid0(VALU_DEP_3) | instskip(NEXT) | instid1(VALU_DEP_3)
	v_rndne_f32_e32 v9, v7
	v_mul_f32_e32 v4, 0x3fb8aa3b, v3
	s_delay_alu instid0(VALU_DEP_1) | instskip(SKIP_1) | instid1(VALU_DEP_1)
	v_fma_f32 v5, 0x3fb8aa3b, v3, -v4
	v_rndne_f32_e32 v6, v4
	v_dual_fmac_f32 v5, 0x32a5705f, v3 :: v_dual_sub_f32 v4, v4, v6
	v_cvt_i32_f32_e32 v6, v6
	s_delay_alu instid0(VALU_DEP_2) | instskip(SKIP_2) | instid1(VALU_DEP_3)
	v_add_f32_e32 v4, v4, v5
	v_cmp_ngt_f32_e32 vcc_lo, 0xc2ce8ed0, v3
	v_sub_f32_e32 v5, v7, v9
	v_exp_f32_e32 v4, v4
	s_delay_alu instid0(TRANS32_DEP_1) | instskip(SKIP_2) | instid1(VALU_DEP_2)
	v_ldexp_f32 v4, v4, v6
	v_cvt_i32_f32_e32 v6, v9
	s_wait_alu 0xfffd
	v_cndmask_b32_e32 v4, 0, v4, vcc_lo
	v_fma_f32 v8, 0x3fb8aa3b, v1, -v7
	v_cmp_nlt_f32_e32 vcc_lo, 0x42b17218, v3
	s_wait_alu 0xfffd
	s_delay_alu instid0(VALU_DEP_3) | instskip(NEXT) | instid1(VALU_DEP_3)
	v_cndmask_b32_e32 v3, 0x7f800000, v4, vcc_lo
	v_fmac_f32_e32 v8, 0x32a5705f, v1
	v_cmp_ngt_f32_e32 vcc_lo, 0xc2ce8ed0, v1
	s_delay_alu instid0(VALU_DEP_2) | instskip(NEXT) | instid1(VALU_DEP_1)
	v_add_f32_e32 v5, v5, v8
	v_exp_f32_e32 v5, v5
	s_delay_alu instid0(TRANS32_DEP_1) | instskip(SKIP_1) | instid1(VALU_DEP_1)
	v_ldexp_f32 v5, v5, v6
	s_wait_alu 0xfffd
	v_cndmask_b32_e32 v4, 0, v5, vcc_lo
	v_cvt_f16_f32_e32 v5, v3
	v_cmp_nlt_f32_e32 vcc_lo, 0x42b17218, v1
	s_wait_alu 0xfffd
	s_delay_alu instid0(VALU_DEP_3) | instskip(NEXT) | instid1(VALU_DEP_1)
	v_cndmask_b32_e32 v1, 0x7f800000, v4, vcc_lo
	v_dual_fmac_f32 v1, v51, v3 :: v_dual_and_b32 v4, 0xffff, v5
	s_delay_alu instid0(VALU_DEP_1) | instskip(NEXT) | instid1(VALU_DEP_2)
	v_mul_u32_u24_e32 v3, 0x10001, v4
	v_mov_b32_e32 v51, v1
	s_delay_alu instid0(VALU_DEP_2)
	v_pk_mul_f16 v62, v62, v3
	v_pk_mul_f16 v73, v73, v3
.LBB30_24:
	s_load_b32 s0, s[0:1], 0xd4
	s_mul_i32 s1, s28, s22
	s_wait_alu 0xfffe
	v_add3_u32 v1, s1, ttmp9, v52
	s_delay_alu instid0(VALU_DEP_1) | instskip(SKIP_1) | instid1(VALU_DEP_1)
	v_mad_co_u64_u32 v[0:1], null, v1, s23, v[0:1]
	s_wait_kmcnt 0x0
	v_mad_co_u64_u32 v[0:1], null, s0, v0, s[10:11]
	s_cmp_lg_u32 s0, 1
	s_cselect_b32 s0, -1, 0
	s_and_saveexec_b32 s1, s2
	s_cbranch_execz .LBB30_26
; %bb.25:
	v_div_scale_f32 v1, null, v51, v51, 1.0
	v_div_scale_f32 v4, vcc_lo, 1.0, v51, 1.0
	v_mul_lo_u32 v6, 0x60, v0
	s_delay_alu instid0(VALU_DEP_3) | instskip(SKIP_2) | instid1(TRANS32_DEP_1)
	v_rcp_f32_e32 v3, v1
	v_cvt_f32_f16_e32 v7, v73
	v_cvt_f32_f16_e32 v8, v62
	v_fma_f32 v2, -v1, v3, 1.0
	s_delay_alu instid0(VALU_DEP_1) | instskip(NEXT) | instid1(VALU_DEP_1)
	v_fmac_f32_e32 v3, v2, v3
	v_mul_f32_e32 v5, v4, v3
	s_delay_alu instid0(VALU_DEP_1) | instskip(NEXT) | instid1(VALU_DEP_1)
	v_fma_f32 v2, -v1, v5, v4
	v_dual_fmac_f32 v5, v2, v3 :: v_dual_mov_b32 v2, 0
	s_delay_alu instid0(VALU_DEP_1) | instskip(SKIP_2) | instid1(VALU_DEP_2)
	v_fma_f32 v1, -v1, v5, v4
	v_lshrrev_b32_e32 v4, 16, v73
	s_wait_alu 0xfffd
	v_div_fmas_f32 v3, v1, v3, v5
	v_lshl_add_u32 v1, v40, 2, v6
	v_lshrrev_b32_e32 v5, 16, v62
	v_cvt_f32_f16_e32 v4, v4
	s_delay_alu instid0(VALU_DEP_4) | instskip(NEXT) | instid1(VALU_DEP_4)
	v_div_fixup_f32 v3, v3, v51, 1.0
	v_lshlrev_b64_e32 v[1:2], 2, v[1:2]
	s_delay_alu instid0(VALU_DEP_4) | instskip(SKIP_1) | instid1(VALU_DEP_3)
	v_cvt_f32_f16_e32 v9, v5
	s_wait_alu 0xfffe
	v_cndmask_b32_e64 v10, v3, 1.0, s0
	s_delay_alu instid0(VALU_DEP_3) | instskip(SKIP_2) | instid1(VALU_DEP_3)
	v_add_co_u32 v5, vcc_lo, s16, v1
	s_wait_alu 0xfffd
	v_add_co_ci_u32_e64 v6, null, s17, v2, vcc_lo
	v_mul_f32_e32 v4, v10, v4
	v_mul_f32_e32 v3, v10, v7
	;; [unrolled: 1-line block ×4, first 2 shown]
	global_store_b128 v[5:6], v[1:4], off
.LBB30_26:
	s_wait_alu 0xfffe
	s_or_b32 exec_lo, exec_lo, s1
	v_cmp_eq_u32_e32 vcc_lo, 0, v40
	s_and_b32 s0, vcc_lo, s0
	s_wait_alu 0xfffe
	s_and_saveexec_b32 s1, s0
	s_cbranch_execz .LBB30_28
; %bb.27:
	v_ashrrev_i32_e32 v1, 31, v0
	s_delay_alu instid0(VALU_DEP_1) | instskip(NEXT) | instid1(VALU_DEP_1)
	v_lshlrev_b64_e32 v[0:1], 3, v[0:1]
	v_add_co_u32 v0, vcc_lo, s18, v0
	s_wait_alu 0xfffd
	s_delay_alu instid0(VALU_DEP_2)
	v_add_co_ci_u32_e64 v1, null, s19, v1, vcc_lo
	global_store_b64 v[0:1], v[50:51], off
.LBB30_28:
	s_endpgm
	.section	.rodata,"a",@progbits
	.p2align	6, 0x0
	.amdhsa_kernel _ZL15flash_attn_tileILi96ELi96ELi1ELi4ELb0EEvPKcS1_S1_S1_S1_PKiPfP15HIP_vector_typeIfLj2EEffffjfiS5_IjLj3EEiiiiiiiiiiiliiliiiiil
		.amdhsa_group_segment_fixed_size 4736
		.amdhsa_private_segment_fixed_size 0
		.amdhsa_kernarg_size 464
		.amdhsa_user_sgpr_count 2
		.amdhsa_user_sgpr_dispatch_ptr 0
		.amdhsa_user_sgpr_queue_ptr 0
		.amdhsa_user_sgpr_kernarg_segment_ptr 1
		.amdhsa_user_sgpr_dispatch_id 0
		.amdhsa_user_sgpr_private_segment_size 0
		.amdhsa_wavefront_size32 1
		.amdhsa_uses_dynamic_stack 0
		.amdhsa_enable_private_segment 0
		.amdhsa_system_sgpr_workgroup_id_x 1
		.amdhsa_system_sgpr_workgroup_id_y 1
		.amdhsa_system_sgpr_workgroup_id_z 1
		.amdhsa_system_sgpr_workgroup_info 0
		.amdhsa_system_vgpr_workitem_id 1
		.amdhsa_next_free_vgpr 86
		.amdhsa_next_free_sgpr 46
		.amdhsa_reserve_vcc 1
		.amdhsa_float_round_mode_32 0
		.amdhsa_float_round_mode_16_64 0
		.amdhsa_float_denorm_mode_32 3
		.amdhsa_float_denorm_mode_16_64 3
		.amdhsa_fp16_overflow 0
		.amdhsa_workgroup_processor_mode 1
		.amdhsa_memory_ordered 1
		.amdhsa_forward_progress 1
		.amdhsa_inst_pref_size 45
		.amdhsa_round_robin_scheduling 0
		.amdhsa_exception_fp_ieee_invalid_op 0
		.amdhsa_exception_fp_denorm_src 0
		.amdhsa_exception_fp_ieee_div_zero 0
		.amdhsa_exception_fp_ieee_overflow 0
		.amdhsa_exception_fp_ieee_underflow 0
		.amdhsa_exception_fp_ieee_inexact 0
		.amdhsa_exception_int_div_zero 0
	.end_amdhsa_kernel
	.section	.text._ZL15flash_attn_tileILi96ELi96ELi1ELi4ELb0EEvPKcS1_S1_S1_S1_PKiPfP15HIP_vector_typeIfLj2EEffffjfiS5_IjLj3EEiiiiiiiiiiiliiliiiiil,"axG",@progbits,_ZL15flash_attn_tileILi96ELi96ELi1ELi4ELb0EEvPKcS1_S1_S1_S1_PKiPfP15HIP_vector_typeIfLj2EEffffjfiS5_IjLj3EEiiiiiiiiiiiliiliiiiil,comdat
.Lfunc_end30:
	.size	_ZL15flash_attn_tileILi96ELi96ELi1ELi4ELb0EEvPKcS1_S1_S1_S1_PKiPfP15HIP_vector_typeIfLj2EEffffjfiS5_IjLj3EEiiiiiiiiiiiliiliiiiil, .Lfunc_end30-_ZL15flash_attn_tileILi96ELi96ELi1ELi4ELb0EEvPKcS1_S1_S1_S1_PKiPfP15HIP_vector_typeIfLj2EEffffjfiS5_IjLj3EEiiiiiiiiiiiliiliiiiil
                                        ; -- End function
	.set _ZL15flash_attn_tileILi96ELi96ELi1ELi4ELb0EEvPKcS1_S1_S1_S1_PKiPfP15HIP_vector_typeIfLj2EEffffjfiS5_IjLj3EEiiiiiiiiiiiliiliiiiil.num_vgpr, 86
	.set _ZL15flash_attn_tileILi96ELi96ELi1ELi4ELb0EEvPKcS1_S1_S1_S1_PKiPfP15HIP_vector_typeIfLj2EEffffjfiS5_IjLj3EEiiiiiiiiiiiliiliiiiil.num_agpr, 0
	.set _ZL15flash_attn_tileILi96ELi96ELi1ELi4ELb0EEvPKcS1_S1_S1_S1_PKiPfP15HIP_vector_typeIfLj2EEffffjfiS5_IjLj3EEiiiiiiiiiiiliiliiiiil.numbered_sgpr, 46
	.set _ZL15flash_attn_tileILi96ELi96ELi1ELi4ELb0EEvPKcS1_S1_S1_S1_PKiPfP15HIP_vector_typeIfLj2EEffffjfiS5_IjLj3EEiiiiiiiiiiiliiliiiiil.num_named_barrier, 0
	.set _ZL15flash_attn_tileILi96ELi96ELi1ELi4ELb0EEvPKcS1_S1_S1_S1_PKiPfP15HIP_vector_typeIfLj2EEffffjfiS5_IjLj3EEiiiiiiiiiiiliiliiiiil.private_seg_size, 0
	.set _ZL15flash_attn_tileILi96ELi96ELi1ELi4ELb0EEvPKcS1_S1_S1_S1_PKiPfP15HIP_vector_typeIfLj2EEffffjfiS5_IjLj3EEiiiiiiiiiiiliiliiiiil.uses_vcc, 1
	.set _ZL15flash_attn_tileILi96ELi96ELi1ELi4ELb0EEvPKcS1_S1_S1_S1_PKiPfP15HIP_vector_typeIfLj2EEffffjfiS5_IjLj3EEiiiiiiiiiiiliiliiiiil.uses_flat_scratch, 0
	.set _ZL15flash_attn_tileILi96ELi96ELi1ELi4ELb0EEvPKcS1_S1_S1_S1_PKiPfP15HIP_vector_typeIfLj2EEffffjfiS5_IjLj3EEiiiiiiiiiiiliiliiiiil.has_dyn_sized_stack, 0
	.set _ZL15flash_attn_tileILi96ELi96ELi1ELi4ELb0EEvPKcS1_S1_S1_S1_PKiPfP15HIP_vector_typeIfLj2EEffffjfiS5_IjLj3EEiiiiiiiiiiiliiliiiiil.has_recursion, 0
	.set _ZL15flash_attn_tileILi96ELi96ELi1ELi4ELb0EEvPKcS1_S1_S1_S1_PKiPfP15HIP_vector_typeIfLj2EEffffjfiS5_IjLj3EEiiiiiiiiiiiliiliiiiil.has_indirect_call, 0
	.section	.AMDGPU.csdata,"",@progbits
; Kernel info:
; codeLenInByte = 5704
; TotalNumSgprs: 48
; NumVgprs: 86
; ScratchSize: 0
; MemoryBound: 0
; FloatMode: 240
; IeeeMode: 1
; LDSByteSize: 4736 bytes/workgroup (compile time only)
; SGPRBlocks: 0
; VGPRBlocks: 10
; NumSGPRsForWavesPerEU: 48
; NumVGPRsForWavesPerEU: 86
; Occupancy: 16
; WaveLimiterHint : 1
; COMPUTE_PGM_RSRC2:SCRATCH_EN: 0
; COMPUTE_PGM_RSRC2:USER_SGPR: 2
; COMPUTE_PGM_RSRC2:TRAP_HANDLER: 0
; COMPUTE_PGM_RSRC2:TGID_X_EN: 1
; COMPUTE_PGM_RSRC2:TGID_Y_EN: 1
; COMPUTE_PGM_RSRC2:TGID_Z_EN: 1
; COMPUTE_PGM_RSRC2:TIDIG_COMP_CNT: 1
	.section	.text._ZL33flash_attn_stream_k_fixup_uniformILi96ELi1ELi4EEvPfPK15HIP_vector_typeIfLj2EEiiiiiiS1_IjLj3EES5_S5_,"axG",@progbits,_ZL33flash_attn_stream_k_fixup_uniformILi96ELi1ELi4EEvPfPK15HIP_vector_typeIfLj2EEiiiiiiS1_IjLj3EES5_S5_,comdat
	.globl	_ZL33flash_attn_stream_k_fixup_uniformILi96ELi1ELi4EEvPfPK15HIP_vector_typeIfLj2EEiiiiiiS1_IjLj3EES5_S5_ ; -- Begin function _ZL33flash_attn_stream_k_fixup_uniformILi96ELi1ELi4EEvPfPK15HIP_vector_typeIfLj2EEiiiiiiS1_IjLj3EES5_S5_
	.p2align	8
	.type	_ZL33flash_attn_stream_k_fixup_uniformILi96ELi1ELi4EEvPfPK15HIP_vector_typeIfLj2EEiiiiiiS1_IjLj3EES5_S5_,@function
_ZL33flash_attn_stream_k_fixup_uniformILi96ELi1ELi4EEvPfPK15HIP_vector_typeIfLj2EEiiiiiiS1_IjLj3EES5_S5_: ; @_ZL33flash_attn_stream_k_fixup_uniformILi96ELi1ELi4EEvPfPK15HIP_vector_typeIfLj2EEiiiiiiS1_IjLj3EES5_S5_
; %bb.0:
	s_clause 0x1
	s_load_b256 s[4:11], s[0:1], 0x1c
	s_load_b128 s[12:15], s[0:1], 0x3c
	s_wait_kmcnt 0x0
	s_mul_hi_u32 s2, s7, ttmp9
	s_delay_alu instid0(SALU_CYCLE_1) | instskip(NEXT) | instid1(SALU_CYCLE_1)
	s_add_co_i32 s2, ttmp9, s2
	s_lshr_b32 s7, s2, s8
	s_delay_alu instid0(SALU_CYCLE_1) | instskip(NEXT) | instid1(SALU_CYCLE_1)
	s_mul_i32 s2, s7, s9
	s_sub_co_i32 s9, ttmp9, s2
	s_load_b64 s[2:3], s[0:1], 0x10
	s_mul_hi_u32 s8, s9, s10
	s_delay_alu instid0(SALU_CYCLE_1) | instskip(NEXT) | instid1(SALU_CYCLE_1)
	s_add_co_i32 s8, s9, s8
	s_lshr_b32 s8, s8, s11
	s_delay_alu instid0(SALU_CYCLE_1) | instskip(NEXT) | instid1(SALU_CYCLE_1)
	s_mul_i32 s10, s8, s12
	s_sub_co_i32 s9, s9, s10
	s_delay_alu instid0(SALU_CYCLE_1) | instskip(NEXT) | instid1(SALU_CYCLE_1)
	s_mul_hi_u32 s10, s9, s13
	s_add_co_i32 s10, s9, s10
	s_delay_alu instid0(SALU_CYCLE_1)
	s_lshr_b32 s12, s10, s14
	s_and_b32 s10, ttmp7, 0xffff
	s_mul_i32 s11, s12, s15
	s_lshl_b32 s12, s12, 2
	s_sub_co_i32 s11, s9, s11
	s_lshr_b32 s9, ttmp7, 16
	s_add_co_i32 s11, s11, s10
	s_wait_kmcnt 0x0
	s_cmp_lt_i32 s11, s2
	s_cselect_b32 s13, -1, 0
	s_add_co_i32 s12, s12, s9
	s_delay_alu instid0(SALU_CYCLE_1) | instskip(SKIP_1) | instid1(SALU_CYCLE_1)
	s_cmp_lt_i32 s12, s5
	s_cselect_b32 s14, -1, 0
	s_and_b32 s13, s13, s14
	s_delay_alu instid0(SALU_CYCLE_1)
	s_and_not1_b32 vcc_lo, exec_lo, s13
	s_cbranch_vccnz .LBB31_6
; %bb.1:
	s_mul_i32 s7, s7, s2
	s_mul_i32 s8, s8, s5
	s_add_co_i32 s2, s11, s7
	s_add_co_i32 s5, s12, s8
	s_mul_i32 s7, s2, s3
	s_load_b128 s[0:3], s[0:1], 0x0
	s_add_co_i32 s5, s5, s7
	s_mul_i32 s8, s6, ttmp9
	v_mad_co_u64_u32 v[1:2], null, 0x60, s5, v[0:1]
	s_add_co_i32 s5, s8, s6
	s_wait_alu 0xfffe
	s_add_co_i32 s7, s5, -2
	v_ashrrev_i32_e32 v2, 31, v1
	s_delay_alu instid0(VALU_DEP_1) | instskip(SKIP_1) | instid1(VALU_DEP_1)
	v_lshlrev_b64_e32 v[1:2], 2, v[1:2]
	s_wait_kmcnt 0x0
	v_add_co_u32 v1, vcc_lo, s0, v1
	s_delay_alu instid0(VALU_DEP_1)
	v_add_co_ci_u32_e64 v2, null, s1, v2, vcc_lo
	s_add_co_i32 s0, s10, s5
	s_wait_alu 0xfffe
	s_lshl_b32 s0, s0, 2
	global_load_b32 v5, v[1:2], off
	s_wait_alu 0xfffe
	s_add_co_i32 s0, s0, s9
	s_wait_alu 0xfffe
	s_add_co_i32 s0, s0, -4
	s_wait_alu 0xfffe
	s_ashr_i32 s1, s0, 31
	s_wait_alu 0xfffe
	s_lshl_b64 s[0:1], s[0:1], 3
	s_cmp_lt_i32 s7, s8
	s_wait_alu 0xfffe
	s_add_nc_u64 s[0:1], s[2:3], s[0:1]
	s_load_b32 s11, s[0:1], 0x4
	s_cbranch_scc1 .LBB31_4
; %bb.2:
	s_load_b32 s0, s[0:1], 0x0
	s_lshl_b32 s12, s4, 4
	s_add_co_i32 s1, ttmp9, 1
	s_ashr_i32 s13, s12, 31
	s_wait_alu 0xfffe
	s_mul_i32 s1, s6, s1
	s_lshl_b64 s[12:13], s[12:13], 2
	s_add_co_i32 s4, s10, s4
	s_add_nc_u64 s[6:7], s[2:3], s[12:13]
	s_mul_i32 s12, s10, 0x180
	s_mul_i32 s13, s9, 0x60
	s_wait_alu 0xfffe
	s_mulk_i32 s1, 0x180
	s_add_co_i32 s12, s13, s12
	s_add_co_i32 s4, s4, s5
	s_wait_alu 0xfffe
	s_add_co_i32 s12, s12, s1
	s_lshl_b32 s1, s4, 2
	v_add3_u32 v3, s12, v0, 0xfffffd00
	s_wait_kmcnt 0x0
	v_mov_b32_e32 v6, s11
	s_wait_alu 0xfffe
	s_add_co_i32 s4, s9, s1
	s_add_co_i32 s1, s5, -1
	s_wait_alu 0xfffe
	s_add_co_i32 s4, s4, -8
.LBB31_3:                               ; =>This Inner Loop Header: Depth=1
	v_ashrrev_i32_e32 v4, 31, v3
	s_wait_alu 0xfffe
	s_ashr_i32 s5, s4, 31
	v_mov_b32_e32 v10, v6
	s_wait_alu 0xfffe
	s_lshl_b64 s[10:11], s[4:5], 3
	s_wait_loadcnt 0x0
	v_mov_b32_e32 v9, v5
	v_lshlrev_b64_e32 v[7:8], 2, v[3:4]
	s_wait_alu 0xfffe
	s_add_nc_u64 s[10:11], s[2:3], s[10:11]
	v_max_num_f32_e64 v4, s0, s0
	s_load_b64 s[10:11], s[10:11], 0x0
	v_add_nc_u32_e32 v3, 0xfffffe80, v3
	v_add_co_u32 v7, vcc_lo, s6, v7
	s_wait_alu 0xfffd
	v_add_co_ci_u32_e64 v8, null, s7, v8, vcc_lo
	v_readfirstlane_b32 s5, v4
	global_load_b32 v0, v[7:8], off
	s_wait_kmcnt 0x0
	v_max_num_f32_e64 v4, s10, s10
	s_delay_alu instid0(VALU_DEP_1) | instskip(SKIP_2) | instid1(SALU_CYCLE_2)
	v_readfirstlane_b32 s9, v4
	s_max_num_f32 s5, s5, s9
	s_wait_alu 0xfffe
	s_sub_f32 s0, s0, s5
	s_sub_f32 s9, s10, s5
	s_wait_alu 0xfffe
	s_delay_alu instid0(SALU_CYCLE_1) | instskip(NEXT) | instid1(SALU_CYCLE_1)
	s_mul_f32 s10, s0, 0x3fb8aa3b
	s_mul_f32 s12, s9, 0x3fb8aa3b
	s_wait_alu 0xfffe
	s_delay_alu instid0(SALU_CYCLE_1)
	s_xor_b32 s13, s10, 0x80000000
	s_rndne_f32 s14, s10
	s_wait_alu 0xfffe
	s_fmamk_f32 s13, s0, 0x3fb8aa3b, s13
	s_cmp_nlt_f32 s0, 0xc2ce8ed0
	s_rndne_f32 s15, s12
	s_sub_f32 s10, s10, s14
	s_wait_alu 0xfffe
	s_fmamk_f32 s13, s0, 0x32a5705f, s13
	s_cvt_i32_f32 s14, s14
	s_cselect_b32 vcc_lo, -1, 0
	s_cmp_ngt_f32 s0, 0x42b17218
	s_wait_alu 0xfffe
	s_add_f32 s10, s10, s13
	s_sub_f32 s13, s12, s15
	s_wait_alu 0xfffe
	s_delay_alu instid0(SALU_CYCLE_1) | instskip(SKIP_1) | instid1(TRANS32_DEP_1)
	v_s_exp_f32 s10, s10
	s_wait_alu 0xf1ff
	v_ldexp_f32 v4, s10, s14
	s_cvt_i32_f32 s10, s15
	s_delay_alu instid0(VALU_DEP_1) | instskip(SKIP_3) | instid1(VALU_DEP_1)
	v_cndmask_b32_e32 v4, 0, v4, vcc_lo
	s_cselect_b32 vcc_lo, -1, 0
	s_cmp_ge_f32 s0, 0xc1a00000
	s_wait_alu 0xfffe
	v_cndmask_b32_e32 v4, 0x7f800000, v4, vcc_lo
	s_cselect_b32 vcc_lo, -1, 0
	s_xor_b32 s0, s12, 0x80000000
	s_cmp_nlt_f32 s9, 0xc2ce8ed0
	s_wait_alu 0xfffe
	s_fmamk_f32 s0, s9, 0x3fb8aa3b, s0
	s_wait_alu 0xfffe
	s_delay_alu instid0(SALU_CYCLE_2) | instskip(SKIP_1) | instid1(SALU_CYCLE_2)
	s_fmamk_f32 s0, s9, 0x32a5705f, s0
	s_wait_alu 0xfffe
	s_add_f32 s0, s13, s0
	s_wait_alu 0xfffe
	s_delay_alu instid0(SALU_CYCLE_2) | instskip(SKIP_1) | instid1(TRANS32_DEP_1)
	v_s_exp_f32 s0, s0
	s_wait_alu 0xf1ff
	v_ldexp_f32 v7, s0, s10
	s_cselect_b32 s0, -1, 0
	s_cmp_ngt_f32 s9, 0x42b17218
	s_wait_alu 0xfffe
	s_delay_alu instid0(VALU_DEP_1) | instskip(SKIP_3) | instid1(VALU_DEP_1)
	v_cndmask_b32_e64 v7, 0, v7, s0
	s_cselect_b32 s0, -1, 0
	s_cmp_ge_f32 s9, 0xc1a00000
	s_wait_alu 0xfffe
	v_cndmask_b32_e64 v7, 0x7f800000, v7, s0
	s_cselect_b32 s0, -1, 0
	s_add_co_i32 s1, s1, -1
	s_add_co_i32 s4, s4, -4
	s_wait_alu 0xfffe
	s_cmp_le_i32 s1, s8
	v_cndmask_b32_e64 v7, 0, v7, s0
	s_mov_b32 s0, s5
	s_wait_loadcnt 0x0
	s_delay_alu instid0(VALU_DEP_1) | instskip(NEXT) | instid1(VALU_DEP_1)
	v_dual_mul_f32 v5, v0, v7 :: v_dual_cndmask_b32 v4, 0, v4
	v_dual_mul_f32 v8, s11, v7 :: v_dual_fmac_f32 v5, v9, v4
	s_delay_alu instid0(VALU_DEP_1) | instskip(NEXT) | instid1(VALU_DEP_1)
	v_mov_b32_e32 v6, v8
	v_fmac_f32_e32 v6, v10, v4
	s_cbranch_scc0 .LBB31_3
	s_branch .LBB31_5
.LBB31_4:
	s_wait_kmcnt 0x0
	v_mov_b32_e32 v6, s11
.LBB31_5:
	s_wait_loadcnt 0x0
	s_delay_alu instid0(VALU_DEP_1) | instskip(NEXT) | instid1(VALU_DEP_1)
	v_div_scale_f32 v0, null, v6, v6, v5
	v_rcp_f32_e32 v3, v0
	s_delay_alu instid0(TRANS32_DEP_1) | instskip(NEXT) | instid1(VALU_DEP_1)
	v_fma_f32 v4, -v0, v3, 1.0
	v_fmac_f32_e32 v3, v4, v3
	v_div_scale_f32 v4, vcc_lo, v5, v6, v5
	s_delay_alu instid0(VALU_DEP_1) | instskip(NEXT) | instid1(VALU_DEP_1)
	v_mul_f32_e32 v7, v4, v3
	v_fma_f32 v8, -v0, v7, v4
	s_delay_alu instid0(VALU_DEP_1) | instskip(NEXT) | instid1(VALU_DEP_1)
	v_fmac_f32_e32 v7, v8, v3
	v_fma_f32 v0, -v0, v7, v4
	s_wait_alu 0xfffd
	s_delay_alu instid0(VALU_DEP_1) | instskip(NEXT) | instid1(VALU_DEP_1)
	v_div_fmas_f32 v0, v0, v3, v7
	v_div_fixup_f32 v0, v0, v6, v5
	global_store_b32 v[1:2], v0, off
.LBB31_6:
	s_endpgm
	.section	.rodata,"a",@progbits
	.p2align	6, 0x0
	.amdhsa_kernel _ZL33flash_attn_stream_k_fixup_uniformILi96ELi1ELi4EEvPfPK15HIP_vector_typeIfLj2EEiiiiiiS1_IjLj3EES5_S5_
		.amdhsa_group_segment_fixed_size 0
		.amdhsa_private_segment_fixed_size 0
		.amdhsa_kernarg_size 76
		.amdhsa_user_sgpr_count 2
		.amdhsa_user_sgpr_dispatch_ptr 0
		.amdhsa_user_sgpr_queue_ptr 0
		.amdhsa_user_sgpr_kernarg_segment_ptr 1
		.amdhsa_user_sgpr_dispatch_id 0
		.amdhsa_user_sgpr_private_segment_size 0
		.amdhsa_wavefront_size32 1
		.amdhsa_uses_dynamic_stack 0
		.amdhsa_enable_private_segment 0
		.amdhsa_system_sgpr_workgroup_id_x 1
		.amdhsa_system_sgpr_workgroup_id_y 1
		.amdhsa_system_sgpr_workgroup_id_z 1
		.amdhsa_system_sgpr_workgroup_info 0
		.amdhsa_system_vgpr_workitem_id 0
		.amdhsa_next_free_vgpr 11
		.amdhsa_next_free_sgpr 16
		.amdhsa_reserve_vcc 1
		.amdhsa_float_round_mode_32 0
		.amdhsa_float_round_mode_16_64 0
		.amdhsa_float_denorm_mode_32 3
		.amdhsa_float_denorm_mode_16_64 3
		.amdhsa_fp16_overflow 0
		.amdhsa_workgroup_processor_mode 1
		.amdhsa_memory_ordered 1
		.amdhsa_forward_progress 1
		.amdhsa_inst_pref_size 9
		.amdhsa_round_robin_scheduling 0
		.amdhsa_exception_fp_ieee_invalid_op 0
		.amdhsa_exception_fp_denorm_src 0
		.amdhsa_exception_fp_ieee_div_zero 0
		.amdhsa_exception_fp_ieee_overflow 0
		.amdhsa_exception_fp_ieee_underflow 0
		.amdhsa_exception_fp_ieee_inexact 0
		.amdhsa_exception_int_div_zero 0
	.end_amdhsa_kernel
	.section	.text._ZL33flash_attn_stream_k_fixup_uniformILi96ELi1ELi4EEvPfPK15HIP_vector_typeIfLj2EEiiiiiiS1_IjLj3EES5_S5_,"axG",@progbits,_ZL33flash_attn_stream_k_fixup_uniformILi96ELi1ELi4EEvPfPK15HIP_vector_typeIfLj2EEiiiiiiS1_IjLj3EES5_S5_,comdat
.Lfunc_end31:
	.size	_ZL33flash_attn_stream_k_fixup_uniformILi96ELi1ELi4EEvPfPK15HIP_vector_typeIfLj2EEiiiiiiS1_IjLj3EES5_S5_, .Lfunc_end31-_ZL33flash_attn_stream_k_fixup_uniformILi96ELi1ELi4EEvPfPK15HIP_vector_typeIfLj2EEiiiiiiS1_IjLj3EES5_S5_
                                        ; -- End function
	.set _ZL33flash_attn_stream_k_fixup_uniformILi96ELi1ELi4EEvPfPK15HIP_vector_typeIfLj2EEiiiiiiS1_IjLj3EES5_S5_.num_vgpr, 11
	.set _ZL33flash_attn_stream_k_fixup_uniformILi96ELi1ELi4EEvPfPK15HIP_vector_typeIfLj2EEiiiiiiS1_IjLj3EES5_S5_.num_agpr, 0
	.set _ZL33flash_attn_stream_k_fixup_uniformILi96ELi1ELi4EEvPfPK15HIP_vector_typeIfLj2EEiiiiiiS1_IjLj3EES5_S5_.numbered_sgpr, 16
	.set _ZL33flash_attn_stream_k_fixup_uniformILi96ELi1ELi4EEvPfPK15HIP_vector_typeIfLj2EEiiiiiiS1_IjLj3EES5_S5_.num_named_barrier, 0
	.set _ZL33flash_attn_stream_k_fixup_uniformILi96ELi1ELi4EEvPfPK15HIP_vector_typeIfLj2EEiiiiiiS1_IjLj3EES5_S5_.private_seg_size, 0
	.set _ZL33flash_attn_stream_k_fixup_uniformILi96ELi1ELi4EEvPfPK15HIP_vector_typeIfLj2EEiiiiiiS1_IjLj3EES5_S5_.uses_vcc, 1
	.set _ZL33flash_attn_stream_k_fixup_uniformILi96ELi1ELi4EEvPfPK15HIP_vector_typeIfLj2EEiiiiiiS1_IjLj3EES5_S5_.uses_flat_scratch, 0
	.set _ZL33flash_attn_stream_k_fixup_uniformILi96ELi1ELi4EEvPfPK15HIP_vector_typeIfLj2EEiiiiiiS1_IjLj3EES5_S5_.has_dyn_sized_stack, 0
	.set _ZL33flash_attn_stream_k_fixup_uniformILi96ELi1ELi4EEvPfPK15HIP_vector_typeIfLj2EEiiiiiiS1_IjLj3EES5_S5_.has_recursion, 0
	.set _ZL33flash_attn_stream_k_fixup_uniformILi96ELi1ELi4EEvPfPK15HIP_vector_typeIfLj2EEiiiiiiS1_IjLj3EES5_S5_.has_indirect_call, 0
	.section	.AMDGPU.csdata,"",@progbits
; Kernel info:
; codeLenInByte = 1136
; TotalNumSgprs: 18
; NumVgprs: 11
; ScratchSize: 0
; MemoryBound: 0
; FloatMode: 240
; IeeeMode: 1
; LDSByteSize: 0 bytes/workgroup (compile time only)
; SGPRBlocks: 0
; VGPRBlocks: 1
; NumSGPRsForWavesPerEU: 18
; NumVGPRsForWavesPerEU: 11
; Occupancy: 16
; WaveLimiterHint : 0
; COMPUTE_PGM_RSRC2:SCRATCH_EN: 0
; COMPUTE_PGM_RSRC2:USER_SGPR: 2
; COMPUTE_PGM_RSRC2:TRAP_HANDLER: 0
; COMPUTE_PGM_RSRC2:TGID_X_EN: 1
; COMPUTE_PGM_RSRC2:TGID_Y_EN: 1
; COMPUTE_PGM_RSRC2:TGID_Z_EN: 1
; COMPUTE_PGM_RSRC2:TIDIG_COMP_CNT: 0
	.section	.text._ZL33flash_attn_stream_k_fixup_generalILi96ELi1ELi4EEvPfPK15HIP_vector_typeIfLj2EEiiiiS1_IjLj3EES5_S5_S5_,"axG",@progbits,_ZL33flash_attn_stream_k_fixup_generalILi96ELi1ELi4EEvPfPK15HIP_vector_typeIfLj2EEiiiiS1_IjLj3EES5_S5_S5_,comdat
	.globl	_ZL33flash_attn_stream_k_fixup_generalILi96ELi1ELi4EEvPfPK15HIP_vector_typeIfLj2EEiiiiS1_IjLj3EES5_S5_S5_ ; -- Begin function _ZL33flash_attn_stream_k_fixup_generalILi96ELi1ELi4EEvPfPK15HIP_vector_typeIfLj2EEiiiiS1_IjLj3EES5_S5_S5_
	.p2align	8
	.type	_ZL33flash_attn_stream_k_fixup_generalILi96ELi1ELi4EEvPfPK15HIP_vector_typeIfLj2EEiiiiS1_IjLj3EES5_S5_S5_,@function
_ZL33flash_attn_stream_k_fixup_generalILi96ELi1ELi4EEvPfPK15HIP_vector_typeIfLj2EEiiiiS1_IjLj3EES5_S5_S5_: ; @_ZL33flash_attn_stream_k_fixup_generalILi96ELi1ELi4EEvPfPK15HIP_vector_typeIfLj2EEiiiiS1_IjLj3EES5_S5_S5_
; %bb.0:
	s_clause 0x1
	s_load_b128 s[4:7], s[0:1], 0x10
	s_load_b32 s12, s[0:1], 0x50
	s_mov_b32 s2, ttmp9
	s_ashr_i32 s3, ttmp9, 31
	s_mov_b32 s13, 0
	s_delay_alu instid0(SALU_CYCLE_1) | instskip(SKIP_3) | instid1(SALU_CYCLE_1)
	s_mov_b32 s8, s13
	s_wait_kmcnt 0x0
	s_ashr_i32 s15, s7, 31
	s_mov_b32 s14, s7
	s_mul_u64 s[2:3], s[14:15], s[2:3]
	s_delay_alu instid0(SALU_CYCLE_1) | instskip(NEXT) | instid1(SALU_CYCLE_1)
	s_mov_b32 s9, s3
	s_cmp_lg_u64 s[8:9], 0
	s_cbranch_scc0 .LBB32_21
; %bb.1:
	s_add_nc_u64 s[8:9], s[12:13], 0
	s_mov_b32 s19, s13
	s_xor_b64 s[8:9], s[8:9], 0
	s_mov_b32 s23, s13
	s_cvt_f32_u32 s7, s8
	s_cvt_f32_u32 s10, s9
	s_sub_nc_u64 s[16:17], 0, s[8:9]
	s_delay_alu instid0(SALU_CYCLE_2) | instskip(NEXT) | instid1(SALU_CYCLE_3)
	s_fmamk_f32 s7, s10, 0x4f800000, s7
	v_s_rcp_f32 s7, s7
	s_delay_alu instid0(TRANS32_DEP_1) | instskip(SKIP_1) | instid1(SALU_CYCLE_2)
	s_mul_f32 s7, s7, 0x5f7ffffc
	s_wait_alu 0xfffe
	s_mul_f32 s10, s7, 0x2f800000
	s_delay_alu instid0(SALU_CYCLE_3) | instskip(NEXT) | instid1(SALU_CYCLE_3)
	s_trunc_f32 s10, s10
	s_fmamk_f32 s7, s10, 0xcf800000, s7
	s_cvt_u32_f32 s11, s10
	s_wait_alu 0xfffe
	s_delay_alu instid0(SALU_CYCLE_1) | instskip(NEXT) | instid1(SALU_CYCLE_3)
	s_cvt_u32_f32 s10, s7
	s_mul_u64 s[20:21], s[16:17], s[10:11]
	s_delay_alu instid0(SALU_CYCLE_1)
	s_mul_hi_u32 s25, s10, s21
	s_mul_i32 s24, s10, s21
	s_mul_hi_u32 s18, s10, s20
	s_mul_i32 s22, s11, s20
	s_add_nc_u64 s[18:19], s[18:19], s[24:25]
	s_mul_hi_u32 s7, s11, s20
	s_mul_hi_u32 s26, s11, s21
	s_add_co_u32 s18, s18, s22
	s_wait_alu 0xfffe
	s_add_co_ci_u32 s22, s19, s7
	s_mul_i32 s20, s11, s21
	s_add_co_ci_u32 s21, s26, 0
	s_delay_alu instid0(SALU_CYCLE_1)
	s_add_nc_u64 s[18:19], s[22:23], s[20:21]
	s_mov_b32 s21, s13
	s_add_co_u32 s10, s10, s18
	s_cselect_b32 s7, -1, 0
	s_wait_alu 0xfffe
	s_cmp_lg_u32 s7, 0
	s_add_co_ci_u32 s11, s11, s19
	s_mov_b32 s19, s13
	s_mul_u64 s[16:17], s[16:17], s[10:11]
	s_delay_alu instid0(SALU_CYCLE_1)
	s_mul_hi_u32 s23, s10, s17
	s_mul_i32 s22, s10, s17
	s_mul_hi_u32 s18, s10, s16
	s_mul_i32 s20, s11, s16
	s_add_nc_u64 s[18:19], s[18:19], s[22:23]
	s_mul_hi_u32 s7, s11, s16
	s_mul_hi_u32 s24, s11, s17
	s_mul_i32 s16, s11, s17
	s_add_co_u32 s17, s18, s20
	s_wait_alu 0xfffe
	s_add_co_ci_u32 s20, s19, s7
	s_add_co_ci_u32 s17, s24, 0
	s_mov_b32 s19, s13
	s_add_nc_u64 s[16:17], s[20:21], s[16:17]
	s_delay_alu instid0(SALU_CYCLE_1) | instskip(SKIP_1) | instid1(SALU_CYCLE_1)
	s_add_co_u32 s7, s10, s16
	s_cselect_b32 s10, -1, 0
	s_cmp_lg_u32 s10, 0
	s_add_co_ci_u32 s20, s11, s17
	s_ashr_i32 s10, s3, 31
	s_delay_alu instid0(SALU_CYCLE_1) | instskip(NEXT) | instid1(SALU_CYCLE_1)
	s_mov_b32 s11, s10
	s_add_nc_u64 s[16:17], s[2:3], s[10:11]
	s_delay_alu instid0(SALU_CYCLE_1) | instskip(NEXT) | instid1(SALU_CYCLE_1)
	s_xor_b64 s[16:17], s[16:17], s[10:11]
	s_mul_hi_u32 s23, s16, s20
	s_mul_i32 s22, s16, s20
	s_wait_alu 0xfffe
	s_mul_hi_u32 s18, s16, s7
	s_mul_hi_u32 s24, s17, s7
	s_mul_i32 s7, s17, s7
	s_add_nc_u64 s[18:19], s[18:19], s[22:23]
	s_mul_hi_u32 s3, s17, s20
	s_wait_alu 0xfffe
	s_add_co_u32 s7, s18, s7
	s_mul_i32 s22, s17, s20
	s_add_co_ci_u32 s20, s19, s24
	s_add_co_ci_u32 s23, s3, 0
	s_delay_alu instid0(SALU_CYCLE_1) | instskip(NEXT) | instid1(SALU_CYCLE_1)
	s_add_nc_u64 s[18:19], s[20:21], s[22:23]
	s_mul_u64 s[20:21], s[8:9], s[18:19]
	s_delay_alu instid0(SALU_CYCLE_1)
	s_sub_co_u32 s3, s16, s20
	s_cselect_b32 s7, -1, 0
	s_sub_co_i32 s16, s17, s21
	s_wait_alu 0xfffe
	s_cmp_lg_u32 s7, 0
	s_sub_co_ci_u32 s16, s16, s9
	s_sub_co_u32 s20, s3, s8
	s_cselect_b32 s22, -1, 0
	s_delay_alu instid0(SALU_CYCLE_1) | instskip(SKIP_2) | instid1(SALU_CYCLE_1)
	s_cmp_lg_u32 s22, 0
	s_add_nc_u64 s[22:23], s[18:19], 1
	s_sub_co_ci_u32 s16, s16, 0
	s_cmp_ge_u32 s16, s9
	s_cselect_b32 s24, -1, 0
	s_cmp_ge_u32 s20, s8
	s_cselect_b32 s20, -1, 0
	s_cmp_eq_u32 s16, s9
	s_cselect_b32 s16, s20, s24
	s_add_nc_u64 s[24:25], s[18:19], 2
	s_cmp_lg_u32 s16, 0
	s_cselect_b32 s16, s24, s22
	s_cselect_b32 s20, s25, s23
	s_cmp_lg_u32 s7, 0
	s_sub_co_ci_u32 s7, s17, s21
	s_wait_alu 0xfffe
	s_cmp_ge_u32 s7, s9
	s_cselect_b32 s17, -1, 0
	s_cmp_ge_u32 s3, s8
	s_cselect_b32 s3, -1, 0
	s_cmp_eq_u32 s7, s9
	s_cselect_b32 s3, s3, s17
	s_delay_alu instid0(SALU_CYCLE_1) | instskip(SKIP_4) | instid1(SALU_CYCLE_1)
	s_cmp_lg_u32 s3, 0
	s_mov_b32 s3, s13
	s_cselect_b32 s9, s20, s19
	s_cselect_b32 s8, s16, s18
	s_xor_b64 s[10:11], s[10:11], 0
	s_xor_b64 s[8:9], s[8:9], s[10:11]
	s_delay_alu instid0(SALU_CYCLE_1)
	s_sub_nc_u64 s[16:17], s[8:9], s[10:11]
	s_and_not1_b32 vcc_lo, exec_lo, s3
	s_cbranch_vccnz .LBB32_3
.LBB32_2:
	v_cvt_f32_u32_e32 v1, s12
	s_sub_co_i32 s7, 0, s12
	s_delay_alu instid0(VALU_DEP_1) | instskip(NEXT) | instid1(TRANS32_DEP_1)
	v_rcp_iflag_f32_e32 v1, v1
	v_mul_f32_e32 v1, 0x4f7ffffe, v1
	s_delay_alu instid0(VALU_DEP_1) | instskip(NEXT) | instid1(VALU_DEP_1)
	v_cvt_u32_f32_e32 v1, v1
	v_readfirstlane_b32 s3, v1
	s_wait_alu 0xfffe
	s_mul_i32 s7, s7, s3
	s_wait_alu 0xfffe
	s_mul_hi_u32 s7, s3, s7
	s_wait_alu 0xfffe
	s_add_co_i32 s3, s3, s7
	s_delay_alu instid0(SALU_CYCLE_1) | instskip(NEXT) | instid1(SALU_CYCLE_1)
	s_mul_hi_u32 s3, s2, s3
	s_mul_i32 s7, s3, s12
	s_wait_alu 0xfffe
	s_sub_co_i32 s2, s2, s7
	s_add_co_i32 s7, s3, 1
	s_sub_co_i32 s8, s2, s12
	s_cmp_ge_u32 s2, s12
	s_wait_alu 0xfffe
	s_cselect_b32 s3, s7, s3
	s_cselect_b32 s2, s8, s2
	s_add_co_i32 s7, s3, 1
	s_cmp_ge_u32 s2, s12
	s_wait_alu 0xfffe
	s_cselect_b32 s16, s7, s3
.LBB32_3:
	s_add_co_i32 s2, ttmp9, 1
	s_mov_b32 s18, 0
	s_ashr_i32 s3, s2, 31
	s_delay_alu instid0(SALU_CYCLE_1) | instskip(NEXT) | instid1(SALU_CYCLE_1)
	s_mul_u64 s[2:3], s[14:15], s[2:3]
	s_mov_b32 s19, s3
	s_delay_alu instid0(SALU_CYCLE_1)
	s_cmp_lg_u64 s[18:19], 0
	s_cbranch_scc0 .LBB32_22
; %bb.4:
	s_add_nc_u64 s[8:9], s[12:13], 0
	s_mov_b32 s23, s18
	s_xor_b64 s[8:9], s[8:9], 0
	s_mov_b32 s27, s18
	s_cvt_f32_u32 s7, s8
	s_cvt_f32_u32 s10, s9
	s_sub_nc_u64 s[20:21], 0, s[8:9]
	s_wait_alu 0xfffe
	s_delay_alu instid0(SALU_CYCLE_1) | instskip(SKIP_1) | instid1(SALU_CYCLE_2)
	s_fmamk_f32 s7, s10, 0x4f800000, s7
	s_wait_alu 0xfffe
	v_s_rcp_f32 s7, s7
	s_delay_alu instid0(TRANS32_DEP_1) | instskip(SKIP_1) | instid1(SALU_CYCLE_2)
	s_mul_f32 s7, s7, 0x5f7ffffc
	s_wait_alu 0xfffe
	s_mul_f32 s10, s7, 0x2f800000
	s_delay_alu instid0(SALU_CYCLE_3) | instskip(NEXT) | instid1(SALU_CYCLE_3)
	s_trunc_f32 s10, s10
	s_fmamk_f32 s7, s10, 0xcf800000, s7
	s_cvt_u32_f32 s11, s10
	s_wait_alu 0xfffe
	s_delay_alu instid0(SALU_CYCLE_1) | instskip(NEXT) | instid1(SALU_CYCLE_3)
	s_cvt_u32_f32 s10, s7
	s_mul_u64 s[24:25], s[20:21], s[10:11]
	s_delay_alu instid0(SALU_CYCLE_1)
	s_mul_hi_u32 s29, s10, s25
	s_mul_i32 s28, s10, s25
	s_mul_hi_u32 s22, s10, s24
	s_mul_i32 s17, s11, s24
	s_add_nc_u64 s[22:23], s[22:23], s[28:29]
	s_mul_hi_u32 s7, s11, s24
	s_mul_hi_u32 s19, s11, s25
	s_add_co_u32 s17, s22, s17
	s_wait_alu 0xfffe
	s_add_co_ci_u32 s26, s23, s7
	s_mul_i32 s24, s11, s25
	s_add_co_ci_u32 s25, s19, 0
	s_delay_alu instid0(SALU_CYCLE_1)
	s_add_nc_u64 s[22:23], s[26:27], s[24:25]
	s_mov_b32 s25, s18
	s_add_co_u32 s10, s10, s22
	s_cselect_b32 s7, -1, 0
	s_wait_alu 0xfffe
	s_cmp_lg_u32 s7, 0
	s_add_co_ci_u32 s11, s11, s23
	s_mov_b32 s23, s18
	s_mul_u64 s[20:21], s[20:21], s[10:11]
	s_delay_alu instid0(SALU_CYCLE_1)
	s_mul_hi_u32 s27, s10, s21
	s_mul_i32 s26, s10, s21
	s_mul_hi_u32 s22, s10, s20
	s_mul_i32 s17, s11, s20
	s_add_nc_u64 s[22:23], s[22:23], s[26:27]
	s_mul_hi_u32 s7, s11, s20
	s_mul_hi_u32 s19, s11, s21
	s_add_co_u32 s17, s22, s17
	s_wait_alu 0xfffe
	s_add_co_ci_u32 s24, s23, s7
	s_mul_i32 s20, s11, s21
	s_add_co_ci_u32 s21, s19, 0
	s_mov_b32 s23, s18
	s_add_nc_u64 s[20:21], s[24:25], s[20:21]
	s_delay_alu instid0(SALU_CYCLE_1) | instskip(SKIP_1) | instid1(SALU_CYCLE_1)
	s_add_co_u32 s7, s10, s20
	s_cselect_b32 s10, -1, 0
	s_cmp_lg_u32 s10, 0
	s_add_co_ci_u32 s17, s11, s21
	s_ashr_i32 s10, s3, 31
	s_delay_alu instid0(SALU_CYCLE_1) | instskip(NEXT) | instid1(SALU_CYCLE_1)
	s_mov_b32 s11, s10
	s_add_nc_u64 s[20:21], s[2:3], s[10:11]
	s_delay_alu instid0(SALU_CYCLE_1) | instskip(NEXT) | instid1(SALU_CYCLE_1)
	s_xor_b64 s[20:21], s[20:21], s[10:11]
	s_mul_hi_u32 s27, s20, s17
	s_mul_i32 s26, s20, s17
	s_wait_alu 0xfffe
	s_mul_hi_u32 s22, s20, s7
	s_mul_hi_u32 s19, s21, s7
	s_mul_i32 s7, s21, s7
	s_add_nc_u64 s[22:23], s[22:23], s[26:27]
	s_mul_hi_u32 s3, s21, s17
	s_wait_alu 0xfffe
	s_add_co_u32 s7, s22, s7
	s_add_co_ci_u32 s24, s23, s19
	s_mul_i32 s26, s21, s17
	s_add_co_ci_u32 s27, s3, 0
	s_delay_alu instid0(SALU_CYCLE_1) | instskip(NEXT) | instid1(SALU_CYCLE_1)
	s_add_nc_u64 s[22:23], s[24:25], s[26:27]
	s_mul_u64 s[24:25], s[8:9], s[22:23]
	s_add_nc_u64 s[26:27], s[22:23], 1
	s_sub_co_u32 s3, s20, s24
	s_cselect_b32 s7, -1, 0
	s_sub_co_i32 s17, s21, s25
	s_wait_alu 0xfffe
	s_cmp_lg_u32 s7, 0
	s_add_nc_u64 s[28:29], s[22:23], 2
	s_sub_co_ci_u32 s17, s17, s9
	s_sub_co_u32 s19, s3, s8
	s_cselect_b32 s20, -1, 0
	s_delay_alu instid0(SALU_CYCLE_1) | instskip(SKIP_1) | instid1(SALU_CYCLE_1)
	s_cmp_lg_u32 s20, 0
	s_sub_co_ci_u32 s17, s17, 0
	s_cmp_ge_u32 s17, s9
	s_cselect_b32 s20, -1, 0
	s_cmp_ge_u32 s19, s8
	s_cselect_b32 s19, -1, 0
	s_cmp_eq_u32 s17, s9
	s_cselect_b32 s17, s19, s20
	s_delay_alu instid0(SALU_CYCLE_1)
	s_cmp_lg_u32 s17, 0
	s_cselect_b32 s17, s28, s26
	s_cselect_b32 s19, s29, s27
	s_cmp_lg_u32 s7, 0
	s_sub_co_ci_u32 s7, s21, s25
	s_wait_alu 0xfffe
	s_cmp_ge_u32 s7, s9
	s_cselect_b32 s20, -1, 0
	s_cmp_ge_u32 s3, s8
	s_cselect_b32 s3, -1, 0
	s_cmp_eq_u32 s7, s9
	s_cselect_b32 s3, s3, s20
	s_delay_alu instid0(SALU_CYCLE_1) | instskip(SKIP_3) | instid1(SALU_CYCLE_1)
	s_cmp_lg_u32 s3, 0
	s_cselect_b32 s9, s19, s23
	s_cselect_b32 s8, s17, s22
	s_xor_b64 s[10:11], s[10:11], 0
	s_xor_b64 s[8:9], s[8:9], s[10:11]
	s_delay_alu instid0(SALU_CYCLE_1)
	s_sub_nc_u64 s[20:21], s[8:9], s[10:11]
	s_load_b96 s[8:10], s[0:1], 0x44
	s_and_not1_b32 vcc_lo, exec_lo, s18
	s_cbranch_vccnz .LBB32_6
.LBB32_5:
	v_cvt_f32_u32_e32 v1, s12
	s_sub_co_i32 s7, 0, s12
	s_delay_alu instid0(VALU_DEP_1) | instskip(NEXT) | instid1(TRANS32_DEP_1)
	v_rcp_iflag_f32_e32 v1, v1
	v_mul_f32_e32 v1, 0x4f7ffffe, v1
	s_delay_alu instid0(VALU_DEP_1) | instskip(NEXT) | instid1(VALU_DEP_1)
	v_cvt_u32_f32_e32 v1, v1
	v_readfirstlane_b32 s3, v1
	s_wait_alu 0xfffe
	s_mul_i32 s7, s7, s3
	s_wait_alu 0xfffe
	s_mul_hi_u32 s7, s3, s7
	s_wait_alu 0xfffe
	s_add_co_i32 s3, s3, s7
	s_delay_alu instid0(SALU_CYCLE_1) | instskip(NEXT) | instid1(SALU_CYCLE_1)
	s_mul_hi_u32 s3, s2, s3
	s_mul_i32 s7, s3, s12
	s_wait_alu 0xfffe
	s_sub_co_i32 s2, s2, s7
	s_add_co_i32 s7, s3, 1
	s_sub_co_i32 s11, s2, s12
	s_cmp_ge_u32 s2, s12
	s_wait_alu 0xfffe
	s_cselect_b32 s3, s7, s3
	s_cselect_b32 s2, s11, s2
	s_add_co_i32 s7, s3, 1
	s_cmp_ge_u32 s2, s12
	s_wait_alu 0xfffe
	s_cselect_b32 s20, s7, s3
.LBB32_6:
	s_mov_b32 s17, 0
	s_wait_kmcnt 0x0
	s_mov_b32 s18, s8
	s_mov_b32 s19, s17
	s_cmp_eq_u32 s16, s20
	s_mul_u64 s[2:3], s[16:17], s[18:19]
	s_cselect_b32 s7, -1, 0
	s_add_co_i32 s2, s3, s16
	s_mov_b32 s21, s17
	s_lshr_b32 s8, s2, s9
	s_mul_u64 s[2:3], s[20:21], s[18:19]
	s_mul_i32 s2, s8, s10
	s_delay_alu instid0(SALU_CYCLE_1) | instskip(SKIP_2) | instid1(SALU_CYCLE_1)
	s_cmp_eq_u32 s2, s16
	s_cselect_b32 s2, -1, 0
	s_add_co_i32 s3, s3, s20
	s_lshr_b32 s3, s3, s9
	s_delay_alu instid0(SALU_CYCLE_1)
	s_cmp_eq_u32 s8, s3
	s_mul_i32 s3, s3, s10
	s_cselect_b32 s11, -1, 0
	s_cmp_lg_u32 s3, s20
	s_cselect_b32 s3, -1, 0
	s_wait_alu 0xfffe
	s_or_b32 s2, s7, s2
	s_and_b32 s3, s11, s3
	s_delay_alu instid0(SALU_CYCLE_1) | instskip(NEXT) | instid1(SALU_CYCLE_1)
	s_or_b32 s2, s2, s3
	s_and_b32 vcc_lo, exec_lo, s2
	s_cbranch_vccnz .LBB32_24
; %bb.7:
	s_load_b256 s[20:27], s[0:1], 0x20
	s_mov_b32 s3, s17
	s_wait_kmcnt 0x0
	s_mov_b32 s2, s20
	s_delay_alu instid0(SALU_CYCLE_1) | instskip(NEXT) | instid1(SALU_CYCLE_1)
	s_mul_u64 s[2:3], s[16:17], s[2:3]
	s_add_co_i32 s2, s3, s16
	s_delay_alu instid0(SALU_CYCLE_1)
	s_lshr_b32 s3, s2, s21
	s_load_b32 s2, s[0:1], 0x40
	s_mul_i32 s7, s3, s22
	s_mov_b32 s21, s17
	s_wait_alu 0xfffe
	s_sub_co_i32 s11, s16, s7
	s_delay_alu instid0(SALU_CYCLE_1)
	s_mul_hi_u32 s7, s11, s23
	s_wait_alu 0xfffe
	s_add_co_i32 s7, s11, s7
	s_wait_alu 0xfffe
	s_lshr_b32 s7, s7, s24
	s_wait_alu 0xfffe
	s_mul_i32 s20, s7, s25
	s_delay_alu instid0(SALU_CYCLE_1) | instskip(NEXT) | instid1(SALU_CYCLE_1)
	s_sub_co_i32 s11, s11, s20
	s_mul_hi_u32 s20, s11, s26
	s_delay_alu instid0(SALU_CYCLE_1) | instskip(NEXT) | instid1(SALU_CYCLE_1)
	s_add_co_i32 s20, s11, s20
	s_lshr_b32 s24, s20, s27
	s_wait_kmcnt 0x0
	s_mul_i32 s2, s24, s2
	s_delay_alu instid0(SALU_CYCLE_1) | instskip(SKIP_2) | instid1(SALU_CYCLE_1)
	s_sub_co_i32 s20, s11, s2
	s_and_b32 s2, ttmp7, 0xffff
	s_mul_u64 s[22:23], s[20:21], s[18:19]
	s_add_co_i32 s11, s20, s23
	s_lshl_b32 s20, s24, 2
	s_lshr_b32 s17, s11, s9
	s_lshr_b32 s11, ttmp7, 16
	s_add_co_i32 s17, s17, s2
	s_delay_alu instid0(SALU_CYCLE_1) | instskip(SKIP_2) | instid1(SALU_CYCLE_1)
	s_cmp_lt_i32 s17, s4
	s_cselect_b32 s21, -1, 0
	s_add_co_i32 s20, s20, s11
	s_cmp_lt_i32 s20, s6
	s_cselect_b32 s22, -1, 0
	s_delay_alu instid0(SALU_CYCLE_1) | instskip(NEXT) | instid1(SALU_CYCLE_1)
	s_and_b32 s21, s21, s22
	s_and_not1_b32 vcc_lo, exec_lo, s21
	s_cbranch_vccnz .LBB32_24
; %bb.8:
	s_mul_i32 s3, s3, s4
	s_mul_i32 s7, s7, s6
	s_add_co_i32 s3, s17, s3
	s_wait_alu 0xfffe
	s_add_co_i32 s17, s20, s7
	s_mul_i32 s3, s3, s5
	s_load_b128 s[4:7], s[0:1], 0x0
	s_add_co_i32 s17, s17, s3
	s_add_nc_u64 s[0:1], s[12:13], 0
	v_mad_co_u64_u32 v[1:2], null, 0x60, s17, v[0:1]
	s_add_co_i32 s3, s2, ttmp9
	s_xor_b64 s[20:21], s[0:1], 0
	s_lshl_b32 s0, s3, 2
	s_cvt_f32_u32 s3, s20
	s_add_co_i32 s0, s0, s11
	v_cvt_f32_u32_e32 v3, s12
	v_ashrrev_i32_e32 v2, 31, v1
	s_ashr_i32 s1, s0, 31
	s_mov_b32 s22, 0
	s_lshl_b64 s[0:1], s[0:1], 3
	v_rcp_iflag_f32_e32 v3, v3
	v_lshlrev_b64_e32 v[1:2], 2, v[1:2]
	s_add_co_i32 s34, ttmp9, -1
	s_add_co_i32 s13, s12, s2
	s_sub_nc_u64 s[30:31], 0, s[20:21]
	s_wait_kmcnt 0x0
	s_add_nc_u64 s[0:1], s[6:7], s[0:1]
	s_load_b64 s[28:29], s[0:1], 0x0
	v_add_co_u32 v1, vcc_lo, s4, v1
	s_delay_alu instid0(VALU_DEP_1)
	v_add_co_ci_u32_e64 v2, null, s5, v2, vcc_lo
	s_cvt_f32_u32 s4, s21
	s_lshl_b32 s0, s12, 4
	s_mov_b32 s1, s22
	global_load_b32 v5, v[1:2], off
	s_wait_alu 0xfffe
	s_fmamk_f32 s3, s4, 0x4f800000, s3
	s_lshl_b32 s4, s2, 2
	s_lshl_b64 s[0:1], s[0:1], 2
	s_wait_alu 0xfffe
	s_add_co_i32 s4, s4, s11
	v_s_rcp_f32 s3, s3
	v_mul_f32_e32 v6, 0x4f7ffffe, v3
	s_add_nc_u64 s[24:25], s[6:7], s[0:1]
	s_wait_alu 0xfffe
	v_mad_co_u64_u32 v[3:4], null, 0x60, s4, v[0:1]
	s_delay_alu instid0(VALU_DEP_2) | instskip(NEXT) | instid1(TRANS32_DEP_1)
	v_cvt_u32_f32_e32 v0, v6
	s_mul_f32 s3, s3, 0x5f7ffffc
	s_wait_kmcnt 0x0
	v_mov_b32_e32 v4, s29
	s_wait_alu 0xfffe
	s_mul_f32 s5, s3, 0x2f800000
	s_wait_alu 0xfffe
	s_delay_alu instid0(SALU_CYCLE_2) | instskip(SKIP_1) | instid1(SALU_CYCLE_2)
	s_trunc_f32 s5, s5
	s_wait_alu 0xfffe
	s_fmamk_f32 s0, s5, 0xcf800000, s3
	s_cvt_u32_f32 s27, s5
	s_delay_alu instid0(SALU_CYCLE_2)
	s_cvt_u32_f32 s26, s0
.LBB32_9:                               ; =>This Inner Loop Header: Depth=1
	s_ashr_i32 s35, s34, 31
	s_mov_b32 s2, -1
	s_wait_alu 0xfffe
	s_mul_u64 s[0:1], s[34:35], s[14:15]
                                        ; implicit-def: $sgpr38_sgpr39
	s_wait_alu 0xfffe
	s_mov_b32 s23, s1
	s_delay_alu instid0(SALU_CYCLE_1)
	s_cmp_lg_u64 s[22:23], 0
	s_cbranch_scc0 .LBB32_11
; %bb.10:                               ;   in Loop: Header=BB32_9 Depth=1
	s_mul_u64 s[2:3], s[30:31], s[26:27]
	s_mov_b32 s37, s22
	s_wait_alu 0xfffe
	s_mul_hi_u32 s5, s26, s3
	s_mul_i32 s4, s26, s3
	s_mul_hi_u32 s36, s26, s2
	s_mul_hi_u32 s17, s27, s2
	s_wait_alu 0xfffe
	s_add_nc_u64 s[4:5], s[36:37], s[4:5]
	s_mul_i32 s2, s27, s2
	s_mul_hi_u32 s23, s27, s3
	s_wait_alu 0xfffe
	s_add_co_u32 s2, s4, s2
	s_add_co_ci_u32 s2, s5, s17
	s_add_co_ci_u32 s5, s23, 0
	s_mul_i32 s4, s27, s3
	s_mov_b32 s3, s22
	s_mov_b32 s39, s22
	s_wait_alu 0xfffe
	s_add_nc_u64 s[2:3], s[2:3], s[4:5]
	s_wait_alu 0xfffe
	s_add_co_u32 s2, s26, s2
	s_cselect_b32 s4, -1, 0
	s_wait_alu 0xfffe
	s_cmp_lg_u32 s4, 0
	s_add_co_ci_u32 s3, s27, s3
	s_wait_alu 0xfffe
	s_mul_u64 s[4:5], s[30:31], s[2:3]
	s_wait_alu 0xfffe
	s_mul_hi_u32 s37, s2, s5
	s_mul_i32 s36, s2, s5
	s_mul_hi_u32 s38, s2, s4
	s_mul_hi_u32 s17, s3, s4
	s_mul_i32 s4, s3, s4
	s_wait_alu 0xfffe
	s_add_nc_u64 s[36:37], s[38:39], s[36:37]
	s_mul_hi_u32 s23, s3, s5
	s_wait_alu 0xfffe
	s_add_co_u32 s4, s36, s4
	s_add_co_ci_u32 s4, s37, s17
	s_add_co_ci_u32 s37, s23, 0
	s_mul_i32 s36, s3, s5
	s_mov_b32 s5, s22
	s_wait_alu 0xfffe
	s_add_nc_u64 s[4:5], s[4:5], s[36:37]
	s_mov_b32 s37, s22
	s_wait_alu 0xfffe
	s_add_co_u32 s17, s2, s4
	s_cselect_b32 s2, -1, 0
	s_wait_alu 0xfffe
	s_cmp_lg_u32 s2, 0
	s_add_co_ci_u32 s23, s3, s5
	s_ashr_i32 s2, s1, 31
	s_wait_alu 0xfffe
	s_mov_b32 s3, s2
	s_wait_alu 0xfffe
	s_add_nc_u64 s[4:5], s[0:1], s[2:3]
	s_wait_alu 0xfffe
	s_xor_b64 s[4:5], s[4:5], s[2:3]
	s_wait_alu 0xfffe
	s_mul_hi_u32 s39, s4, s23
	s_mul_i32 s38, s4, s23
	s_mul_hi_u32 s36, s4, s17
	s_mul_i32 s29, s5, s17
	s_wait_alu 0xfffe
	s_add_nc_u64 s[36:37], s[36:37], s[38:39]
	s_mul_hi_u32 s17, s5, s17
	s_mul_hi_u32 s1, s5, s23
	s_wait_alu 0xfffe
	s_add_co_u32 s29, s36, s29
	s_add_co_ci_u32 s36, s37, s17
	s_add_co_ci_u32 s39, s1, 0
	s_mul_i32 s38, s5, s23
	s_mov_b32 s37, s22
	s_wait_alu 0xfffe
	s_add_nc_u64 s[36:37], s[36:37], s[38:39]
	s_wait_alu 0xfffe
	s_mul_u64 s[38:39], s[20:21], s[36:37]
	s_add_nc_u64 s[40:41], s[36:37], 1
	s_wait_alu 0xfffe
	s_sub_co_u32 s1, s4, s38
	s_cselect_b32 s4, -1, 0
	s_sub_co_i32 s17, s5, s39
	s_wait_alu 0xfffe
	s_cmp_lg_u32 s4, 0
	s_add_nc_u64 s[42:43], s[36:37], 2
	s_sub_co_ci_u32 s17, s17, s21
	s_sub_co_u32 s23, s1, s20
	s_cselect_b32 s29, -1, 0
	s_wait_alu 0xfffe
	s_cmp_lg_u32 s29, 0
	s_sub_co_ci_u32 s17, s17, 0
	s_wait_alu 0xfffe
	s_cmp_ge_u32 s17, s21
	s_cselect_b32 s29, -1, 0
	s_cmp_ge_u32 s23, s20
	s_cselect_b32 s23, -1, 0
	s_cmp_eq_u32 s17, s21
	s_wait_alu 0xfffe
	s_cselect_b32 s17, s23, s29
	s_wait_alu 0xfffe
	s_cmp_lg_u32 s17, 0
	s_cselect_b32 s17, s42, s40
	s_cselect_b32 s23, s43, s41
	s_cmp_lg_u32 s4, 0
	s_sub_co_ci_u32 s4, s5, s39
	s_wait_alu 0xfffe
	s_cmp_ge_u32 s4, s21
	s_cselect_b32 s5, -1, 0
	s_cmp_ge_u32 s1, s20
	s_cselect_b32 s1, -1, 0
	s_cmp_eq_u32 s4, s21
	s_wait_alu 0xfffe
	s_cselect_b32 s1, s1, s5
	s_wait_alu 0xfffe
	s_cmp_lg_u32 s1, 0
	s_cselect_b32 s5, s23, s37
	s_cselect_b32 s4, s17, s36
	s_xor_b64 s[2:3], s[2:3], 0
	s_wait_alu 0xfffe
	s_xor_b64 s[4:5], s[4:5], s[2:3]
	s_wait_alu 0xfffe
	s_sub_nc_u64 s[38:39], s[4:5], s[2:3]
	s_mov_b32 s2, 0
.LBB32_11:                              ;   in Loop: Header=BB32_9 Depth=1
	s_wait_alu 0xfffe
	s_and_not1_b32 vcc_lo, exec_lo, s2
	s_wait_alu 0xfffe
	s_cbranch_vccnz .LBB32_13
; %bb.12:                               ;   in Loop: Header=BB32_9 Depth=1
	v_readfirstlane_b32 s1, v0
	s_sub_co_i32 s2, 0, s12
	s_wait_alu 0xfffe
	s_mul_i32 s2, s2, s1
	s_wait_alu 0xfffe
	s_mul_hi_u32 s2, s1, s2
	s_wait_alu 0xfffe
	s_add_co_i32 s1, s1, s2
	s_wait_alu 0xfffe
	s_mul_hi_u32 s1, s0, s1
	s_wait_alu 0xfffe
	s_mul_i32 s2, s1, s12
	s_wait_alu 0xfffe
	s_sub_co_i32 s0, s0, s2
	s_add_co_i32 s2, s1, 1
	s_wait_alu 0xfffe
	s_sub_co_i32 s3, s0, s12
	s_cmp_ge_u32 s0, s12
	s_cselect_b32 s1, s2, s1
	s_wait_alu 0xfffe
	s_cselect_b32 s0, s3, s0
	s_add_co_i32 s2, s1, 1
	s_wait_alu 0xfffe
	s_cmp_ge_u32 s0, s12
	s_cselect_b32 s38, s2, s1
.LBB32_13:                              ;   in Loop: Header=BB32_9 Depth=1
	v_readfirstlane_b32 s17, v0
	s_wait_alu 0xfffe
	s_cmp_lg_u32 s16, s38
	s_mov_b32 s0, -1
                                        ; implicit-def: $sgpr29
                                        ; implicit-def: $vgpr6
                                        ; implicit-def: $vgpr7
                                        ; implicit-def: $sgpr23
                                        ; implicit-def: $sgpr33
	s_cbranch_scc1 .LBB32_16
; %bb.14:                               ;   in Loop: Header=BB32_9 Depth=1
	s_wait_alu 0xfffe
	s_and_not1_b32 vcc_lo, exec_lo, s0
	s_wait_alu 0xfffe
	s_cbranch_vccz .LBB32_19
.LBB32_15:                              ;   in Loop: Header=BB32_9 Depth=1
	s_and_not1_b32 vcc_lo, exec_lo, s29
	s_wait_alu 0xfffe
	s_cbranch_vccnz .LBB32_20
	s_branch .LBB32_23
.LBB32_16:                              ;   in Loop: Header=BB32_9 Depth=1
	s_add_co_i32 s0, s13, s34
	s_mov_b32 s1, s22
	s_wait_alu 0xfffe
	s_lshl_b32 s0, s0, 2
	v_max_num_f32_e64 v6, s28, s28
	s_wait_alu 0xfffe
	s_add_co_i32 s0, s0, s11
	s_mov_b32 s39, s22
	s_wait_alu 0xfffe
	s_lshl_b64 s[0:1], s[0:1], 3
	s_mul_u64 s[40:41], s[38:39], s[18:19]
	s_wait_alu 0xfffe
	s_add_nc_u64 s[0:1], s[6:7], s[0:1]
	s_mov_b32 s33, s16
	s_load_b64 s[36:37], s[0:1], 0x0
	v_readfirstlane_b32 s0, v6
	s_wait_kmcnt 0x0
	v_max_num_f32_e64 v7, s36, s36
	s_delay_alu instid0(VALU_DEP_1) | instskip(SKIP_2) | instid1(SALU_CYCLE_2)
	v_readfirstlane_b32 s1, v7
	s_max_num_f32 s17, s0, s1
	s_wait_alu 0xfffe
	s_sub_f32 s35, s28, s17
	s_sub_f32 s36, s36, s17
	s_wait_alu 0xfffe
	s_delay_alu instid0(SALU_CYCLE_1)
	s_cmp_nlt_f32 s35, 0xc2ce8ed0
	s_cselect_b32 s0, -1, 0
	s_cmp_ngt_f32 s35, 0x42b17218
	s_cselect_b32 s1, -1, 0
	s_cmp_ge_f32 s35, 0xc1a00000
	s_cselect_b32 s2, -1, 0
	s_cmp_nlt_f32 s36, 0xc2ce8ed0
	s_cselect_b32 s3, -1, 0
	s_cmp_ngt_f32 s36, 0x42b17218
	s_cselect_b32 s4, -1, 0
	s_cmp_ge_f32 s36, 0xc1a00000
	s_cselect_b32 s5, -1, 0
	s_add_co_i32 s23, s41, s38
	s_delay_alu instid0(SALU_CYCLE_1) | instskip(NEXT) | instid1(SALU_CYCLE_1)
	s_lshr_b32 s23, s23, s9
	s_mul_i32 s29, s23, s10
	s_wait_alu 0xfffe
	s_cmp_eq_u32 s29, s38
	s_cselect_b32 s29, -1, 0
	s_cmp_lt_u32 s23, s8
	s_cselect_b32 s23, -1, 0
	s_wait_alu 0xfffe
	s_or_b32 s23, s23, s29
	s_mov_b32 s29, -1
	s_and_b32 vcc_lo, exec_lo, s23
	s_mov_b32 s23, s34
	s_wait_alu 0xfffe
	s_cbranch_vccnz .LBB32_18
; %bb.17:                               ;   in Loop: Header=BB32_9 Depth=1
	s_add_co_i32 s23, s34, -1
	s_mov_b32 s29, 0
	s_mov_b32 s33, s38
.LBB32_18:                              ;   in Loop: Header=BB32_9 Depth=1
	v_mad_co_u64_u32 v[6:7], null, 0x180, s34, v[3:4]
	s_mul_f32 s38, s36, 0x3fb8aa3b
	s_mul_f32 s39, s35, 0x3fb8aa3b
	s_wait_alu 0xfffe
	s_delay_alu instid0(SALU_CYCLE_1)
	s_xor_b32 s40, s38, 0x80000000
	s_rndne_f32 s41, s38
	v_ashrrev_i32_e32 v7, 31, v6
	s_fmamk_f32 s40, s36, 0x3fb8aa3b, s40
	s_xor_b32 s42, s39, 0x80000000
	s_sub_f32 s38, s38, s41
	s_rndne_f32 s43, s39
	v_lshlrev_b64_e32 v[6:7], 2, v[6:7]
	s_fmamk_f32 s36, s36, 0x32a5705f, s40
	s_fmamk_f32 s40, s35, 0x3fb8aa3b, s42
	s_sub_f32 s39, s39, s43
	s_wait_alu 0xfffe
	s_add_f32 s36, s38, s36
	v_add_co_u32 v6, vcc_lo, s24, v6
	s_wait_alu 0xfffd
	v_add_co_ci_u32_e64 v7, null, s25, v7, vcc_lo
	s_fmamk_f32 s35, s35, 0x32a5705f, s40
	s_wait_alu 0xfffe
	v_s_exp_f32 s36, s36
	s_cvt_i32_f32 s38, s41
	global_load_b32 v6, v[6:7], off
	s_add_f32 s35, s39, s35
	s_wait_alu 0xfffe
	s_delay_alu instid0(SALU_CYCLE_2) | instskip(SKIP_2) | instid1(VALU_DEP_1)
	v_s_exp_f32 s35, s35
	v_ldexp_f32 v7, s36, s38
	s_cvt_i32_f32 s36, s43
	v_cndmask_b32_e64 v7, 0, v7, s3
	s_wait_alu 0xf1fe
	s_delay_alu instid0(TRANS32_DEP_1) | instid1(SALU_CYCLE_1)
	v_ldexp_f32 v8, s35, s36
	s_delay_alu instid0(VALU_DEP_2) | instskip(NEXT) | instid1(VALU_DEP_2)
	v_cndmask_b32_e64 v7, 0x7f800000, v7, s4
	v_cndmask_b32_e64 v8, 0, v8, s0
	s_delay_alu instid0(VALU_DEP_2) | instskip(NEXT) | instid1(VALU_DEP_2)
	v_cndmask_b32_e64 v7, 0, v7, s5
	v_cndmask_b32_e64 v8, 0x7f800000, v8, s1
	s_delay_alu instid0(VALU_DEP_1) | instskip(SKIP_1) | instid1(VALU_DEP_3)
	v_cndmask_b32_e64 v8, 0, v8, s2
	s_wait_loadcnt 0x0
	v_mul_f32_e32 v6, v6, v7
	v_mul_f32_e32 v7, s37, v7
	s_delay_alu instid0(VALU_DEP_1) | instskip(NEXT) | instid1(VALU_DEP_3)
	v_fmac_f32_e32 v7, v4, v8
	v_fmac_f32_e32 v6, v5, v8
	s_cbranch_execnz .LBB32_15
.LBB32_19:                              ;   in Loop: Header=BB32_9 Depth=1
	s_wait_loadcnt 0x0
	v_dual_mov_b32 v7, v4 :: v_dual_mov_b32 v6, v5
	s_add_co_i32 s23, s34, -1
	s_mov_b32 s33, s16
	s_mov_b32 s17, s28
	s_cbranch_execz .LBB32_23
.LBB32_20:                              ;   in Loop: Header=BB32_9 Depth=1
	s_wait_loadcnt 0x0
	v_dual_mov_b32 v4, v7 :: v_dual_mov_b32 v5, v6
	s_mov_b32 s16, s33
	s_mov_b32 s34, s23
	s_wait_alu 0xfffe
	s_mov_b32 s28, s17
	s_branch .LBB32_9
.LBB32_21:
                                        ; implicit-def: $sgpr16_sgpr17
	s_branch .LBB32_2
.LBB32_22:
                                        ; implicit-def: $sgpr20_sgpr21
	s_load_b96 s[8:10], s[0:1], 0x44
	s_branch .LBB32_5
.LBB32_23:
	v_div_scale_f32 v0, null, v7, v7, v6
	s_delay_alu instid0(VALU_DEP_1) | instskip(NEXT) | instid1(TRANS32_DEP_1)
	v_rcp_f32_e32 v3, v0
	v_fma_f32 v4, -v0, v3, 1.0
	s_delay_alu instid0(VALU_DEP_1) | instskip(SKIP_2) | instid1(VALU_DEP_1)
	v_fmac_f32_e32 v3, v4, v3
	v_div_scale_f32 v4, vcc_lo, v6, v7, v6
	s_wait_loadcnt 0x0
	v_mul_f32_e32 v5, v4, v3
	s_delay_alu instid0(VALU_DEP_1) | instskip(NEXT) | instid1(VALU_DEP_1)
	v_fma_f32 v8, -v0, v5, v4
	v_fmac_f32_e32 v5, v8, v3
	s_delay_alu instid0(VALU_DEP_1) | instskip(SKIP_1) | instid1(VALU_DEP_1)
	v_fma_f32 v0, -v0, v5, v4
	s_wait_alu 0xfffd
	v_div_fmas_f32 v0, v0, v3, v5
	s_delay_alu instid0(VALU_DEP_1)
	v_div_fixup_f32 v0, v0, v7, v6
	global_store_b32 v[1:2], v0, off
.LBB32_24:
	s_endpgm
	.section	.rodata,"a",@progbits
	.p2align	6, 0x0
	.amdhsa_kernel _ZL33flash_attn_stream_k_fixup_generalILi96ELi1ELi4EEvPfPK15HIP_vector_typeIfLj2EEiiiiS1_IjLj3EES5_S5_S5_
		.amdhsa_group_segment_fixed_size 0
		.amdhsa_private_segment_fixed_size 0
		.amdhsa_kernarg_size 336
		.amdhsa_user_sgpr_count 2
		.amdhsa_user_sgpr_dispatch_ptr 0
		.amdhsa_user_sgpr_queue_ptr 0
		.amdhsa_user_sgpr_kernarg_segment_ptr 1
		.amdhsa_user_sgpr_dispatch_id 0
		.amdhsa_user_sgpr_private_segment_size 0
		.amdhsa_wavefront_size32 1
		.amdhsa_uses_dynamic_stack 0
		.amdhsa_enable_private_segment 0
		.amdhsa_system_sgpr_workgroup_id_x 1
		.amdhsa_system_sgpr_workgroup_id_y 1
		.amdhsa_system_sgpr_workgroup_id_z 1
		.amdhsa_system_sgpr_workgroup_info 0
		.amdhsa_system_vgpr_workitem_id 0
		.amdhsa_next_free_vgpr 9
		.amdhsa_next_free_sgpr 44
		.amdhsa_reserve_vcc 1
		.amdhsa_float_round_mode_32 0
		.amdhsa_float_round_mode_16_64 0
		.amdhsa_float_denorm_mode_32 3
		.amdhsa_float_denorm_mode_16_64 3
		.amdhsa_fp16_overflow 0
		.amdhsa_workgroup_processor_mode 1
		.amdhsa_memory_ordered 1
		.amdhsa_forward_progress 1
		.amdhsa_inst_pref_size 28
		.amdhsa_round_robin_scheduling 0
		.amdhsa_exception_fp_ieee_invalid_op 0
		.amdhsa_exception_fp_denorm_src 0
		.amdhsa_exception_fp_ieee_div_zero 0
		.amdhsa_exception_fp_ieee_overflow 0
		.amdhsa_exception_fp_ieee_underflow 0
		.amdhsa_exception_fp_ieee_inexact 0
		.amdhsa_exception_int_div_zero 0
	.end_amdhsa_kernel
	.section	.text._ZL33flash_attn_stream_k_fixup_generalILi96ELi1ELi4EEvPfPK15HIP_vector_typeIfLj2EEiiiiS1_IjLj3EES5_S5_S5_,"axG",@progbits,_ZL33flash_attn_stream_k_fixup_generalILi96ELi1ELi4EEvPfPK15HIP_vector_typeIfLj2EEiiiiS1_IjLj3EES5_S5_S5_,comdat
.Lfunc_end32:
	.size	_ZL33flash_attn_stream_k_fixup_generalILi96ELi1ELi4EEvPfPK15HIP_vector_typeIfLj2EEiiiiS1_IjLj3EES5_S5_S5_, .Lfunc_end32-_ZL33flash_attn_stream_k_fixup_generalILi96ELi1ELi4EEvPfPK15HIP_vector_typeIfLj2EEiiiiS1_IjLj3EES5_S5_S5_
                                        ; -- End function
	.set _ZL33flash_attn_stream_k_fixup_generalILi96ELi1ELi4EEvPfPK15HIP_vector_typeIfLj2EEiiiiS1_IjLj3EES5_S5_S5_.num_vgpr, 9
	.set _ZL33flash_attn_stream_k_fixup_generalILi96ELi1ELi4EEvPfPK15HIP_vector_typeIfLj2EEiiiiS1_IjLj3EES5_S5_S5_.num_agpr, 0
	.set _ZL33flash_attn_stream_k_fixup_generalILi96ELi1ELi4EEvPfPK15HIP_vector_typeIfLj2EEiiiiS1_IjLj3EES5_S5_S5_.numbered_sgpr, 44
	.set _ZL33flash_attn_stream_k_fixup_generalILi96ELi1ELi4EEvPfPK15HIP_vector_typeIfLj2EEiiiiS1_IjLj3EES5_S5_S5_.num_named_barrier, 0
	.set _ZL33flash_attn_stream_k_fixup_generalILi96ELi1ELi4EEvPfPK15HIP_vector_typeIfLj2EEiiiiS1_IjLj3EES5_S5_S5_.private_seg_size, 0
	.set _ZL33flash_attn_stream_k_fixup_generalILi96ELi1ELi4EEvPfPK15HIP_vector_typeIfLj2EEiiiiS1_IjLj3EES5_S5_S5_.uses_vcc, 1
	.set _ZL33flash_attn_stream_k_fixup_generalILi96ELi1ELi4EEvPfPK15HIP_vector_typeIfLj2EEiiiiS1_IjLj3EES5_S5_S5_.uses_flat_scratch, 0
	.set _ZL33flash_attn_stream_k_fixup_generalILi96ELi1ELi4EEvPfPK15HIP_vector_typeIfLj2EEiiiiS1_IjLj3EES5_S5_S5_.has_dyn_sized_stack, 0
	.set _ZL33flash_attn_stream_k_fixup_generalILi96ELi1ELi4EEvPfPK15HIP_vector_typeIfLj2EEiiiiS1_IjLj3EES5_S5_S5_.has_recursion, 0
	.set _ZL33flash_attn_stream_k_fixup_generalILi96ELi1ELi4EEvPfPK15HIP_vector_typeIfLj2EEiiiiS1_IjLj3EES5_S5_S5_.has_indirect_call, 0
	.section	.AMDGPU.csdata,"",@progbits
; Kernel info:
; codeLenInByte = 3540
; TotalNumSgprs: 46
; NumVgprs: 9
; ScratchSize: 0
; MemoryBound: 0
; FloatMode: 240
; IeeeMode: 1
; LDSByteSize: 0 bytes/workgroup (compile time only)
; SGPRBlocks: 0
; VGPRBlocks: 1
; NumSGPRsForWavesPerEU: 46
; NumVGPRsForWavesPerEU: 9
; Occupancy: 16
; WaveLimiterHint : 0
; COMPUTE_PGM_RSRC2:SCRATCH_EN: 0
; COMPUTE_PGM_RSRC2:USER_SGPR: 2
; COMPUTE_PGM_RSRC2:TRAP_HANDLER: 0
; COMPUTE_PGM_RSRC2:TGID_X_EN: 1
; COMPUTE_PGM_RSRC2:TGID_Y_EN: 1
; COMPUTE_PGM_RSRC2:TGID_Z_EN: 1
; COMPUTE_PGM_RSRC2:TIDIG_COMP_CNT: 0
	.section	.text._ZL15flash_attn_tileILi96ELi96ELi32ELi2ELb0EEvPKcS1_S1_S1_S1_PKiPfP15HIP_vector_typeIfLj2EEffffjfiS5_IjLj3EEiiiiiiiiiiiliiliiiiil,"axG",@progbits,_ZL15flash_attn_tileILi96ELi96ELi32ELi2ELb0EEvPKcS1_S1_S1_S1_PKiPfP15HIP_vector_typeIfLj2EEffffjfiS5_IjLj3EEiiiiiiiiiiiliiliiiiil,comdat
	.globl	_ZL15flash_attn_tileILi96ELi96ELi32ELi2ELb0EEvPKcS1_S1_S1_S1_PKiPfP15HIP_vector_typeIfLj2EEffffjfiS5_IjLj3EEiiiiiiiiiiiliiliiiiil ; -- Begin function _ZL15flash_attn_tileILi96ELi96ELi32ELi2ELb0EEvPKcS1_S1_S1_S1_PKiPfP15HIP_vector_typeIfLj2EEffffjfiS5_IjLj3EEiiiiiiiiiiiliiliiiiil
	.p2align	8
	.type	_ZL15flash_attn_tileILi96ELi96ELi32ELi2ELb0EEvPKcS1_S1_S1_S1_PKiPfP15HIP_vector_typeIfLj2EEffffjfiS5_IjLj3EEiiiiiiiiiiiliiliiiiil,@function
_ZL15flash_attn_tileILi96ELi96ELi32ELi2ELb0EEvPKcS1_S1_S1_S1_PKiPfP15HIP_vector_typeIfLj2EEffffjfiS5_IjLj3EEiiiiiiiiiiiliiliiiiil: ; @_ZL15flash_attn_tileILi96ELi96ELi32ELi2ELb0EEvPKcS1_S1_S1_S1_PKiPfP15HIP_vector_typeIfLj2EEffffjfiS5_IjLj3EEiiiiiiiiiiiliiliiiiil
; %bb.0:
	s_clause 0x1
	s_load_b128 s[36:39], s[0:1], 0x5c
	s_load_b64 s[42:43], s[0:1], 0x80
	s_lshr_b32 s5, ttmp7, 16
	s_load_b512 s[16:31], s[0:1], 0x0
	s_mov_b32 s9, 0
	s_mov_b64 s[44:45], 0
	s_wait_kmcnt 0x0
	s_lshr_b32 s2, s39, 31
	s_delay_alu instid0(SALU_CYCLE_1) | instskip(NEXT) | instid1(SALU_CYCLE_1)
	s_add_co_i32 s2, s39, s2
	s_ashr_i32 s2, s2, 1
	s_delay_alu instid0(SALU_CYCLE_1) | instskip(SKIP_1) | instid1(SALU_CYCLE_2)
	s_cvt_f32_u32 s3, s2
	s_sub_co_i32 s4, 0, s2
	v_rcp_iflag_f32_e32 v1, s3
	s_delay_alu instid0(TRANS32_DEP_1) | instskip(SKIP_2) | instid1(SALU_CYCLE_2)
	v_readfirstlane_b32 s3, v1
	s_mul_f32 s3, s3, 0x4f7ffffe
	s_wait_alu 0xfffe
	s_cvt_u32_f32 s3, s3
	s_wait_alu 0xfffe
	s_delay_alu instid0(SALU_CYCLE_2) | instskip(NEXT) | instid1(SALU_CYCLE_1)
	s_mul_i32 s4, s4, s3
	s_mul_hi_u32 s4, s3, s4
	s_delay_alu instid0(SALU_CYCLE_1)
	s_add_co_i32 s3, s3, s4
	s_wait_alu 0xfffe
	s_mul_hi_u32 s3, s5, s3
	s_wait_alu 0xfffe
	s_mul_i32 s4, s3, s2
	s_add_co_i32 s6, s3, 1
	s_sub_co_i32 s4, s5, s4
	s_delay_alu instid0(SALU_CYCLE_1)
	s_sub_co_i32 s7, s4, s2
	s_cmp_ge_u32 s4, s2
	s_cselect_b32 s3, s6, s3
	s_cselect_b32 s4, s7, s4
	s_wait_alu 0xfffe
	s_add_co_i32 s6, s3, 1
	s_cmp_ge_u32 s4, s2
	s_cselect_b32 s40, s6, s3
	s_abs_i32 s2, s43
	s_abs_i32 s7, s39
	s_wait_alu 0xfffe
	s_cvt_f32_u32 s3, s2
	s_sub_co_i32 s4, 0, s2
	s_lshl_b32 s5, s5, 1
	s_mul_i32 s6, s40, s39
	s_wait_alu 0xfffe
	v_rcp_iflag_f32_e32 v1, s3
	s_sub_co_i32 s34, s5, s6
	s_delay_alu instid0(TRANS32_DEP_1) | instskip(SKIP_2) | instid1(SALU_CYCLE_2)
	v_readfirstlane_b32 s3, v1
	s_mul_f32 s3, s3, 0x4f7ffffe
	s_wait_alu 0xfffe
	s_cvt_u32_f32 s3, s3
	s_wait_alu 0xfffe
	s_delay_alu instid0(SALU_CYCLE_2) | instskip(NEXT) | instid1(SALU_CYCLE_1)
	s_mul_i32 s4, s4, s3
	s_mul_hi_u32 s4, s3, s4
	s_delay_alu instid0(SALU_CYCLE_1)
	s_add_co_i32 s3, s3, s4
	s_xor_b32 s4, s39, s43
	s_wait_alu 0xfffe
	s_mul_hi_u32 s3, s7, s3
	s_ashr_i32 s4, s4, 31
	s_wait_alu 0xfffe
	s_mul_i32 s5, s3, s2
	s_add_co_i32 s6, s3, 1
	s_sub_co_i32 s5, s7, s5
	s_delay_alu instid0(SALU_CYCLE_1)
	s_sub_co_i32 s7, s5, s2
	s_cmp_ge_u32 s5, s2
	s_cselect_b32 s3, s6, s3
	s_cselect_b32 s5, s7, s5
	s_wait_alu 0xfffe
	s_add_co_i32 s6, s3, 1
	s_cmp_ge_u32 s5, s2
	s_cselect_b32 s2, s6, s3
	s_wait_alu 0xfffe
	s_xor_b32 s2, s2, s4
	s_wait_alu 0xfffe
	s_sub_co_i32 s13, s2, s4
	s_load_b64 s[2:3], s[0:1], 0xb8
	s_abs_i32 s12, s13
	s_cmp_eq_u64 s[22:23], 0
	s_cvt_f32_u32 s4, s12
	s_delay_alu instid0(SALU_CYCLE_3) | instskip(NEXT) | instid1(TRANS32_DEP_1)
	v_rcp_iflag_f32_e32 v1, s4
	v_readfirstlane_b32 s8, v1
	s_cbranch_scc1 .LBB33_2
; %bb.1:
	s_wait_kmcnt 0x0
	s_abs_i32 s2, s2
	s_wait_alu 0xfffe
	s_cvt_f32_u32 s4, s2
	s_wait_alu 0xfffe
	s_delay_alu instid0(SALU_CYCLE_2) | instskip(NEXT) | instid1(TRANS32_DEP_1)
	v_rcp_iflag_f32_e32 v1, s4
	v_readfirstlane_b32 s4, v1
	s_mul_f32 s4, s4, 0x4f7ffffe
	s_wait_alu 0xfffe
	s_delay_alu instid0(SALU_CYCLE_2) | instskip(SKIP_2) | instid1(SALU_CYCLE_1)
	s_cvt_u32_f32 s6, s4
	s_sub_co_i32 s4, 0, s2
	s_wait_alu 0xfffe
	s_mul_i32 s4, s4, s6
	s_wait_alu 0xfffe
	s_mul_hi_u32 s7, s6, s4
	s_load_b64 s[4:5], s[0:1], 0xc8
	s_add_co_i32 s6, s6, s7
	s_delay_alu instid0(SALU_CYCLE_1) | instskip(NEXT) | instid1(SALU_CYCLE_1)
	s_mul_hi_u32 s6, s40, s6
	s_mul_i32 s6, s6, s2
	s_delay_alu instid0(SALU_CYCLE_1) | instskip(NEXT) | instid1(SALU_CYCLE_1)
	s_sub_co_i32 s6, s40, s6
	s_sub_co_i32 s7, s6, s2
	s_cmp_ge_u32 s6, s2
	s_cselect_b32 s6, s7, s6
	s_delay_alu instid0(SALU_CYCLE_1) | instskip(SKIP_2) | instid1(SALU_CYCLE_1)
	s_sub_co_i32 s7, s6, s2
	s_cmp_ge_u32 s6, s2
	s_cselect_b32 s6, s7, s6
	s_ashr_i32 s7, s6, 31
	s_wait_kmcnt 0x0
	s_mul_u64 s[4:5], s[4:5], s[6:7]
	s_wait_alu 0xfffe
	s_add_nc_u64 s[44:45], s[22:23], s[4:5]
.LBB33_2:
	s_clause 0x1
	s_load_b96 s[48:50], s[0:1], 0x70
	s_load_b32 s14, s[0:1], 0x40
	v_and_b32_e32 v119, 0x3ff, v0
	v_bfe_u32 v0, v0, 10, 10
	s_lshl_b32 s33, ttmp9, 5
	s_delay_alu instid0(VALU_DEP_2) | instskip(SKIP_3) | instid1(VALU_DEP_3)
	v_lshlrev_b32_e32 v104, 2, v119
	s_wait_kmcnt 0x0
	v_cmp_gt_u32_e64 s2, 24, v119
	v_lshlrev_b32_e32 v121, 3, v119
	v_lshlrev_b32_e32 v2, 2, v104
	s_mul_i32 s4, s40, s50
	s_mul_i32 s10, s34, s49
	s_wait_alu 0xfffe
	s_ashr_i32 s5, s4, 31
	s_ashr_i32 s7, s49, 31
	s_mov_b32 s6, s49
	s_ashr_i32 s49, s48, 31
	s_ashr_i32 s11, s10, 31
	s_wait_alu 0xfffe
	s_add_nc_u64 s[4:5], s[16:17], s[4:5]
	s_lshr_b64 s[6:7], s[6:7], 2
	s_wait_alu 0xfffe
	s_add_nc_u64 s[4:5], s[4:5], s[10:11]
	s_lshr_b64 s[10:11], s[48:49], 2
	s_and_saveexec_b32 s15, s2
	s_cbranch_execz .LBB33_4
; %bb.3:
	v_lshl_add_u32 v1, v0, 2, s33
	s_lshl_b64 s[16:17], s[6:7], 2
	s_wait_alu 0xfffe
	s_add_nc_u64 s[16:17], s[4:5], s[16:17]
	s_delay_alu instid0(VALU_DEP_1) | instskip(NEXT) | instid1(VALU_DEP_1)
	v_mul_hi_u32 v3, v1, s36
	v_add_nc_u32_e32 v3, v1, v3
	s_delay_alu instid0(VALU_DEP_1) | instskip(NEXT) | instid1(VALU_DEP_1)
	v_lshrrev_b32_e32 v3, s37, v3
	v_mul_lo_u32 v3, v3, s38
	s_delay_alu instid0(VALU_DEP_1) | instskip(NEXT) | instid1(VALU_DEP_1)
	v_sub_nc_u32_e32 v5, v1, v3
	v_mad_co_u64_u32 v[3:4], null, s10, v5, 0
	s_delay_alu instid0(VALU_DEP_1) | instskip(NEXT) | instid1(VALU_DEP_1)
	v_mov_b32_e32 v1, v4
	v_mad_co_u64_u32 v[4:5], null, s11, v5, v[1:2]
	s_delay_alu instid0(VALU_DEP_1) | instskip(NEXT) | instid1(VALU_DEP_1)
	v_lshlrev_b64_e32 v[3:4], 2, v[3:4]
	v_add_co_u32 v1, vcc_lo, s4, v3
	s_delay_alu instid0(VALU_DEP_1)
	v_add_co_ci_u32_e64 v5, null, s5, v4, vcc_lo
	v_add_co_u32 v6, vcc_lo, s16, v3
	s_wait_alu 0xfffd
	v_add_co_ci_u32_e64 v8, null, s17, v4, vcc_lo
	v_add_co_u32 v3, vcc_lo, v1, v2
	s_wait_alu 0xfffd
	;; [unrolled: 3-line block ×3, first 2 shown]
	v_add_co_ci_u32_e64 v8, null, 0, v8, vcc_lo
	s_clause 0x1
	global_load_b128 v[3:6], v[3:4], off
	global_load_b128 v[7:10], v[7:8], off
	s_wait_loadcnt 0x1
	v_fma_mixlo_f16 v1, s14, v3, 0
	v_fma_mixlo_f16 v3, s14, v4, 0
	;; [unrolled: 1-line block ×4, first 2 shown]
	s_wait_loadcnt 0x0
	v_fma_mixlo_f16 v6, s14, v7, 0
	v_fma_mixlo_f16 v7, s14, v8, 0
	v_fma_mixlo_f16 v8, s14, v9, 0
	v_fma_mixlo_f16 v9, s14, v10, 0
	v_lshlrev_b32_e32 v3, 16, v3
	v_and_b32_e32 v1, 0xffff, v1
	v_lshlrev_b32_e32 v7, 16, v7
	v_and_b32_e32 v6, 0xffff, v6
	;; [unrolled: 2-line block ×4, first 2 shown]
	v_or_b32_e32 v1, v3, v1
	v_or_b32_e32 v7, v7, v6
	v_mad_u32_u24 v10, 0x600, v0, v121
	v_or3_b32 v4, v5, v4, 0
	v_or3_b32 v6, v9, v8, 0
	;; [unrolled: 1-line block ×4, first 2 shown]
	ds_store_2addr_b64 v10, v[3:4], v[5:6] offset1:24
.LBB33_4:
	s_or_b32 exec_lo, exec_lo, s15
	v_lshlrev_b32_e32 v1, 3, v0
	s_delay_alu instid0(VALU_DEP_1) | instskip(NEXT) | instid1(VALU_DEP_1)
	v_or_b32_e32 v3, 2, v1
	v_lshrrev_b32_e32 v118, 1, v3
	s_and_saveexec_b32 s15, s2
	s_cbranch_execnz .LBB33_16
; %bb.5:
	s_wait_alu 0xfffe
	s_or_b32 exec_lo, exec_lo, s15
	v_or_b32_e32 v117, 3, v1
	s_and_saveexec_b32 s15, s2
	s_cbranch_execnz .LBB33_17
.LBB33_6:
	s_wait_alu 0xfffe
	s_or_b32 exec_lo, exec_lo, s15
	v_or_b32_e32 v116, 4, v1
	s_and_saveexec_b32 s15, s2
	s_cbranch_execnz .LBB33_18
.LBB33_7:
	s_wait_alu 0xfffe
	s_or_b32 exec_lo, exec_lo, s15
	v_or_b32_e32 v115, 5, v1
	s_and_saveexec_b32 s15, s2
	s_cbranch_execnz .LBB33_19
.LBB33_8:
	s_wait_alu 0xfffe
	s_or_b32 exec_lo, exec_lo, s15
	v_or_b32_e32 v114, 6, v1
	s_and_saveexec_b32 s15, s2
	s_cbranch_execnz .LBB33_20
.LBB33_9:
	s_wait_alu 0xfffe
	s_or_b32 exec_lo, exec_lo, s15
	v_or_b32_e32 v113, 7, v1
	s_and_saveexec_b32 s15, s2
	s_cbranch_execz .LBB33_11
.LBB33_10:
	s_delay_alu instid0(VALU_DEP_1) | instskip(SKIP_3) | instid1(VALU_DEP_2)
	v_lshrrev_b32_e32 v3, 1, v113
	s_lshl_b64 s[6:7], s[6:7], 2
	v_mad_u32_u24 v6, 0xc0, v113, v121
	s_add_nc_u64 s[4:5], s[4:5], s[6:7]
	v_add_nc_u32_e32 v3, s33, v3
	s_delay_alu instid0(VALU_DEP_1) | instskip(NEXT) | instid1(VALU_DEP_1)
	v_mul_hi_u32 v4, v3, s36
	v_add_nc_u32_e32 v4, v3, v4
	s_delay_alu instid0(VALU_DEP_1) | instskip(NEXT) | instid1(VALU_DEP_1)
	v_lshrrev_b32_e32 v4, s37, v4
	v_mul_lo_u32 v4, v4, s38
	s_delay_alu instid0(VALU_DEP_1) | instskip(NEXT) | instid1(VALU_DEP_1)
	v_sub_nc_u32_e32 v5, v3, v4
	v_mad_co_u64_u32 v[3:4], null, s10, v5, 0
	s_delay_alu instid0(VALU_DEP_1) | instskip(NEXT) | instid1(VALU_DEP_1)
	v_mad_co_u64_u32 v[4:5], null, s11, v5, v[4:5]
	v_lshlrev_b64_e32 v[3:4], 2, v[3:4]
	s_wait_alu 0xfffe
	s_delay_alu instid0(VALU_DEP_1) | instskip(SKIP_1) | instid1(VALU_DEP_2)
	v_add_co_u32 v3, vcc_lo, s4, v3
	s_wait_alu 0xfffd
	v_add_co_ci_u32_e64 v4, null, s5, v4, vcc_lo
	s_delay_alu instid0(VALU_DEP_2) | instskip(SKIP_1) | instid1(VALU_DEP_2)
	v_add_co_u32 v2, vcc_lo, v3, v2
	s_wait_alu 0xfffd
	v_add_co_ci_u32_e64 v3, null, 0, v4, vcc_lo
	global_load_b128 v[2:5], v[2:3], off
	s_wait_loadcnt 0x0
	v_fma_mixlo_f16 v3, s14, v3, 0
	v_fma_mixlo_f16 v2, s14, v2, 0
	;; [unrolled: 1-line block ×4, first 2 shown]
	s_delay_alu instid0(VALU_DEP_4) | instskip(NEXT) | instid1(VALU_DEP_4)
	v_lshlrev_b32_e32 v3, 16, v3
	v_and_b32_e32 v2, 0xffff, v2
	s_delay_alu instid0(VALU_DEP_4) | instskip(NEXT) | instid1(VALU_DEP_4)
	v_and_b32_e32 v4, 0xffff, v4
	v_lshlrev_b32_e32 v5, 16, v5
	s_delay_alu instid0(VALU_DEP_3) | instskip(NEXT) | instid1(VALU_DEP_2)
	v_or_b32_e32 v2, v3, v2
	v_or3_b32 v3, v5, v4, 0
	s_delay_alu instid0(VALU_DEP_2)
	v_or3_b32 v2, 0, 0, v2
	ds_store_b64 v6, v[2:3]
.LBB33_11:
	s_wait_alu 0xfffe
	s_or_b32 exec_lo, exec_lo, s15
	s_cmp_eq_u64 s[26:27], 0
	s_wait_dscnt 0x0
	s_barrier_signal -1
	s_barrier_wait -1
	global_inv scope:SCOPE_SE
	s_cbranch_scc1 .LBB33_13
; %bb.12:
	s_load_b32 s4, s[0:1], 0xd0
	s_mov_b32 s5, 0
	s_wait_kmcnt 0x0
	s_mul_i32 s4, s4, s40
	s_wait_alu 0xfffe
	s_add_co_i32 s4, s4, ttmp9
	s_wait_alu 0xfffe
	s_lshl_b64 s[4:5], s[4:5], 2
	s_wait_alu 0xfffe
	s_add_nc_u64 s[4:5], s[26:27], s[4:5]
	s_load_b32 s42, s[4:5], 0x0
.LBB33_13:
	s_and_b32 s26, ttmp7, 0xffff
	v_mbcnt_lo_u32_b32 v129, -1, 0
	s_lshl_b32 s46, s26, 5
	s_wait_kmcnt 0x0
	s_cmp_lt_i32 s46, s42
	s_cbranch_scc1 .LBB33_21
; %bb.14:
	v_mbcnt_lo_u32_b32 v8, -1, 0
	v_mov_b32_e32 v128, 32
	s_delay_alu instid0(VALU_DEP_2)
	v_xor_b32_e32 v165, 16, v8
	v_xor_b32_e32 v163, 8, v8
	;; [unrolled: 1-line block ×5, first 2 shown]
	v_lshlrev_b32_e32 v120, 2, v0
	s_mov_b32 s41, 0
	s_cbranch_execz .LBB33_22
; %bb.15:
	v_dual_mov_b32 v153, 0 :: v_dual_mov_b32 v168, 0
	v_dual_mov_b32 v7, 0xfeffffff :: v_dual_mov_b32 v6, 0xfeffffff
	;; [unrolled: 1-line block ×16, first 2 shown]
	s_branch .LBB33_42
.LBB33_16:
	s_delay_alu instid0(VALU_DEP_1) | instskip(SKIP_1) | instid1(VALU_DEP_2)
	v_add_nc_u32_e32 v4, s33, v118
	v_mad_u32_u24 v8, 0xc0, v3, v121
	v_mul_hi_u32 v5, v4, s36
	s_delay_alu instid0(VALU_DEP_1) | instskip(NEXT) | instid1(VALU_DEP_1)
	v_add_nc_u32_e32 v5, v4, v5
	v_lshrrev_b32_e32 v5, s37, v5
	s_delay_alu instid0(VALU_DEP_1) | instskip(NEXT) | instid1(VALU_DEP_1)
	v_mul_lo_u32 v5, v5, s38
	v_sub_nc_u32_e32 v6, v4, v5
	s_delay_alu instid0(VALU_DEP_1) | instskip(NEXT) | instid1(VALU_DEP_1)
	v_mad_co_u64_u32 v[4:5], null, s10, v6, 0
	v_mad_co_u64_u32 v[5:6], null, s11, v6, v[5:6]
	s_delay_alu instid0(VALU_DEP_1) | instskip(SKIP_1) | instid1(VALU_DEP_1)
	v_lshlrev_b64_e32 v[4:5], 2, v[4:5]
	s_wait_alu 0xfffe
	v_add_co_u32 v4, vcc_lo, s4, v4
	s_wait_alu 0xfffd
	s_delay_alu instid0(VALU_DEP_2) | instskip(NEXT) | instid1(VALU_DEP_2)
	v_add_co_ci_u32_e64 v5, null, s5, v5, vcc_lo
	v_add_co_u32 v4, vcc_lo, v4, v2
	s_wait_alu 0xfffd
	s_delay_alu instid0(VALU_DEP_2)
	v_add_co_ci_u32_e64 v5, null, 0, v5, vcc_lo
	global_load_b128 v[4:7], v[4:5], off
	s_wait_loadcnt 0x0
	v_fma_mixlo_f16 v5, s14, v5, 0
	v_fma_mixlo_f16 v4, s14, v4, 0
	v_fma_mixlo_f16 v6, s14, v6, 0
	v_fma_mixlo_f16 v7, s14, v7, 0
	s_delay_alu instid0(VALU_DEP_4) | instskip(NEXT) | instid1(VALU_DEP_4)
	v_lshlrev_b32_e32 v5, 16, v5
	v_and_b32_e32 v4, 0xffff, v4
	s_delay_alu instid0(VALU_DEP_4) | instskip(NEXT) | instid1(VALU_DEP_4)
	v_and_b32_e32 v6, 0xffff, v6
	v_lshlrev_b32_e32 v7, 16, v7
	s_delay_alu instid0(VALU_DEP_3) | instskip(NEXT) | instid1(VALU_DEP_2)
	v_or_b32_e32 v5, v5, v4
	v_or3_b32 v4, v7, v6, 0
	s_delay_alu instid0(VALU_DEP_2)
	v_or3_b32 v3, 0, 0, v5
	ds_store_b64 v8, v[3:4]
	s_or_b32 exec_lo, exec_lo, s15
	v_or_b32_e32 v117, 3, v1
	s_and_saveexec_b32 s15, s2
	s_cbranch_execz .LBB33_6
.LBB33_17:
	s_delay_alu instid0(VALU_DEP_1)
	v_lshrrev_b32_e32 v3, 1, v117
	s_lshl_b64 s[16:17], s[6:7], 2
	v_mad_u32_u24 v7, 0xc0, v117, v121
	s_wait_alu 0xfffe
	s_add_nc_u64 s[16:17], s[4:5], s[16:17]
	v_add_nc_u32_e32 v3, s33, v3
	s_delay_alu instid0(VALU_DEP_1) | instskip(NEXT) | instid1(VALU_DEP_1)
	v_mul_hi_u32 v4, v3, s36
	v_add_nc_u32_e32 v4, v3, v4
	s_delay_alu instid0(VALU_DEP_1) | instskip(NEXT) | instid1(VALU_DEP_1)
	v_lshrrev_b32_e32 v4, s37, v4
	v_mul_lo_u32 v4, v4, s38
	s_delay_alu instid0(VALU_DEP_1) | instskip(NEXT) | instid1(VALU_DEP_1)
	v_sub_nc_u32_e32 v5, v3, v4
	v_mad_co_u64_u32 v[3:4], null, s10, v5, 0
	s_delay_alu instid0(VALU_DEP_1) | instskip(NEXT) | instid1(VALU_DEP_1)
	v_mad_co_u64_u32 v[4:5], null, s11, v5, v[4:5]
	v_lshlrev_b64_e32 v[3:4], 2, v[3:4]
	s_wait_alu 0xfffe
	s_delay_alu instid0(VALU_DEP_1) | instskip(SKIP_1) | instid1(VALU_DEP_2)
	v_add_co_u32 v3, vcc_lo, s16, v3
	s_wait_alu 0xfffd
	v_add_co_ci_u32_e64 v4, null, s17, v4, vcc_lo
	s_delay_alu instid0(VALU_DEP_2) | instskip(SKIP_1) | instid1(VALU_DEP_2)
	v_add_co_u32 v3, vcc_lo, v3, v2
	s_wait_alu 0xfffd
	v_add_co_ci_u32_e64 v4, null, 0, v4, vcc_lo
	global_load_b128 v[3:6], v[3:4], off
	s_wait_loadcnt 0x0
	v_fma_mixlo_f16 v4, s14, v4, 0
	v_fma_mixlo_f16 v3, s14, v3, 0
	;; [unrolled: 1-line block ×4, first 2 shown]
	s_delay_alu instid0(VALU_DEP_4) | instskip(NEXT) | instid1(VALU_DEP_4)
	v_lshlrev_b32_e32 v4, 16, v4
	v_and_b32_e32 v3, 0xffff, v3
	s_delay_alu instid0(VALU_DEP_4) | instskip(NEXT) | instid1(VALU_DEP_4)
	v_and_b32_e32 v5, 0xffff, v5
	v_lshlrev_b32_e32 v6, 16, v6
	s_delay_alu instid0(VALU_DEP_3) | instskip(NEXT) | instid1(VALU_DEP_2)
	v_or_b32_e32 v3, v4, v3
	v_or3_b32 v4, v6, v5, 0
	s_delay_alu instid0(VALU_DEP_2)
	v_or3_b32 v3, 0, 0, v3
	ds_store_b64 v7, v[3:4]
	s_or_b32 exec_lo, exec_lo, s15
	v_or_b32_e32 v116, 4, v1
	s_and_saveexec_b32 s15, s2
	s_cbranch_execz .LBB33_7
.LBB33_18:
	s_delay_alu instid0(VALU_DEP_1) | instskip(SKIP_1) | instid1(VALU_DEP_2)
	v_lshrrev_b32_e32 v3, 1, v116
	v_mad_u32_u24 v7, 0xc0, v116, v121
	v_add_nc_u32_e32 v3, s33, v3
	s_delay_alu instid0(VALU_DEP_1) | instskip(NEXT) | instid1(VALU_DEP_1)
	v_mul_hi_u32 v4, v3, s36
	v_add_nc_u32_e32 v4, v3, v4
	s_delay_alu instid0(VALU_DEP_1) | instskip(NEXT) | instid1(VALU_DEP_1)
	v_lshrrev_b32_e32 v4, s37, v4
	v_mul_lo_u32 v4, v4, s38
	s_delay_alu instid0(VALU_DEP_1) | instskip(NEXT) | instid1(VALU_DEP_1)
	v_sub_nc_u32_e32 v5, v3, v4
	v_mad_co_u64_u32 v[3:4], null, s10, v5, 0
	s_delay_alu instid0(VALU_DEP_1) | instskip(NEXT) | instid1(VALU_DEP_1)
	v_mad_co_u64_u32 v[4:5], null, s11, v5, v[4:5]
	v_lshlrev_b64_e32 v[3:4], 2, v[3:4]
	s_delay_alu instid0(VALU_DEP_1) | instskip(SKIP_1) | instid1(VALU_DEP_2)
	v_add_co_u32 v3, vcc_lo, s4, v3
	s_wait_alu 0xfffd
	v_add_co_ci_u32_e64 v4, null, s5, v4, vcc_lo
	s_delay_alu instid0(VALU_DEP_2) | instskip(SKIP_1) | instid1(VALU_DEP_2)
	v_add_co_u32 v3, vcc_lo, v3, v2
	s_wait_alu 0xfffd
	v_add_co_ci_u32_e64 v4, null, 0, v4, vcc_lo
	global_load_b128 v[3:6], v[3:4], off
	s_wait_loadcnt 0x0
	v_fma_mixlo_f16 v4, s14, v4, 0
	v_fma_mixlo_f16 v3, s14, v3, 0
	;; [unrolled: 1-line block ×4, first 2 shown]
	s_delay_alu instid0(VALU_DEP_4) | instskip(NEXT) | instid1(VALU_DEP_4)
	v_lshlrev_b32_e32 v4, 16, v4
	v_and_b32_e32 v3, 0xffff, v3
	s_delay_alu instid0(VALU_DEP_4) | instskip(NEXT) | instid1(VALU_DEP_4)
	v_and_b32_e32 v5, 0xffff, v5
	v_lshlrev_b32_e32 v6, 16, v6
	s_delay_alu instid0(VALU_DEP_3) | instskip(NEXT) | instid1(VALU_DEP_2)
	v_or_b32_e32 v3, v4, v3
	v_or3_b32 v4, v6, v5, 0
	s_delay_alu instid0(VALU_DEP_2)
	v_or3_b32 v3, 0, 0, v3
	ds_store_b64 v7, v[3:4]
	s_wait_alu 0xfffe
	s_or_b32 exec_lo, exec_lo, s15
	v_or_b32_e32 v115, 5, v1
	s_and_saveexec_b32 s15, s2
	s_cbranch_execz .LBB33_8
.LBB33_19:
	s_delay_alu instid0(VALU_DEP_1)
	v_lshrrev_b32_e32 v3, 1, v115
	s_lshl_b64 s[16:17], s[6:7], 2
	v_mad_u32_u24 v7, 0xc0, v115, v121
	s_wait_alu 0xfffe
	s_add_nc_u64 s[16:17], s[4:5], s[16:17]
	v_add_nc_u32_e32 v3, s33, v3
	s_delay_alu instid0(VALU_DEP_1) | instskip(NEXT) | instid1(VALU_DEP_1)
	v_mul_hi_u32 v4, v3, s36
	v_add_nc_u32_e32 v4, v3, v4
	s_delay_alu instid0(VALU_DEP_1) | instskip(NEXT) | instid1(VALU_DEP_1)
	v_lshrrev_b32_e32 v4, s37, v4
	v_mul_lo_u32 v4, v4, s38
	s_delay_alu instid0(VALU_DEP_1) | instskip(NEXT) | instid1(VALU_DEP_1)
	v_sub_nc_u32_e32 v5, v3, v4
	v_mad_co_u64_u32 v[3:4], null, s10, v5, 0
	s_delay_alu instid0(VALU_DEP_1) | instskip(NEXT) | instid1(VALU_DEP_1)
	v_mad_co_u64_u32 v[4:5], null, s11, v5, v[4:5]
	v_lshlrev_b64_e32 v[3:4], 2, v[3:4]
	s_wait_alu 0xfffe
	s_delay_alu instid0(VALU_DEP_1) | instskip(SKIP_1) | instid1(VALU_DEP_2)
	v_add_co_u32 v3, vcc_lo, s16, v3
	s_wait_alu 0xfffd
	v_add_co_ci_u32_e64 v4, null, s17, v4, vcc_lo
	s_delay_alu instid0(VALU_DEP_2) | instskip(SKIP_1) | instid1(VALU_DEP_2)
	v_add_co_u32 v3, vcc_lo, v3, v2
	s_wait_alu 0xfffd
	v_add_co_ci_u32_e64 v4, null, 0, v4, vcc_lo
	global_load_b128 v[3:6], v[3:4], off
	s_wait_loadcnt 0x0
	v_fma_mixlo_f16 v4, s14, v4, 0
	v_fma_mixlo_f16 v3, s14, v3, 0
	;; [unrolled: 1-line block ×4, first 2 shown]
	s_delay_alu instid0(VALU_DEP_4) | instskip(NEXT) | instid1(VALU_DEP_4)
	v_lshlrev_b32_e32 v4, 16, v4
	v_and_b32_e32 v3, 0xffff, v3
	s_delay_alu instid0(VALU_DEP_4) | instskip(NEXT) | instid1(VALU_DEP_4)
	v_and_b32_e32 v5, 0xffff, v5
	v_lshlrev_b32_e32 v6, 16, v6
	s_delay_alu instid0(VALU_DEP_3) | instskip(NEXT) | instid1(VALU_DEP_2)
	v_or_b32_e32 v3, v4, v3
	v_or3_b32 v4, v6, v5, 0
	s_delay_alu instid0(VALU_DEP_2)
	v_or3_b32 v3, 0, 0, v3
	ds_store_b64 v7, v[3:4]
	s_or_b32 exec_lo, exec_lo, s15
	v_or_b32_e32 v114, 6, v1
	s_and_saveexec_b32 s15, s2
	s_cbranch_execz .LBB33_9
.LBB33_20:
	s_delay_alu instid0(VALU_DEP_1) | instskip(SKIP_1) | instid1(VALU_DEP_2)
	v_lshrrev_b32_e32 v3, 1, v114
	v_mad_u32_u24 v7, 0xc0, v114, v121
	v_add_nc_u32_e32 v3, s33, v3
	s_delay_alu instid0(VALU_DEP_1) | instskip(NEXT) | instid1(VALU_DEP_1)
	v_mul_hi_u32 v4, v3, s36
	v_add_nc_u32_e32 v4, v3, v4
	s_delay_alu instid0(VALU_DEP_1) | instskip(NEXT) | instid1(VALU_DEP_1)
	v_lshrrev_b32_e32 v4, s37, v4
	v_mul_lo_u32 v4, v4, s38
	s_delay_alu instid0(VALU_DEP_1) | instskip(NEXT) | instid1(VALU_DEP_1)
	v_sub_nc_u32_e32 v5, v3, v4
	v_mad_co_u64_u32 v[3:4], null, s10, v5, 0
	s_delay_alu instid0(VALU_DEP_1) | instskip(NEXT) | instid1(VALU_DEP_1)
	v_mad_co_u64_u32 v[4:5], null, s11, v5, v[4:5]
	v_lshlrev_b64_e32 v[3:4], 2, v[3:4]
	s_delay_alu instid0(VALU_DEP_1) | instskip(SKIP_1) | instid1(VALU_DEP_2)
	v_add_co_u32 v3, vcc_lo, s4, v3
	s_wait_alu 0xfffd
	v_add_co_ci_u32_e64 v4, null, s5, v4, vcc_lo
	s_delay_alu instid0(VALU_DEP_2) | instskip(SKIP_1) | instid1(VALU_DEP_2)
	v_add_co_u32 v3, vcc_lo, v3, v2
	s_wait_alu 0xfffd
	v_add_co_ci_u32_e64 v4, null, 0, v4, vcc_lo
	global_load_b128 v[3:6], v[3:4], off
	s_wait_loadcnt 0x0
	v_fma_mixlo_f16 v4, s14, v4, 0
	v_fma_mixlo_f16 v3, s14, v3, 0
	;; [unrolled: 1-line block ×4, first 2 shown]
	s_delay_alu instid0(VALU_DEP_4) | instskip(NEXT) | instid1(VALU_DEP_4)
	v_lshlrev_b32_e32 v4, 16, v4
	v_and_b32_e32 v3, 0xffff, v3
	s_delay_alu instid0(VALU_DEP_4) | instskip(NEXT) | instid1(VALU_DEP_4)
	v_and_b32_e32 v5, 0xffff, v5
	v_lshlrev_b32_e32 v6, 16, v6
	s_delay_alu instid0(VALU_DEP_3) | instskip(NEXT) | instid1(VALU_DEP_2)
	v_or_b32_e32 v3, v4, v3
	v_or3_b32 v4, v6, v5, 0
	s_delay_alu instid0(VALU_DEP_2)
	v_or3_b32 v3, 0, 0, v3
	ds_store_b64 v7, v[3:4]
	s_wait_alu 0xfffe
	s_or_b32 exec_lo, exec_lo, s15
	v_or_b32_e32 v113, 7, v1
	s_and_saveexec_b32 s15, s2
	s_cbranch_execnz .LBB33_10
	s_branch .LBB33_11
.LBB33_21:
                                        ; implicit-def: $vgpr8
                                        ; implicit-def: $vgpr128
                                        ; implicit-def: $vgpr165
                                        ; implicit-def: $vgpr163
                                        ; implicit-def: $vgpr164
                                        ; implicit-def: $vgpr166
                                        ; implicit-def: $vgpr167
	v_lshlrev_b32_e32 v120, 2, v0
	s_mov_b32 s41, 0
.LBB33_22:
	s_delay_alu instid0(VALU_DEP_1)
	v_dual_mov_b32 v125, 0 :: v_dual_add_nc_u32 v4, s33, v120
	s_clause 0x1
	s_load_b128 s[4:7], s[0:1], 0x98
	s_load_b64 s[10:11], s[0:1], 0x8c
	v_lshrrev_b32_e32 v2, 1, v119
	v_lshrrev_b32_e32 v3, 2, v119
	v_add_nc_u32_e32 v5, 1, v4
	v_dual_mov_b32 v122, 0 :: v_dual_and_b32 v7, 4, v104
	s_delay_alu instid0(VALU_DEP_4) | instskip(NEXT) | instid1(VALU_DEP_4)
	v_lshl_add_u32 v2, v0, 4, v2
	v_dual_mov_b32 v123, 0 :: v_dual_add_nc_u32 v6, v3, v1
	s_delay_alu instid0(VALU_DEP_4) | instskip(NEXT) | instid1(VALU_DEP_4)
	v_mul_hi_u32 v11, s36, v5
	v_dual_mov_b32 v128, 32 :: v_dual_lshlrev_b32 v3, 2, v7
	s_delay_alu instid0(VALU_DEP_4) | instskip(SKIP_3) | instid1(VALU_DEP_4)
	v_mul_u32_u24_e32 v1, 0x70, v2
	v_dual_mov_b32 v127, 0 :: v_dual_add_nc_u32 v8, 2, v4
	v_dual_mov_b32 v124, 0 :: v_dual_add_nc_u32 v9, 3, v4
	v_mul_hi_u32 v10, s36, v4
	v_add3_u32 v136, v1, v3, 0x4040
	v_dual_mov_b32 v126, 0 :: v_dual_add_nc_u32 v3, v5, v11
	v_mul_hi_u32 v12, s36, v8
	v_mul_hi_u32 v13, s36, v9
	s_mul_f32 s8, s8, 0x4f7ffffe
	s_wait_kmcnt 0x0
	s_ashr_i32 s50, s10, 2
	v_cmp_gt_u32_e32 vcc_lo, 32, v2
	v_mul_lo_u32 v1, s50, v2
	v_dual_mov_b32 v133, 0 :: v_dual_add_nc_u32 v2, v4, v10
	v_lshrrev_b32_e32 v3, s37, v3
	s_cvt_u32_f32 s14, s8
	s_sub_co_i32 s16, 0, s12
	v_dual_mov_b32 v130, 0 :: v_dual_add_nc_u32 v11, v8, v12
	v_dual_mov_b32 v147, 0 :: v_dual_add_nc_u32 v12, v9, v13
	v_lshrrev_b32_e32 v2, s37, v2
	v_mul_lo_u32 v16, v3, s38
	s_wait_alu 0xfffe
	s_mul_i32 s16, s16, s14
	v_dual_mov_b32 v131, 0 :: v_dual_and_b32 v14, 12, v104
	s_wait_alu 0xfffe
	s_mul_hi_u32 s16, s14, s16
	s_abs_i32 s8, s34
	s_mov_b32 s15, s9
	s_wait_alu 0xfffe
	s_add_co_i32 s14, s14, s16
	v_lshrrev_b32_e32 v12, s37, v12
	v_mul_lo_u32 v15, v2, s38
	s_wait_alu 0xfffe
	s_mul_u64 s[14:15], s[8:9], s[14:15]
	v_mul_u32_u24_e32 v10, 0x70, v6
	v_dual_mov_b32 v132, 0 :: v_dual_lshlrev_b32 v13, 2, v14
	v_lshrrev_b32_e32 v11, s37, v11
	v_sub_nc_u32_e32 v5, v5, v16
	s_wait_alu 0xfffe
	s_mul_i32 s9, s15, s12
	v_mul_lo_u32 v12, v12, s38
	s_ashr_i32 s22, s34, 31
	s_ashr_i32 s13, s13, 31
	;; [unrolled: 1-line block ×4, first 2 shown]
	s_sub_co_i32 s6, s8, s9
	s_xor_b32 s3, s22, s13
	s_add_co_i32 s13, s15, 1
	s_sub_co_i32 s8, s6, s12
	v_mul_lo_u32 v11, v11, s38
	v_add3_u32 v137, v10, v13, 0x4000
	v_sub_nc_u32_e32 v10, v4, v15
	s_wait_alu 0xfffe
	v_mul_lo_u32 v139, v5, s14
	v_lshrrev_b32_e32 v5, 3, v119
	s_cmp_ge_u32 s6, s12
	s_load_b64 s[16:17], s[0:1], 0xa8
	s_cselect_b32 s9, s13, s15
	s_cselect_b32 s6, s8, s6
	s_add_co_i32 s8, s9, 1
	v_sub_nc_u32_e32 v9, v9, v12
	v_mul_lo_u32 v138, v10, s14
	v_dual_mov_b32 v151, 0 :: v_dual_add_nc_u32 v10, v5, v120
	s_cmp_ge_u32 s6, s12
	v_sub_nc_u32_e32 v8, v8, v11
	s_cselect_b32 s6, s8, s9
	v_mul_lo_u32 v3, s50, v6
	s_xor_b32 s6, s6, s3
	v_mul_lo_u32 v141, v9, s14
	v_mul_lo_u32 v5, s48, v6
	;; [unrolled: 1-line block ×3, first 2 shown]
	s_sub_co_i32 s3, s6, s3
	v_mul_lo_u32 v140, v8, s14
	v_mul_u32_u24_e32 v8, 0xc0, v6
	s_mul_u64 s[4:5], s[4:5], s[40:41]
	s_wait_alu 0xfffe
	s_mul_i32 s6, s3, s11
	v_dual_mov_b32 v152, 0 :: v_dual_and_b32 v143, 28, v104
	s_add_nc_u64 s[4:5], s[18:19], s[4:5]
	s_mul_i32 s10, s3, s7
	s_ashr_i32 s7, s6, 31
	v_cmp_gt_u32_e64 s3, 32, v6
	s_wait_alu 0xfffe
	s_add_nc_u64 s[52:53], s[4:5], s[6:7]
	v_mul_u32_u24_e32 v135, 0x600, v0
	v_ashrrev_i32_e32 v2, 31, v1
	v_ashrrev_i32_e32 v4, 31, v3
	v_lshl_add_u32 v142, v0, 9, 0x3000
	v_or_b32_e32 v0, v8, v13
	v_mul_u32_u24_e32 v8, 0xc0, v10
	v_cmp_gt_u32_e64 s4, 16, v6
	v_cmp_gt_u32_e64 s5, 16, v10
	v_ashrrev_i32_e32 v6, 31, v5
	v_ashrrev_i32_e32 v10, 31, v9
	v_dual_mov_b32 v144, 0 :: v_dual_lshlrev_b32 v11, 4, v119
	v_dual_mov_b32 v153, 0 :: v_dual_lshlrev_b32 v12, 2, v143
	s_wait_kmcnt 0x0
	s_mul_u64 s[8:9], s[16:17], s[40:41]
	v_lshlrev_b64_e32 v[105:106], 2, v[1:2]
	v_lshlrev_b64_e32 v[107:108], 2, v[3:4]
	;; [unrolled: 1-line block ×4, first 2 shown]
	v_mul_u32_u24_e32 v134, 0x70, v119
	v_dual_mov_b32 v154, 0 :: v_dual_add_nc_u32 v145, 0x4080, v0
	v_add3_u32 v146, v8, v12, 0x4000
	v_mov_b32_e32 v8, 0xfeffffff
	v_dual_mov_b32 v9, 0xfeffffff :: v_dual_add_nc_u32 v148, v142, v11
	v_dual_mov_b32 v10, 0xfeffffff :: v_dual_lshlrev_b32 v149, 2, v7
	v_dual_mov_b32 v11, 0xfeffffff :: v_dual_lshlrev_b32 v150, 2, v14
	v_dual_mov_b32 v12, 0xfeffffff :: v_dual_mov_b32 v13, 0xfeffffff
	v_dual_mov_b32 v14, 0xfeffffff :: v_dual_mov_b32 v15, 0xfeffffff
	;; [unrolled: 1-line block ×6, first 2 shown]
	s_add_nc_u64 s[8:9], s[20:21], s[8:9]
	s_ashr_i32 s11, s10, 31
	s_ashr_i32 s51, s50, 31
	s_wait_alu 0xfffe
	s_add_nc_u64 s[54:55], s[8:9], s[10:11]
	s_ashr_i32 s49, s48, 31
	s_add_nc_u64 s[36:37], s[0:1], 0xd0
.LBB33_23:                              ; =>This Inner Loop Header: Depth=1
	s_ashr_i32 s47, s46, 31
	s_wait_alu 0xfffe
	s_mul_u64 s[6:7], s[46:47], s[50:51]
	s_wait_alu 0xfffe
	s_lshl_b64 s[6:7], s[6:7], 2
	s_wait_alu 0xfffe
	s_add_nc_u64 s[8:9], s[52:53], s[6:7]
	s_and_saveexec_b32 s7, vcc_lo
	s_cbranch_execz .LBB33_25
; %bb.24:                               ;   in Loop: Header=BB33_23 Depth=1
	s_wait_alu 0xfffe
	v_add_co_u32 v0, s6, s8, v105
	s_wait_alu 0xf1ff
	v_add_co_ci_u32_e64 v1, null, s9, v106, s6
	s_delay_alu instid0(VALU_DEP_2) | instskip(SKIP_1) | instid1(VALU_DEP_2)
	v_add_co_u32 v0, s6, v0, v149
	s_wait_alu 0xf1ff
	v_add_co_ci_u32_e64 v1, null, 0, v1, s6
	global_load_b128 v[0:3], v[0:1], off offset:64
	s_wait_loadcnt 0x0
	ds_store_b128 v136, v[0:3]
.LBB33_25:                              ;   in Loop: Header=BB33_23 Depth=1
	s_wait_alu 0xfffe
	s_or_b32 exec_lo, exec_lo, s7
	s_and_saveexec_b32 s7, s3
	s_cbranch_execz .LBB33_27
; %bb.26:                               ;   in Loop: Header=BB33_23 Depth=1
	v_add_co_u32 v0, s6, s8, v107
	s_wait_alu 0xf1ff
	v_add_co_ci_u32_e64 v1, null, s9, v108, s6
	s_delay_alu instid0(VALU_DEP_2) | instskip(SKIP_1) | instid1(VALU_DEP_2)
	v_add_co_u32 v0, s6, v0, v150
	s_wait_alu 0xf1ff
	v_add_co_ci_u32_e64 v1, null, 0, v1, s6
	global_load_b128 v[0:3], v[0:1], off
	s_wait_loadcnt 0x0
	ds_store_b128 v137, v[0:3]
.LBB33_27:                              ;   in Loop: Header=BB33_23 Depth=1
	s_wait_alu 0xfffe
	s_or_b32 exec_lo, exec_lo, s7
	s_wait_loadcnt_dscnt 0x0
	s_barrier_signal -1
	s_barrier_wait -1
	global_inv scope:SCOPE_SE
	ds_load_b128 v[16:19], v134 offset:16384
	ds_load_b128 v[4:7], v135
	ds_load_b128 v[20:23], v135 offset:192
	ds_load_b128 v[24:27], v135 offset:384
	;; [unrolled: 1-line block ×6, first 2 shown]
	v_dual_mov_b32 v0, 0 :: v_dual_mov_b32 v1, 0
	ds_load_b128 v[44:47], v135 offset:1344
	v_dual_mov_b32 v2, 0 :: v_dual_mov_b32 v3, 0
	s_wait_dscnt 0x7
	;;#ASMSTART
	v_dot2_f32_f16 v0, v16, v4, v0
	;;#ASMEND
	;;#ASMSTART
	v_dot2_f32_f16 v0, v17, v5, v0
	;;#ASMEND
	;;#ASMSTART
	v_dot2_f32_f16 v0, v18, v6, v0
	;;#ASMEND
	;;#ASMSTART
	v_dot2_f32_f16 v0, v19, v7, v0
	;;#ASMEND
	s_wait_dscnt 0x6
	;;#ASMSTART
	v_dot2_f32_f16 v1, v16, v20, v1
	;;#ASMEND
	;;#ASMSTART
	v_dot2_f32_f16 v1, v17, v21, v1
	;;#ASMEND
	;;#ASMSTART
	v_dot2_f32_f16 v1, v18, v22, v1
	;;#ASMEND
	;;#ASMSTART
	v_dot2_f32_f16 v1, v19, v23, v1
	;;#ASMEND
	;; [unrolled: 13-line block ×3, first 2 shown]
	s_wait_dscnt 0x4
	;;#ASMSTART
	v_dot2_f32_f16 v3, v16, v28, v3
	;;#ASMEND
	;;#ASMSTART
	v_dot2_f32_f16 v3, v17, v29, v3
	;;#ASMEND
	v_dual_mov_b32 v4, 0 :: v_dual_mov_b32 v5, 0
	;;#ASMSTART
	v_dot2_f32_f16 v3, v18, v30, v3
	;;#ASMEND
	;;#ASMSTART
	v_dot2_f32_f16 v3, v19, v31, v3
	;;#ASMEND
	s_wait_dscnt 0x3
	;;#ASMSTART
	v_dot2_f32_f16 v4, v16, v32, v4
	;;#ASMEND
	;;#ASMSTART
	v_dot2_f32_f16 v4, v17, v33, v4
	;;#ASMEND
	;; [unrolled: 3-line block ×4, first 2 shown]
	s_wait_dscnt 0x2
	;;#ASMSTART
	v_dot2_f32_f16 v5, v16, v36, v5
	;;#ASMEND
	;;#ASMSTART
	v_dot2_f32_f16 v5, v17, v37, v5
	;;#ASMEND
	v_dual_mov_b32 v6, 0 :: v_dual_mov_b32 v7, 0
	;;#ASMSTART
	v_dot2_f32_f16 v5, v18, v38, v5
	;;#ASMEND
	;;#ASMSTART
	v_dot2_f32_f16 v5, v19, v39, v5
	;;#ASMEND
	s_wait_dscnt 0x1
	;;#ASMSTART
	v_dot2_f32_f16 v6, v16, v40, v6
	;;#ASMEND
	;;#ASMSTART
	v_dot2_f32_f16 v6, v17, v41, v6
	;;#ASMEND
	;; [unrolled: 3-line block ×4, first 2 shown]
	s_wait_dscnt 0x0
	;;#ASMSTART
	v_dot2_f32_f16 v7, v16, v44, v7
	;;#ASMEND
	;;#ASMSTART
	v_dot2_f32_f16 v7, v17, v45, v7
	;;#ASMEND
	;; [unrolled: 3-line block ×4, first 2 shown]
	ds_load_b128 v[16:19], v134 offset:16400
	ds_load_b128 v[20:23], v135 offset:16
	;; [unrolled: 1-line block ×9, first 2 shown]
	s_wait_dscnt 0x7
	;;#ASMSTART
	v_dot2_f32_f16 v0, v16, v20, v0
	;;#ASMEND
	;;#ASMSTART
	v_dot2_f32_f16 v0, v17, v21, v0
	;;#ASMEND
	;;#ASMSTART
	v_dot2_f32_f16 v0, v18, v22, v0
	;;#ASMEND
	;;#ASMSTART
	v_dot2_f32_f16 v0, v19, v23, v0
	;;#ASMEND
	s_wait_dscnt 0x6
	;;#ASMSTART
	v_dot2_f32_f16 v1, v16, v24, v1
	;;#ASMEND
	;;#ASMSTART
	v_dot2_f32_f16 v1, v17, v25, v1
	;;#ASMEND
	;;#ASMSTART
	v_dot2_f32_f16 v1, v18, v26, v1
	;;#ASMEND
	;;#ASMSTART
	v_dot2_f32_f16 v1, v19, v27, v1
	;;#ASMEND
	;; [unrolled: 13-line block ×8, first 2 shown]
	ds_load_b128 v[16:19], v134 offset:16416
	ds_load_b128 v[20:23], v135 offset:32
	;; [unrolled: 1-line block ×9, first 2 shown]
	s_wait_dscnt 0x7
	;;#ASMSTART
	v_dot2_f32_f16 v0, v16, v20, v0
	;;#ASMEND
	;;#ASMSTART
	v_dot2_f32_f16 v0, v17, v21, v0
	;;#ASMEND
	;;#ASMSTART
	v_dot2_f32_f16 v0, v18, v22, v0
	;;#ASMEND
	;;#ASMSTART
	v_dot2_f32_f16 v0, v19, v23, v0
	;;#ASMEND
	s_wait_dscnt 0x6
	;;#ASMSTART
	v_dot2_f32_f16 v1, v16, v24, v1
	;;#ASMEND
	;;#ASMSTART
	v_dot2_f32_f16 v1, v17, v25, v1
	;;#ASMEND
	;;#ASMSTART
	v_dot2_f32_f16 v1, v18, v26, v1
	;;#ASMEND
	;;#ASMSTART
	v_dot2_f32_f16 v1, v19, v27, v1
	;;#ASMEND
	;; [unrolled: 13-line block ×8, first 2 shown]
	ds_load_b128 v[16:19], v134 offset:16432
	ds_load_b128 v[20:23], v135 offset:48
	;; [unrolled: 1-line block ×9, first 2 shown]
	s_wait_dscnt 0x7
	;;#ASMSTART
	v_dot2_f32_f16 v0, v16, v20, v0
	;;#ASMEND
	;;#ASMSTART
	v_dot2_f32_f16 v0, v17, v21, v0
	;;#ASMEND
	;;#ASMSTART
	v_dot2_f32_f16 v0, v18, v22, v0
	;;#ASMEND
	;;#ASMSTART
	v_dot2_f32_f16 v0, v19, v23, v0
	;;#ASMEND
	s_wait_dscnt 0x6
	;;#ASMSTART
	v_dot2_f32_f16 v1, v16, v24, v1
	;;#ASMEND
	;;#ASMSTART
	v_dot2_f32_f16 v1, v17, v25, v1
	;;#ASMEND
	;;#ASMSTART
	v_dot2_f32_f16 v1, v18, v26, v1
	;;#ASMEND
	;;#ASMSTART
	v_dot2_f32_f16 v1, v19, v27, v1
	;;#ASMEND
	;; [unrolled: 13-line block ×8, first 2 shown]
	ds_load_b128 v[16:19], v134 offset:16448
	ds_load_b128 v[20:23], v135 offset:64
	;; [unrolled: 1-line block ×9, first 2 shown]
	s_wait_dscnt 0x7
	;;#ASMSTART
	v_dot2_f32_f16 v0, v16, v20, v0
	;;#ASMEND
	;;#ASMSTART
	v_dot2_f32_f16 v0, v17, v21, v0
	;;#ASMEND
	;;#ASMSTART
	v_dot2_f32_f16 v0, v18, v22, v0
	;;#ASMEND
	;;#ASMSTART
	v_dot2_f32_f16 v0, v19, v23, v0
	;;#ASMEND
	s_wait_dscnt 0x6
	;;#ASMSTART
	v_dot2_f32_f16 v1, v16, v24, v1
	;;#ASMEND
	;;#ASMSTART
	v_dot2_f32_f16 v1, v17, v25, v1
	;;#ASMEND
	;;#ASMSTART
	v_dot2_f32_f16 v1, v18, v26, v1
	;;#ASMEND
	;;#ASMSTART
	v_dot2_f32_f16 v1, v19, v27, v1
	;;#ASMEND
	;; [unrolled: 13-line block ×8, first 2 shown]
	ds_load_b128 v[16:19], v134 offset:16464
	ds_load_b128 v[20:23], v135 offset:80
	;; [unrolled: 1-line block ×9, first 2 shown]
	s_wait_dscnt 0x7
	;;#ASMSTART
	v_dot2_f32_f16 v0, v16, v20, v0
	;;#ASMEND
	;;#ASMSTART
	v_dot2_f32_f16 v0, v17, v21, v0
	;;#ASMEND
	;;#ASMSTART
	v_dot2_f32_f16 v0, v18, v22, v0
	;;#ASMEND
	;;#ASMSTART
	v_dot2_f32_f16 v0, v19, v23, v0
	;;#ASMEND
	s_wait_dscnt 0x6
	;;#ASMSTART
	v_dot2_f32_f16 v1, v16, v24, v1
	;;#ASMEND
	;;#ASMSTART
	v_dot2_f32_f16 v1, v17, v25, v1
	;;#ASMEND
	;;#ASMSTART
	v_dot2_f32_f16 v1, v18, v26, v1
	;;#ASMEND
	;;#ASMSTART
	v_dot2_f32_f16 v1, v19, v27, v1
	;;#ASMEND
	;; [unrolled: 13-line block ×8, first 2 shown]
	s_wait_loadcnt 0x0
	s_barrier_signal -1
	s_barrier_wait -1
	global_inv scope:SCOPE_SE
	s_and_saveexec_b32 s7, vcc_lo
	s_cbranch_execz .LBB33_29
; %bb.28:                               ;   in Loop: Header=BB33_23 Depth=1
	v_add_co_u32 v16, s6, s8, v105
	s_wait_alu 0xf1ff
	v_add_co_ci_u32_e64 v17, null, s9, v106, s6
	s_delay_alu instid0(VALU_DEP_2) | instskip(SKIP_1) | instid1(VALU_DEP_2)
	v_add_co_u32 v16, s6, v16, v149
	s_wait_alu 0xf1ff
	v_add_co_ci_u32_e64 v17, null, 0, v17, s6
	global_load_b128 v[16:19], v[16:17], off offset:160
	s_wait_loadcnt 0x0
	ds_store_b128 v136, v[16:19]
.LBB33_29:                              ;   in Loop: Header=BB33_23 Depth=1
	s_wait_alu 0xfffe
	s_or_b32 exec_lo, exec_lo, s7
	s_and_saveexec_b32 s7, s3
	s_cbranch_execz .LBB33_31
; %bb.30:                               ;   in Loop: Header=BB33_23 Depth=1
	v_add_co_u32 v16, s6, s8, v107
	s_wait_alu 0xf1ff
	v_add_co_ci_u32_e64 v17, null, s9, v108, s6
	s_delay_alu instid0(VALU_DEP_2) | instskip(SKIP_1) | instid1(VALU_DEP_2)
	v_add_co_u32 v16, s6, v16, v150
	s_wait_alu 0xf1ff
	v_add_co_ci_u32_e64 v17, null, 0, v17, s6
	global_load_b128 v[16:19], v[16:17], off offset:96
	s_wait_loadcnt 0x0
	ds_store_b128 v137, v[16:19]
.LBB33_31:                              ;   in Loop: Header=BB33_23 Depth=1
	s_wait_alu 0xfffe
	s_or_b32 exec_lo, exec_lo, s7
	s_wait_loadcnt_dscnt 0x0
	s_barrier_signal -1
	s_barrier_wait -1
	global_inv scope:SCOPE_SE
	ds_load_b128 v[16:19], v134 offset:16384
	ds_load_b128 v[20:23], v135 offset:96
	;; [unrolled: 1-line block ×9, first 2 shown]
	v_add_nc_u32_e32 v58, s46, v119
	v_xor_b32_e32 v165, 16, v129
	v_xor_b32_e32 v163, 8, v129
	;; [unrolled: 1-line block ×4, first 2 shown]
	v_add_nc_u32_e32 v52, v58, v138
	v_add_nc_u32_e32 v54, v58, v139
	;; [unrolled: 1-line block ×3, first 2 shown]
	s_wait_dscnt 0x7
	;;#ASMSTART
	v_dot2_f32_f16 v0, v16, v20, v0
	;;#ASMEND
	;;#ASMSTART
	v_dot2_f32_f16 v0, v17, v21, v0
	;;#ASMEND
	;;#ASMSTART
	v_dot2_f32_f16 v0, v18, v22, v0
	;;#ASMEND
	;;#ASMSTART
	v_dot2_f32_f16 v0, v19, v23, v0
	;;#ASMEND
	s_wait_dscnt 0x6
	;;#ASMSTART
	v_dot2_f32_f16 v1, v16, v24, v1
	;;#ASMEND
	;;#ASMSTART
	v_dot2_f32_f16 v1, v17, v25, v1
	;;#ASMEND
	;;#ASMSTART
	v_dot2_f32_f16 v1, v18, v26, v1
	;;#ASMEND
	;;#ASMSTART
	v_dot2_f32_f16 v1, v19, v27, v1
	;;#ASMEND
	;; [unrolled: 13-line block ×8, first 2 shown]
	ds_load_b128 v[16:19], v134 offset:16400
	ds_load_b128 v[20:23], v135 offset:112
	;; [unrolled: 1-line block ×9, first 2 shown]
	s_wait_dscnt 0x7
	;;#ASMSTART
	v_dot2_f32_f16 v0, v16, v20, v0
	;;#ASMEND
	;;#ASMSTART
	v_dot2_f32_f16 v0, v17, v21, v0
	;;#ASMEND
	;;#ASMSTART
	v_dot2_f32_f16 v0, v18, v22, v0
	;;#ASMEND
	;;#ASMSTART
	v_dot2_f32_f16 v0, v19, v23, v0
	;;#ASMEND
	s_wait_dscnt 0x6
	;;#ASMSTART
	v_dot2_f32_f16 v1, v16, v24, v1
	;;#ASMEND
	;;#ASMSTART
	v_dot2_f32_f16 v1, v17, v25, v1
	;;#ASMEND
	;;#ASMSTART
	v_dot2_f32_f16 v1, v18, v26, v1
	;;#ASMEND
	;;#ASMSTART
	v_dot2_f32_f16 v1, v19, v27, v1
	;;#ASMEND
	;; [unrolled: 13-line block ×8, first 2 shown]
	ds_load_b128 v[16:19], v134 offset:16416
	ds_load_b128 v[20:23], v135 offset:128
	;; [unrolled: 1-line block ×9, first 2 shown]
	s_wait_dscnt 0x7
	;;#ASMSTART
	v_dot2_f32_f16 v0, v16, v20, v0
	;;#ASMEND
	;;#ASMSTART
	v_dot2_f32_f16 v0, v17, v21, v0
	;;#ASMEND
	;;#ASMSTART
	v_dot2_f32_f16 v0, v18, v22, v0
	;;#ASMEND
	;;#ASMSTART
	v_dot2_f32_f16 v0, v19, v23, v0
	;;#ASMEND
	s_wait_dscnt 0x6
	;;#ASMSTART
	v_dot2_f32_f16 v1, v16, v24, v1
	;;#ASMEND
	;;#ASMSTART
	v_dot2_f32_f16 v1, v17, v25, v1
	;;#ASMEND
	;;#ASMSTART
	v_dot2_f32_f16 v1, v18, v26, v1
	;;#ASMEND
	;;#ASMSTART
	v_dot2_f32_f16 v1, v19, v27, v1
	;;#ASMEND
	;; [unrolled: 13-line block ×8, first 2 shown]
	ds_load_b128 v[16:19], v134 offset:16432
	ds_load_b128 v[20:23], v135 offset:144
	;; [unrolled: 1-line block ×9, first 2 shown]
	s_wait_dscnt 0x7
	;;#ASMSTART
	v_dot2_f32_f16 v0, v16, v20, v0
	;;#ASMEND
	;;#ASMSTART
	v_dot2_f32_f16 v0, v17, v21, v0
	;;#ASMEND
	;;#ASMSTART
	v_dot2_f32_f16 v0, v18, v22, v0
	;;#ASMEND
	;;#ASMSTART
	v_dot2_f32_f16 v0, v19, v23, v0
	;;#ASMEND
	s_wait_dscnt 0x6
	;;#ASMSTART
	v_dot2_f32_f16 v1, v16, v24, v1
	;;#ASMEND
	;;#ASMSTART
	v_dot2_f32_f16 v1, v17, v25, v1
	;;#ASMEND
	;;#ASMSTART
	v_dot2_f32_f16 v1, v18, v26, v1
	;;#ASMEND
	;;#ASMSTART
	v_dot2_f32_f16 v1, v19, v27, v1
	;;#ASMEND
	;; [unrolled: 13-line block ×8, first 2 shown]
	ds_load_b128 v[16:19], v134 offset:16448
	ds_load_b128 v[20:23], v135 offset:160
	;; [unrolled: 1-line block ×9, first 2 shown]
	s_wait_dscnt 0x7
	;;#ASMSTART
	v_dot2_f32_f16 v0, v16, v20, v0
	;;#ASMEND
	;;#ASMSTART
	v_dot2_f32_f16 v0, v17, v21, v0
	;;#ASMEND
	;;#ASMSTART
	v_dot2_f32_f16 v0, v18, v22, v0
	;;#ASMEND
	;;#ASMSTART
	v_dot2_f32_f16 v0, v19, v23, v0
	;;#ASMEND
	s_wait_dscnt 0x6
	;;#ASMSTART
	v_dot2_f32_f16 v1, v16, v24, v1
	;;#ASMEND
	;;#ASMSTART
	v_dot2_f32_f16 v1, v17, v25, v1
	;;#ASMEND
	;;#ASMSTART
	v_dot2_f32_f16 v1, v18, v26, v1
	;;#ASMEND
	;;#ASMSTART
	v_dot2_f32_f16 v1, v19, v27, v1
	;;#ASMEND
	;; [unrolled: 13-line block ×8, first 2 shown]
	ds_load_b128 v[16:19], v134 offset:16464
	ds_load_b128 v[20:23], v135 offset:176
	v_ashrrev_i32_e32 v53, 31, v52
	v_ashrrev_i32_e32 v55, 31, v54
	;; [unrolled: 1-line block ×3, first 2 shown]
	ds_load_b128 v[24:27], v135 offset:368
	ds_load_b128 v[28:31], v135 offset:560
	v_lshlrev_b64_e32 v[36:37], 1, v[52:53]
	v_lshlrev_b64_e32 v[52:53], 1, v[54:55]
	;; [unrolled: 1-line block ×3, first 2 shown]
	ds_load_b128 v[32:35], v135 offset:752
	v_add_nc_u32_e32 v58, v58, v141
	v_xor_b32_e32 v167, 1, v129
	v_add_co_u32 v56, s6, s44, v36
	s_wait_alu 0xf1ff
	v_add_co_ci_u32_e64 v57, null, s45, v37, s6
	ds_load_b128 v[36:39], v135 offset:944
	ds_load_b128 v[40:43], v135 offset:1136
	;; [unrolled: 1-line block ×4, first 2 shown]
	s_wait_dscnt 0x7
	;;#ASMSTART
	v_dot2_f32_f16 v0, v16, v20, v0
	;;#ASMEND
	;;#ASMSTART
	v_dot2_f32_f16 v0, v17, v21, v0
	;;#ASMEND
	;;#ASMSTART
	v_dot2_f32_f16 v0, v18, v22, v0
	;;#ASMEND
	;;#ASMSTART
	v_dot2_f32_f16 v0, v19, v23, v0
	;;#ASMEND
	s_wait_dscnt 0x6
	;;#ASMSTART
	v_dot2_f32_f16 v1, v16, v24, v1
	;;#ASMEND
	;;#ASMSTART
	v_dot2_f32_f16 v1, v17, v25, v1
	;;#ASMEND
	;;#ASMSTART
	v_dot2_f32_f16 v1, v18, v26, v1
	;;#ASMEND
	;;#ASMSTART
	v_dot2_f32_f16 v1, v19, v27, v1
	;;#ASMEND
	;; [unrolled: 13-line block ×6, first 2 shown]
	s_wait_dscnt 0x1
	;;#ASMSTART
	v_dot2_f32_f16 v6, v16, v44, v6
	;;#ASMEND
	;;#ASMSTART
	v_dot2_f32_f16 v6, v17, v45, v6
	;;#ASMEND
	v_ashrrev_i32_e32 v59, 31, v58
	;;#ASMSTART
	v_dot2_f32_f16 v6, v18, v46, v6
	;;#ASMEND
	;;#ASMSTART
	v_dot2_f32_f16 v6, v19, v47, v6
	;;#ASMEND
	s_wait_dscnt 0x0
	;;#ASMSTART
	v_dot2_f32_f16 v7, v16, v48, v7
	;;#ASMEND
	;;#ASMSTART
	v_dot2_f32_f16 v7, v17, v49, v7
	;;#ASMEND
	;; [unrolled: 3-line block ×4, first 2 shown]
	v_lshlrev_b64_e32 v[18:19], 1, v[58:59]
	v_add_co_u32 v16, s6, s44, v52
	s_wait_alu 0xf1ff
	v_add_co_ci_u32_e64 v17, null, s45, v53, s6
	v_add_co_u32 v20, s6, s44, v54
	s_wait_alu 0xf1ff
	v_add_co_ci_u32_e64 v21, null, s45, v55, s6
	;; [unrolled: 3-line block ×3, first 2 shown]
	s_clause 0x3
	global_load_u16 v22, v[56:57], off
	global_load_u16 v16, v[16:17], off
	global_load_u16 v17, v[20:21], off
	global_load_u16 v18, v[18:19], off
	v_dual_max_num_f32 v20, v9, v9 :: v_dual_max_num_f32 v21, v10, v10
	v_cmp_gt_i32_e64 s6, 32, v165
	v_max_num_f32_e32 v19, v8, v8
	v_dual_max_num_f32 v23, v11, v11 :: v_dual_max_num_f32 v24, v12, v12
	v_max_num_f32_e32 v27, v14, v14
	s_wait_alu 0xf1ff
	v_cndmask_b32_e64 v25, v129, v165, s6
	v_max_num_f32_e32 v28, v15, v15
	v_cmp_gt_i32_e64 s6, 32, v163
	s_mul_u64 s[22:23], s[46:47], s[48:49]
	s_wait_loadcnt 0x0
	v_lshlrev_b32_e32 v25, 2, v25
	s_wait_alu 0xfffe
	s_lshl_b64 s[22:23], s[22:23], 2
	s_barrier_signal -1
	s_wait_alu 0xfffe
	s_add_nc_u64 s[56:57], s[54:55], s[22:23]
	s_barrier_wait -1
	global_inv scope:SCOPE_SE
	v_cvt_f32_f16_e32 v22, v22
	v_cvt_f32_f16_e32 v16, v16
	;; [unrolled: 1-line block ×4, first 2 shown]
	s_delay_alu instid0(VALU_DEP_3) | instskip(NEXT) | instid1(VALU_DEP_3)
	v_dual_add_f32 v29, v0, v22 :: v_dual_add_f32 v30, v2, v16
	v_add_f32_e32 v31, v4, v17
	v_add_f32_e32 v17, v5, v17
	s_delay_alu instid0(VALU_DEP_1) | instskip(NEXT) | instid1(VALU_DEP_1)
	v_dual_add_f32 v22, v1, v22 :: v_dual_add_f32 v5, 0x40051340, v17
	v_add_f32_e32 v1, 0x40051340, v22
	v_add_f32_e32 v32, v6, v18
	v_add_f32_e32 v18, v7, v18
	s_delay_alu instid0(VALU_DEP_3) | instskip(NEXT) | instid1(VALU_DEP_2)
	v_dual_add_f32 v16, v3, v16 :: v_dual_max_num_f32 v1, v20, v1
	v_dual_add_f32 v7, 0x40051340, v18 :: v_dual_max_num_f32 v26, v13, v13
	s_delay_alu instid0(VALU_DEP_2)
	v_dual_add_f32 v3, 0x40051340, v16 :: v_dual_add_f32 v0, 0x40051340, v29
	ds_bpermute_b32 v20, v25, v1
	v_dual_add_f32 v2, 0x40051340, v30 :: v_dual_max_num_f32 v7, v28, v7
	v_max_num_f32_e32 v5, v26, v5
	v_max_num_f32_e32 v3, v23, v3
	v_max_num_f32_e32 v0, v19, v0
	v_cndmask_b32_e64 v28, v129, v163, s6
	v_cmp_gt_i32_e64 s6, 32, v164
	ds_bpermute_b32 v26, v25, v5
	ds_bpermute_b32 v23, v25, v3
	;; [unrolled: 1-line block ×3, first 2 shown]
	v_add_f32_e32 v6, 0x40051340, v32
	v_max_num_f32_e32 v2, v21, v2
	s_wait_dscnt 0x2
	v_max_num_f32_e32 v26, v26, v26
	s_wait_dscnt 0x0
	v_dual_max_num_f32 v20, v20, v20 :: v_dual_max_num_f32 v19, v19, v19
	v_max_num_f32_e32 v23, v23, v23
	ds_bpermute_b32 v21, v25, v2
	v_max_num_f32_e32 v5, v5, v26
	v_dual_max_num_f32 v6, v27, v6 :: v_dual_max_num_f32 v1, v1, v20
	v_add_f32_e32 v4, 0x40051340, v31
	v_dual_max_num_f32 v3, v3, v23 :: v_dual_lshlrev_b32 v28, 2, v28
	ds_bpermute_b32 v27, v25, v6
	ds_bpermute_b32 v20, v28, v1
	;; [unrolled: 1-line block ×3, first 2 shown]
	s_wait_dscnt 0x3
	v_dual_max_num_f32 v21, v21, v21 :: v_dual_max_num_f32 v4, v24, v4
	s_wait_dscnt 0x2
	s_delay_alu instid0(VALU_DEP_1)
	v_dual_max_num_f32 v2, v2, v21 :: v_dual_max_num_f32 v27, v27, v27
	ds_bpermute_b32 v24, v25, v4
	ds_bpermute_b32 v25, v25, v7
	s_wait_dscnt 0x2
	v_max_num_f32_e32 v23, v23, v23
	ds_bpermute_b32 v21, v28, v2
	v_dual_max_num_f32 v20, v20, v20 :: v_dual_max_num_f32 v3, v3, v23
	s_delay_alu instid0(VALU_DEP_1)
	v_dual_max_num_f32 v6, v6, v27 :: v_dual_max_num_f32 v1, v1, v20
	ds_bpermute_b32 v26, v28, v6
	s_wait_dscnt 0x2
	v_dual_max_num_f32 v25, v25, v25 :: v_dual_max_num_f32 v24, v24, v24
	s_wait_dscnt 0x1
	v_dual_max_num_f32 v0, v0, v19 :: v_dual_max_num_f32 v21, v21, v21
	s_delay_alu instid0(VALU_DEP_2)
	v_max_num_f32_e32 v7, v7, v25
	ds_bpermute_b32 v25, v28, v5
	v_max_num_f32_e32 v4, v4, v24
	ds_bpermute_b32 v19, v28, v0
	;; [unrolled: 2-line block ×3, first 2 shown]
	s_wait_dscnt 0x2
	v_max_num_f32_e32 v25, v25, v25
	ds_bpermute_b32 v24, v28, v4
	s_wait_alu 0xf1ff
	v_cndmask_b32_e64 v28, v129, v164, s6
	s_wait_dscnt 0x2
	v_max_num_f32_e32 v19, v19, v19
	s_wait_dscnt 0x1
	v_max_num_f32_e32 v27, v27, v27
	v_dual_max_num_f32 v5, v5, v25 :: v_dual_max_num_f32 v26, v26, v26
	v_lshlrev_b32_e32 v28, 2, v28
	v_cmp_gt_i32_e64 s6, 32, v166
	s_delay_alu instid0(VALU_DEP_4)
	v_max_num_f32_e32 v7, v7, v27
	ds_bpermute_b32 v21, v28, v2
	v_max_num_f32_e32 v0, v0, v19
	ds_bpermute_b32 v23, v28, v3
	ds_bpermute_b32 v25, v28, v5
	;; [unrolled: 1-line block ×3, first 2 shown]
	v_max_num_f32_e32 v6, v6, v26
	ds_bpermute_b32 v20, v28, v1
	s_wait_dscnt 0x5
	v_max_num_f32_e32 v24, v24, v24
	s_wait_dscnt 0x4
	s_delay_alu instid0(VALU_DEP_1)
	v_dual_max_num_f32 v4, v4, v24 :: v_dual_max_num_f32 v21, v21, v21
	ds_bpermute_b32 v19, v28, v0
	s_wait_dscnt 0x4
	v_max_num_f32_e32 v23, v23, v23
	ds_bpermute_b32 v24, v28, v4
	s_wait_dscnt 0x4
	v_max_num_f32_e32 v25, v25, v25
	ds_bpermute_b32 v26, v28, v6
	s_wait_alu 0xf1ff
	v_cndmask_b32_e64 v28, v129, v166, s6
	s_wait_dscnt 0x3
	v_dual_max_num_f32 v27, v27, v27 :: v_dual_max_num_f32 v20, v20, v20
	v_max_num_f32_e32 v3, v3, v23
	s_delay_alu instid0(VALU_DEP_3) | instskip(NEXT) | instid1(VALU_DEP_3)
	v_dual_max_num_f32 v5, v5, v25 :: v_dual_lshlrev_b32 v28, 2, v28
	v_max_num_f32_e32 v7, v7, v27
	s_delay_alu instid0(VALU_DEP_4)
	v_max_num_f32_e32 v1, v1, v20
	v_cmp_gt_i32_e64 s6, 32, v167
	ds_bpermute_b32 v23, v28, v3
	ds_bpermute_b32 v25, v28, v5
	;; [unrolled: 1-line block ×4, first 2 shown]
	s_wait_dscnt 0x6
	v_dual_max_num_f32 v19, v19, v19 :: v_dual_max_num_f32 v2, v2, v21
	s_wait_dscnt 0x5
	v_max_num_f32_e32 v24, v24, v24
	s_wait_dscnt 0x4
	v_max_num_f32_e32 v26, v26, v26
	ds_bpermute_b32 v21, v28, v2
	v_max_num_f32_e32 v0, v0, v19
	s_wait_dscnt 0x4
	v_dual_max_num_f32 v6, v6, v26 :: v_dual_max_num_f32 v23, v23, v23
	ds_bpermute_b32 v26, v28, v6
	s_wait_dscnt 0x2
	v_dual_max_num_f32 v20, v20, v20 :: v_dual_max_num_f32 v27, v27, v27
	v_max_num_f32_e32 v25, v25, v25
	v_max_num_f32_e32 v3, v3, v23
	s_delay_alu instid0(VALU_DEP_3) | instskip(NEXT) | instid1(VALU_DEP_4)
	v_max_num_f32_e32 v1, v1, v20
	v_max_num_f32_e32 v7, v7, v27
	s_delay_alu instid0(VALU_DEP_4)
	v_max_num_f32_e32 v5, v5, v25
	s_wait_dscnt 0x1
	v_max_num_f32_e32 v21, v21, v21
	ds_bpermute_b32 v19, v28, v0
	v_max_num_f32_e32 v4, v4, v24
	v_max_num_f32_e32 v2, v2, v21
	s_wait_dscnt 0x0
	v_dual_max_num_f32 v26, v26, v26 :: v_dual_max_num_f32 v19, v19, v19
	ds_bpermute_b32 v24, v28, v4
	s_wait_alu 0xf1ff
	v_cndmask_b32_e64 v28, v129, v167, s6
	v_max_num_f32_e32 v0, v0, v19
	s_delay_alu instid0(VALU_DEP_2)
	v_lshlrev_b32_e32 v28, 2, v28
	ds_bpermute_b32 v19, v28, v0
	ds_bpermute_b32 v21, v28, v2
	v_max_num_f32_e32 v6, v6, v26
	ds_bpermute_b32 v20, v28, v1
	ds_bpermute_b32 v23, v28, v3
	;; [unrolled: 1-line block ×4, first 2 shown]
	s_wait_dscnt 0x6
	v_max_num_f32_e32 v24, v24, v24
	s_wait_dscnt 0x5
	s_delay_alu instid0(VALU_DEP_1)
	v_dual_max_num_f32 v4, v4, v24 :: v_dual_max_num_f32 v19, v19, v19
	ds_bpermute_b32 v24, v28, v4
	s_wait_dscnt 0x5
	v_max_num_f32_e32 v21, v21, v21
	ds_bpermute_b32 v26, v28, v6
	s_wait_dscnt 0x4
	v_dual_max_num_f32 v20, v20, v20 :: v_dual_max_num_f32 v23, v23, v23
	s_wait_dscnt 0x3
	v_dual_max_num_f32 v0, v0, v19 :: v_dual_max_num_f32 v25, v25, v25
	s_wait_dscnt 0x2
	v_max_num_f32_e32 v27, v27, v27
	v_dual_max_num_f32 v1, v1, v20 :: v_dual_max_num_f32 v2, v2, v21
	s_delay_alu instid0(VALU_DEP_3)
	v_dual_max_num_f32 v3, v3, v23 :: v_dual_sub_f32 v184, v8, v0
	v_sub_f32_e32 v8, v29, v0
	v_max_num_f32_e32 v5, v5, v25
	v_max_num_f32_e32 v7, v7, v27
	v_sub_f32_e32 v185, v9, v1
	v_sub_f32_e32 v9, v22, v1
	v_dual_sub_f32 v186, v10, v2 :: v_dual_sub_f32 v183, v11, v3
	v_dual_sub_f32 v10, v30, v2 :: v_dual_sub_f32 v11, v16, v3
	s_wait_dscnt 0x1
	v_max_num_f32_e32 v24, v24, v24
	s_wait_dscnt 0x0
	v_max_num_f32_e32 v26, v26, v26
	v_dual_mul_f32 v16, 0x3fb8aa3b, v8 :: v_dual_sub_f32 v181, v13, v5
	s_delay_alu instid0(VALU_DEP_3) | instskip(NEXT) | instid1(VALU_DEP_3)
	v_dual_sub_f32 v13, v17, v5 :: v_dual_max_num_f32 v4, v4, v24
	v_max_num_f32_e32 v6, v6, v26
	v_sub_f32_e32 v180, v15, v7
	v_sub_f32_e32 v15, v18, v7
	s_delay_alu instid0(VALU_DEP_4) | instskip(NEXT) | instid1(VALU_DEP_4)
	v_dual_mul_f32 v17, 0x3fb8aa3b, v9 :: v_dual_sub_f32 v182, v12, v4
	v_dual_sub_f32 v12, v31, v4 :: v_dual_sub_f32 v179, v14, v6
	v_sub_f32_e32 v14, v32, v6
	v_dual_mul_f32 v18, 0x3fb8aa3b, v10 :: v_dual_mul_f32 v19, 0x3fb8aa3b, v11
	v_fma_f32 v24, 0x3fb8aa3b, v8, -v16
	v_rndne_f32_e32 v25, v16
	v_dual_mul_f32 v20, 0x3fb8aa3b, v12 :: v_dual_mul_f32 v21, 0x3fb8aa3b, v13
	v_fma_f32 v26, 0x3fb8aa3b, v9, -v17
	v_rndne_f32_e32 v27, v17
	v_rndne_f32_e32 v31, v19
	v_fmac_f32_e32 v24, 0x32a5705f, v8
	v_sub_f32_e32 v16, v16, v25
	v_dual_mul_f32 v22, 0x3fb8aa3b, v14 :: v_dual_mul_f32 v23, 0x3fb8aa3b, v15
	v_fma_f32 v28, 0x3fb8aa3b, v10, -v18
	v_rndne_f32_e32 v29, v18
	v_fma_f32 v30, 0x3fb8aa3b, v11, -v19
	v_rndne_f32_e32 v35, v21
	v_dual_fmac_f32 v26, 0x32a5705f, v9 :: v_dual_sub_f32 v17, v17, v27
	v_dual_sub_f32 v19, v19, v31 :: v_dual_add_f32 v16, v16, v24
	v_fma_f32 v34, 0x3fb8aa3b, v13, -v21
	v_rndne_f32_e32 v39, v23
	v_dual_fmac_f32 v28, 0x32a5705f, v10 :: v_dual_sub_f32 v21, v21, v35
	v_dual_sub_f32 v18, v18, v29 :: v_dual_add_f32 v17, v17, v26
	v_exp_f32_e32 v16, v16
	v_fma_f32 v32, 0x3fb8aa3b, v12, -v20
	v_rndne_f32_e32 v33, v20
	v_fma_f32 v38, 0x3fb8aa3b, v15, -v23
	v_cvt_i32_f32_e32 v25, v25
	v_fmac_f32_e32 v34, 0x32a5705f, v13
	v_fmac_f32_e32 v30, 0x32a5705f, v11
	v_dual_sub_f32 v23, v23, v39 :: v_dual_add_f32 v18, v18, v28
	v_exp_f32_e32 v17, v17
	v_cvt_i32_f32_e32 v27, v27
	v_fmac_f32_e32 v38, 0x32a5705f, v15
	v_dual_sub_f32 v20, v20, v33 :: v_dual_add_f32 v21, v21, v34
	v_dual_fmac_f32 v32, 0x32a5705f, v12 :: v_dual_add_f32 v19, v19, v30
	v_exp_f32_e32 v18, v18
	v_ldexp_f32 v16, v16, v25
	v_cmp_ngt_f32_e64 s20, 0xc2ce8ed0, v8
	v_fma_f32 v36, 0x3fb8aa3b, v14, -v22
	v_rndne_f32_e32 v37, v22
	v_cvt_i32_f32_e32 v29, v29
	v_dual_add_f32 v23, v23, v38 :: v_dual_add_f32 v20, v20, v32
	v_exp_f32_e32 v19, v19
	v_ldexp_f32 v17, v17, v27
	s_wait_alu 0xf1ff
	v_cndmask_b32_e64 v16, 0, v16, s20
	v_cmp_ngt_f32_e64 s20, 0xc2ce8ed0, v9
	v_cvt_i32_f32_e32 v31, v31
	v_fmac_f32_e32 v36, 0x32a5705f, v14
	v_sub_f32_e32 v22, v22, v37
	v_exp_f32_e32 v20, v20
	v_ldexp_f32 v18, v18, v29
	s_wait_alu 0xf1ff
	v_cndmask_b32_e64 v17, 0, v17, s20
	v_cmp_ngt_f32_e64 s20, 0xc2ce8ed0, v10
	v_cvt_i32_f32_e32 v33, v33
	v_add_f32_e32 v22, v22, v36
	v_exp_f32_e32 v21, v21
	v_ldexp_f32 v19, v19, v31
	s_wait_alu 0xf1ff
	v_cndmask_b32_e64 v18, 0, v18, s20
	v_cmp_ngt_f32_e64 s20, 0xc2ce8ed0, v11
	v_cvt_i32_f32_e32 v35, v35
	v_exp_f32_e32 v22, v22
	v_ldexp_f32 v20, v20, v33
	v_exp_f32_e32 v23, v23
	s_wait_alu 0xf1ff
	v_cndmask_b32_e64 v19, 0, v19, s20
	v_cmp_ngt_f32_e64 s20, 0xc2ce8ed0, v12
	v_cvt_i32_f32_e32 v24, v37
	v_ldexp_f32 v21, v21, v35
	v_cvt_i32_f32_e32 v26, v39
	v_cmp_ngt_f32_e64 s17, 0xc2ce8ed0, v184
	s_wait_alu 0xf1ff
	v_cndmask_b32_e64 v20, 0, v20, s20
	v_cmp_ngt_f32_e64 s20, 0xc2ce8ed0, v13
	v_ldexp_f32 v22, v22, v24
	v_ldexp_f32 v23, v23, v26
	v_cmp_nlt_f32_e64 s14, 0x42b17218, v184
	v_cmp_ngt_f32_e64 s18, 0xc2ce8ed0, v185
	s_wait_alu 0xf1ff
	v_cndmask_b32_e64 v21, 0, v21, s20
	v_cmp_ngt_f32_e64 s20, 0xc2ce8ed0, v14
	v_cmp_nlt_f32_e64 s15, 0x42b17218, v185
	v_cmp_ngt_f32_e64 s19, 0xc2ce8ed0, v186
	v_cmp_nlt_f32_e64 s16, 0x42b17218, v186
	v_cmp_ngt_f32_e64 s10, 0xc2ce8ed0, v183
	s_wait_alu 0xf1ff
	v_cndmask_b32_e64 v22, 0, v22, s20
	v_cmp_ngt_f32_e64 s20, 0xc2ce8ed0, v15
	v_cmp_nlt_f32_e64 s7, 0x42b17218, v183
	v_cmp_ngt_f32_e64 s12, 0xc2ce8ed0, v182
	v_cmp_nlt_f32_e64 s9, 0x42b17218, v182
	v_cmp_ngt_f32_e64 s13, 0xc2ce8ed0, v181
	s_wait_alu 0xf1ff
	v_cndmask_b32_e64 v23, 0, v23, s20
	v_cmp_nlt_f32_e64 s20, 0x42b17218, v8
	v_cmp_nlt_f32_e64 s11, 0x42b17218, v181
	v_cmp_ngt_f32_e64 s8, 0xc2ce8ed0, v179
	v_cmp_nlt_f32_e64 s6, 0x42b17218, v179
	v_cmp_ngt_f32_e64 s21, 0xc2ce8ed0, v180
	s_wait_alu 0xf1ff
	v_cndmask_b32_e64 v175, 0x7f800000, v16, s20
	v_cmp_nlt_f32_e64 s20, 0x42b17218, v9
	s_delay_alu instid0(VALU_DEP_2) | instskip(SKIP_1) | instid1(VALU_DEP_2)
	v_cvt_f16_f32_e64 v8, v175
	s_wait_alu 0xf1ff
	v_cndmask_b32_e64 v174, 0x7f800000, v17, s20
	v_cmp_nlt_f32_e64 s20, 0x42b17218, v10
	s_wait_alu 0xf1ff
	s_delay_alu instid0(VALU_DEP_1) | instskip(SKIP_1) | instid1(VALU_DEP_2)
	v_cndmask_b32_e64 v173, 0x7f800000, v18, s20
	v_cmp_nlt_f32_e64 s20, 0x42b17218, v11
	v_cvt_f16_f32_e64 v9, v173
	s_wait_alu 0xf1ff
	s_delay_alu instid0(VALU_DEP_2) | instskip(SKIP_2) | instid1(VALU_DEP_1)
	v_cndmask_b32_e64 v172, 0x7f800000, v19, s20
	v_cmp_nlt_f32_e64 s20, 0x42b17218, v12
	s_wait_alu 0xf1ff
	v_cndmask_b32_e64 v171, 0x7f800000, v20, s20
	v_cmp_nlt_f32_e64 s20, 0x42b17218, v13
	s_delay_alu instid0(VALU_DEP_2) | instskip(SKIP_1) | instid1(VALU_DEP_2)
	v_cvt_f16_f32_e64 v10, v171
	s_wait_alu 0xf1ff
	v_cndmask_b32_e64 v170, 0x7f800000, v21, s20
	v_cmp_nlt_f32_e64 s20, 0x42b17218, v14
	v_cvt_f16_f32_e64 v14, v172
	s_delay_alu instid0(VALU_DEP_3) | instskip(SKIP_1) | instid1(VALU_DEP_3)
	v_cvt_f16_f32_e64 v13, v170
	s_wait_alu 0xf1ff
	v_cndmask_b32_e64 v169, 0x7f800000, v22, s20
	v_cmp_nlt_f32_e64 s20, 0x42b17218, v15
	v_cvt_f16_f32_e64 v15, v174
	v_pack_b32_f16 v9, v9, v14
	v_pack_b32_f16 v10, v10, v13
	v_cvt_f16_f32_e64 v11, v169
	s_wait_alu 0xf1ff
	v_cndmask_b32_e64 v168, 0x7f800000, v23, s20
	v_pack_b32_f16 v8, v8, v15
	v_cmp_nlt_f32_e64 s20, 0x42b17218, v180
	s_delay_alu instid0(VALU_DEP_3) | instskip(NEXT) | instid1(VALU_DEP_1)
	v_cvt_f16_f32_e64 v12, v168
	v_pack_b32_f16 v11, v11, v12
	ds_store_b128 v148, v[8:11]
	s_and_saveexec_b32 s23, s4
	s_cbranch_execz .LBB33_33
; %bb.32:                               ;   in Loop: Header=BB33_23 Depth=1
	s_wait_alu 0xfffe
	v_add_co_u32 v8, s22, s56, v109
	s_wait_alu 0xf1ff
	v_add_co_ci_u32_e64 v9, null, s57, v110, s22
	s_delay_alu instid0(VALU_DEP_2) | instskip(SKIP_1) | instid1(VALU_DEP_2)
	v_add_co_u32 v8, s22, v8, v150
	s_wait_alu 0xf1ff
	v_add_co_ci_u32_e64 v9, null, 0, v9, s22
	global_load_b128 v[8:11], v[8:9], off offset:128
	s_wait_loadcnt 0x0
	ds_store_b128 v145, v[8:11]
.LBB33_33:                              ;   in Loop: Header=BB33_23 Depth=1
	s_wait_alu 0xfffe
	s_or_b32 exec_lo, exec_lo, s23
	v_lshlrev_b32_e32 v187, 2, v143
	s_and_saveexec_b32 s23, s5
	s_cbranch_execz .LBB33_35
; %bb.34:                               ;   in Loop: Header=BB33_23 Depth=1
	v_add_co_u32 v8, s22, s56, v111
	s_wait_alu 0xf1ff
	v_add_co_ci_u32_e64 v9, null, s57, v112, s22
	s_delay_alu instid0(VALU_DEP_2) | instskip(SKIP_1) | instid1(VALU_DEP_2)
	v_add_co_u32 v8, s22, v8, v187
	s_wait_alu 0xf1ff
	v_add_co_ci_u32_e64 v9, null, 0, v9, s22
	global_load_b128 v[8:11], v[8:9], off
	s_wait_loadcnt 0x0
	ds_store_b128 v146, v[8:11]
.LBB33_35:                              ;   in Loop: Header=BB33_23 Depth=1
	s_wait_alu 0xfffe
	s_or_b32 exec_lo, exec_lo, s23
	v_add_nc_u32_e32 v178, 0x4000, v121
	v_add_nc_u32_e32 v177, 0x4400, v121
	s_wait_loadcnt_dscnt 0x0
	s_barrier_signal -1
	s_barrier_wait -1
	global_inv scope:SCOPE_SE
	ds_load_2addr_b64 v[36:39], v178 offset1:24
	ds_load_b128 v[100:103], v142
	ds_load_b128 v[96:99], v142 offset:16
	ds_load_b128 v[92:95], v142 offset:32
	;; [unrolled: 1-line block ×3, first 2 shown]
	ds_load_2addr_b64 v[32:35], v178 offset0:48 offset1:72
	ds_load_2addr_b64 v[28:31], v178 offset0:96 offset1:120
	ds_load_b128 v[84:87], v142 offset:64
	ds_load_b128 v[80:83], v142 offset:80
	ds_load_2addr_b64 v[24:27], v178 offset0:144 offset1:168
	ds_load_b128 v[76:79], v142 offset:96
	ds_load_b128 v[72:75], v142 offset:112
	ds_load_2addr_b64 v[20:23], v178 offset0:192 offset1:216
	v_add_nc_u32_e32 v176, 0x4800, v121
	ds_load_b128 v[68:71], v142 offset:128
	ds_load_b128 v[64:67], v142 offset:144
	ds_load_2addr_b64 v[16:19], v177 offset0:112 offset1:136
	ds_load_b128 v[60:63], v142 offset:160
	ds_load_b128 v[56:59], v142 offset:176
	ds_load_2addr_b64 v[12:15], v176 offset0:32 offset1:56
	;; [unrolled: 3-line block ×3, first 2 shown]
	ds_load_b128 v[44:47], v142 offset:224
	ds_load_b128 v[40:43], v142 offset:240
	s_or_b32 s22, s46, 16
	s_wait_loadcnt_dscnt 0x0
	s_wait_alu 0xfffe
	s_ashr_i32 s23, s22, 31
	s_barrier_signal -1
	s_wait_alu 0xfffe
	s_mul_u64 s[22:23], s[22:23], s[48:49]
	s_barrier_wait -1
	s_wait_alu 0xfffe
	s_lshl_b64 s[22:23], s[22:23], 2
	global_inv scope:SCOPE_SE
	s_wait_alu 0xfffe
	s_add_nc_u64 s[56:57], s[54:55], s[22:23]
	s_and_saveexec_b32 s23, s4
	s_cbranch_execz .LBB33_37
; %bb.36:                               ;   in Loop: Header=BB33_23 Depth=1
	s_wait_alu 0xfffe
	v_add_co_u32 v188, s22, s56, v109
	s_wait_alu 0xf1ff
	v_add_co_ci_u32_e64 v189, null, s57, v110, s22
	s_delay_alu instid0(VALU_DEP_2) | instskip(SKIP_1) | instid1(VALU_DEP_2)
	v_add_co_u32 v188, s22, v188, v150
	s_wait_alu 0xf1ff
	v_add_co_ci_u32_e64 v189, null, 0, v189, s22
	global_load_b128 v[188:191], v[188:189], off offset:128
	s_wait_loadcnt 0x0
	ds_store_b128 v145, v[188:191]
.LBB33_37:                              ;   in Loop: Header=BB33_23 Depth=1
	s_wait_alu 0xfffe
	s_or_b32 exec_lo, exec_lo, s23
	s_and_saveexec_b32 s23, s5
	s_cbranch_execz .LBB33_39
; %bb.38:                               ;   in Loop: Header=BB33_23 Depth=1
	v_add_co_u32 v188, s22, s56, v111
	s_wait_alu 0xf1ff
	v_add_co_ci_u32_e64 v189, null, s57, v112, s22
	s_delay_alu instid0(VALU_DEP_2) | instskip(SKIP_1) | instid1(VALU_DEP_2)
	v_add_co_u32 v187, s22, v188, v187
	s_wait_alu 0xf1ff
	v_add_co_ci_u32_e64 v188, null, 0, v189, s22
	global_load_b128 v[187:190], v[187:188], off
	s_wait_loadcnt 0x0
	ds_store_b128 v146, v[187:190]
.LBB33_39:                              ;   in Loop: Header=BB33_23 Depth=1
	s_wait_alu 0xfffe
	s_or_b32 exec_lo, exec_lo, s23
	v_dual_mul_f32 v187, 0x3fb8aa3b, v184 :: v_dual_mul_f32 v188, 0x3fb8aa3b, v185
	v_lshrrev_b32_e32 v196, 16, v85
	v_lshrrev_b32_e32 v197, 16, v86
	;; [unrolled: 1-line block ×3, first 2 shown]
	s_delay_alu instid0(VALU_DEP_4)
	v_fma_f32 v190, 0x3fb8aa3b, v184, -v187
	v_rndne_f32_e32 v191, v187
	v_mul_f32_e32 v189, 0x3fb8aa3b, v186
	v_fma_f32 v192, 0x3fb8aa3b, v185, -v188
	v_rndne_f32_e32 v193, v188
	v_fmac_f32_e32 v190, 0x32a5705f, v184
	v_sub_f32_e32 v184, v187, v191
	v_fma_f32 v194, 0x3fb8aa3b, v186, -v189
	v_fmac_f32_e32 v192, 0x32a5705f, v185
	v_sub_f32_e32 v185, v188, v193
	s_delay_alu instid0(VALU_DEP_4) | instskip(SKIP_3) | instid1(VALU_DEP_4)
	v_dual_mul_f32 v187, 0x3fb8aa3b, v183 :: v_dual_add_f32 v184, v184, v190
	v_cvt_i32_f32_e32 v190, v191
	v_rndne_f32_e32 v195, v189
	v_cvt_i32_f32_e32 v191, v193
	v_rndne_f32_e32 v193, v187
	v_exp_f32_e32 v184, v184
	v_mul_f32_e32 v188, 0x3fb8aa3b, v182
	v_and_b32_e32 v85, 0xffff, v85
	v_and_b32_e32 v86, 0xffff, v86
	;; [unrolled: 1-line block ×3, first 2 shown]
	v_lshrrev_b32_e32 v199, 16, v80
	v_and_b32_e32 v80, 0xffff, v80
	v_mul_u32_u24_e32 v85, 0x10001, v85
	v_mul_u32_u24_e32 v196, 0x10001, v196
	;; [unrolled: 1-line block ×3, first 2 shown]
	v_ldexp_f32 v184, v184, v190
	v_mul_u32_u24_e32 v197, 0x10001, v197
	v_mul_u32_u24_e32 v87, 0x10001, v87
	;; [unrolled: 1-line block ×3, first 2 shown]
	v_lshrrev_b32_e32 v200, 16, v81
	v_cndmask_b32_e64 v184, 0, v184, s17
	v_lshrrev_b32_e32 v201, 16, v82
	v_lshrrev_b32_e32 v202, 16, v83
	v_and_b32_e32 v81, 0xffff, v81
	v_mul_u32_u24_e32 v80, 0x10001, v80
	v_cndmask_b32_e64 v184, 0x7f800000, v184, s14
	v_and_b32_e32 v82, 0xffff, v82
	v_and_b32_e32 v83, 0xffff, v83
	v_lshrrev_b32_e32 v203, 16, v76
	v_and_b32_e32 v76, 0xffff, v76
	v_dual_fmac_f32 v175, v161, v184 :: v_dual_fmac_f32 v194, 0x32a5705f, v186
	v_add_f32_e32 v185, v185, v192
	v_dual_sub_f32 v186, v189, v195 :: v_dual_mul_f32 v189, 0x3fb8aa3b, v181
	v_fma_f32 v192, 0x3fb8aa3b, v183, -v187
	v_mul_u32_u24_e32 v199, 0x10001, v199
	s_delay_alu instid0(VALU_DEP_4) | instskip(NEXT) | instid1(VALU_DEP_3)
	v_exp_f32_e32 v185, v185
	v_add_f32_e32 v186, v186, v194
	v_cvt_i32_f32_e32 v194, v195
	v_dual_fmac_f32 v192, 0x32a5705f, v183 :: v_dual_sub_f32 v183, v187, v193
	v_fma_f32 v161, 0x3fb8aa3b, v181, -v189
	s_delay_alu instid0(VALU_DEP_4) | instskip(SKIP_3) | instid1(TRANS32_DEP_2)
	v_exp_f32_e32 v186, v186
	v_lshrrev_b32_e32 v195, 16, v84
	v_and_b32_e32 v84, 0xffff, v84
	v_mul_u32_u24_e32 v81, 0x10001, v81
	v_ldexp_f32 v185, v185, v191
	v_mul_u32_u24_e32 v200, 0x10001, v200
	v_mul_u32_u24_e32 v195, 0x10001, v195
	;; [unrolled: 1-line block ×4, first 2 shown]
	v_cndmask_b32_e64 v185, 0, v185, s18
	v_ldexp_f32 v186, v186, v194
	v_lshrrev_b32_e32 v194, 16, v91
	v_and_b32_e32 v91, 0xffff, v91
	v_mul_u32_u24_e32 v201, 0x10001, v201
	v_cndmask_b32_e64 v185, 0x7f800000, v185, s15
	v_cndmask_b32_e64 v186, 0, v186, s19
	v_mul_f32_e32 v187, 0x3fb8aa3b, v180
	v_mul_u32_u24_e32 v91, 0x10001, v91
	v_mul_u32_u24_e32 v194, 0x10001, v194
	v_fmac_f32_e32 v174, v162, v185
	v_cndmask_b32_e64 v186, 0x7f800000, v186, s16
	v_rndne_f32_e32 v162, v189
	v_mul_u32_u24_e32 v83, 0x10001, v83
	v_mul_u32_u24_e32 v202, 0x10001, v202
	v_lshrrev_b32_e32 v204, 16, v77
	v_dual_fmac_f32 v173, v160, v186 :: v_dual_add_f32 v160, v183, v192
	v_mul_f32_e32 v183, 0x3fb8aa3b, v179
	v_fma_f32 v190, 0x3fb8aa3b, v182, -v188
	v_rndne_f32_e32 v191, v188
	v_fmac_f32_e32 v161, 0x32a5705f, v181
	v_sub_f32_e32 v181, v189, v162
	v_fma_f32 v189, 0x3fb8aa3b, v180, -v187
	v_fmac_f32_e32 v190, 0x32a5705f, v182
	v_sub_f32_e32 v182, v188, v191
	v_rndne_f32_e32 v188, v183
	v_add_f32_e32 v161, v181, v161
	v_exp_f32_e32 v160, v160
	v_fma_f32 v181, 0x3fb8aa3b, v179, -v183
	v_add_f32_e32 v182, v182, v190
	v_rndne_f32_e32 v190, v187
	v_fmac_f32_e32 v189, 0x32a5705f, v180
	v_exp_f32_e32 v161, v161
	v_fmac_f32_e32 v181, 0x32a5705f, v179
	v_exp_f32_e32 v182, v182
	v_sub_f32_e32 v180, v187, v190
	v_sub_f32_e32 v179, v183, v188
	v_cvt_i32_f32_e32 v183, v193
	v_cvt_i32_f32_e32 v187, v191
	;; [unrolled: 1-line block ×3, first 2 shown]
	v_add_f32_e32 v180, v180, v189
	v_lshrrev_b32_e32 v189, 16, v94
	v_ldexp_f32 v160, v160, v183
	v_lshrrev_b32_e32 v183, 16, v96
	v_ldexp_f32 v161, v161, v162
	v_and_b32_e32 v96, 0xffff, v96
	v_and_b32_e32 v94, 0xffff, v94
	v_cndmask_b32_e64 v160, 0, v160, s10
	v_mul_u32_u24_e32 v183, 0x10001, v183
	v_cndmask_b32_e64 v161, 0, v161, s13
	v_mul_u32_u24_e32 v96, 0x10001, v96
	v_lshrrev_b32_e32 v191, 16, v88
	v_cndmask_b32_e64 v160, 0x7f800000, v160, s7
	v_add_f32_e32 v179, v179, v181
	v_ldexp_f32 v181, v182, v187
	v_cvt_i32_f32_e32 v182, v190
	v_cndmask_b32_e64 v161, 0x7f800000, v161, s11
	v_fmac_f32_e32 v172, v157, v160
	v_exp_f32_e32 v162, v179
	v_exp_f32_e32 v179, v180
	v_cndmask_b32_e64 v180, 0, v181, s12
	v_cvt_i32_f32_e32 v181, v188
	v_fmac_f32_e32 v170, v159, v161
	v_cvt_f16_f32_e64 v159, v184
	v_cvt_f16_f32_e64 v160, v160
	v_cndmask_b32_e64 v180, 0x7f800000, v180, s9
	v_cvt_f16_f32_e64 v161, v161
	v_lshrrev_b32_e32 v184, 16, v97
	v_ldexp_f32 v162, v162, v181
	v_ldexp_f32 v179, v179, v182
	v_fmac_f32_e32 v171, v158, v180
	v_and_b32_e32 v160, 0xffff, v160
	v_and_b32_e32 v161, 0xffff, v161
	v_cndmask_b32_e64 v157, 0, v162, s8
	v_cndmask_b32_e64 v158, 0, v179, s21
	v_cvt_f16_f32_e64 v162, v185
	v_cvt_f16_f32_e64 v179, v186
	v_mul_u32_u24_e32 v160, 0x10001, v160
	v_cndmask_b32_e64 v157, 0x7f800000, v157, s6
	v_cndmask_b32_e64 v158, 0x7f800000, v158, s20
	v_and_b32_e32 v162, 0xffff, v162
	v_and_b32_e32 v159, 0xffff, v159
	;; [unrolled: 1-line block ×3, first 2 shown]
	s_delay_alu instid0(VALU_DEP_4) | instskip(NEXT) | instid1(VALU_DEP_4)
	v_dual_fmac_f32 v169, v155, v157 :: v_dual_fmac_f32 v168, v156, v158
	v_mul_u32_u24_e32 v156, 0x10001, v162
	v_cvt_f16_f32_e64 v162, v180
	v_cvt_f16_f32_e64 v157, v157
	;; [unrolled: 1-line block ×3, first 2 shown]
	v_mul_u32_u24_e32 v155, 0x10001, v159
	v_mul_u32_u24_e32 v159, 0x10001, v179
	v_and_b32_e32 v162, 0xffff, v162
	v_and_b32_e32 v157, 0xffff, v157
	v_and_b32_e32 v158, 0xffff, v158
	v_lshrrev_b32_e32 v179, 16, v100
	v_and_b32_e32 v100, 0xffff, v100
	v_mul_u32_u24_e32 v162, 0x10001, v162
	v_mul_u32_u24_e32 v161, 0x10001, v161
	;; [unrolled: 1-line block ×4, first 2 shown]
	v_lshrrev_b32_e32 v180, 16, v101
	v_lshrrev_b32_e32 v181, 16, v102
	;; [unrolled: 1-line block ×3, first 2 shown]
	v_and_b32_e32 v101, 0xffff, v101
	v_mul_u32_u24_e32 v100, 0x10001, v100
	v_and_b32_e32 v102, 0xffff, v102
	v_and_b32_e32 v103, 0xffff, v103
	v_pk_mul_f16 v153, v153, v155
	v_mul_u32_u24_e32 v179, 0x10001, v179
	v_mul_u32_u24_e32 v101, 0x10001, v101
	;; [unrolled: 1-line block ×7, first 2 shown]
	v_lshrrev_b32_e32 v185, 16, v98
	v_lshrrev_b32_e32 v186, 16, v99
	v_and_b32_e32 v97, 0xffff, v97
	v_and_b32_e32 v98, 0xffff, v98
	;; [unrolled: 1-line block ×3, first 2 shown]
	v_lshrrev_b32_e32 v187, 16, v92
	v_and_b32_e32 v92, 0xffff, v92
	v_pk_mul_f16 v154, v154, v155
	v_pk_mul_f16 v151, v151, v156
	v_pk_mul_f16 v152, v152, v156
	v_pk_mul_f16 v144, v144, v159
	v_pk_mul_f16 v147, v147, v159
	v_pk_mul_f16 v132, v132, v160
	v_pk_mul_f16 v133, v133, v160
	v_pk_mul_f16 v130, v130, v162
	v_pk_mul_f16 v131, v131, v162
	v_pk_mul_f16 v126, v126, v161
	v_pk_mul_f16 v127, v127, v161
	v_pk_mul_f16 v124, v124, v157
	v_pk_mul_f16 v125, v125, v157
	v_pk_mul_f16 v123, v123, v158
	v_pk_mul_f16 v122, v122, v158
	v_pk_fma_f16 v153, v36, v100, v153
	v_mul_u32_u24_e32 v97, 0x10001, v97
	v_mul_u32_u24_e32 v184, 0x10001, v184
	;; [unrolled: 1-line block ×6, first 2 shown]
	v_lshrrev_b32_e32 v188, 16, v93
	v_lshrrev_b32_e32 v190, 16, v95
	v_and_b32_e32 v93, 0xffff, v93
	v_mul_u32_u24_e32 v92, 0x10001, v92
	v_and_b32_e32 v95, 0xffff, v95
	v_and_b32_e32 v88, 0xffff, v88
	v_pk_fma_f16 v151, v36, v179, v151
	v_pk_fma_f16 v144, v36, v101, v144
	;; [unrolled: 1-line block ×16, first 2 shown]
	v_mul_u32_u24_e32 v187, 0x10001, v187
	v_mul_u32_u24_e32 v93, 0x10001, v93
	;; [unrolled: 1-line block ×7, first 2 shown]
	v_lshrrev_b32_e32 v192, 16, v89
	v_lshrrev_b32_e32 v193, 16, v90
	v_and_b32_e32 v89, 0xffff, v89
	v_mul_u32_u24_e32 v88, 0x10001, v88
	v_and_b32_e32 v90, 0xffff, v90
	v_pk_fma_f16 v125, v38, v183, v151
	v_pk_fma_f16 v131, v38, v97, v144
	;; [unrolled: 1-line block ×16, first 2 shown]
	v_mul_u32_u24_e32 v191, 0x10001, v191
	v_mul_u32_u24_e32 v89, 0x10001, v89
	;; [unrolled: 1-line block ×5, first 2 shown]
	v_pk_fma_f16 v102, v32, v187, v125
	v_pk_fma_f16 v103, v32, v93, v131
	;; [unrolled: 1-line block ×32, first 2 shown]
	v_lshrrev_b32_e32 v205, 16, v78
	v_lshrrev_b32_e32 v206, 16, v79
	v_and_b32_e32 v77, 0xffff, v77
	v_mul_u32_u24_e32 v76, 0x10001, v76
	v_and_b32_e32 v78, 0xffff, v78
	v_and_b32_e32 v79, 0xffff, v79
	v_lshrrev_b32_e32 v207, 16, v72
	v_and_b32_e32 v72, 0xffff, v72
	v_pk_fma_f16 v37, v28, v195, v39
	v_pk_fma_f16 v39, v28, v85, v97
	v_pk_fma_f16 v92, v28, v196, v98
	v_pk_fma_f16 v93, v28, v86, v99
	v_pk_fma_f16 v94, v28, v197, v100
	v_pk_fma_f16 v95, v28, v87, v101
	v_pk_fma_f16 v28, v28, v198, v32
	v_pk_fma_f16 v32, v29, v84, v34
	v_pk_fma_f16 v34, v29, v195, v36
	v_pk_fma_f16 v36, v29, v85, v38
	v_pk_fma_f16 v38, v29, v196, v88
	v_pk_fma_f16 v84, v29, v86, v89
	v_pk_fma_f16 v85, v29, v197, v90
	v_pk_fma_f16 v86, v29, v87, v91
	v_pk_fma_f16 v29, v29, v198, v33
	v_pk_fma_f16 v33, v30, v80, v35
	v_mul_u32_u24_e32 v203, 0x10001, v203
	v_mul_u32_u24_e32 v77, 0x10001, v77
	v_mul_u32_u24_e32 v204, 0x10001, v204
	v_mul_u32_u24_e32 v78, 0x10001, v78
	v_mul_u32_u24_e32 v205, 0x10001, v205
	v_mul_u32_u24_e32 v79, 0x10001, v79
	v_mul_u32_u24_e32 v206, 0x10001, v206
	v_lshrrev_b32_e32 v208, 16, v73
	v_lshrrev_b32_e32 v209, 16, v74
	v_lshrrev_b32_e32 v210, 16, v75
	v_and_b32_e32 v73, 0xffff, v73
	v_mul_u32_u24_e32 v72, 0x10001, v72
	v_and_b32_e32 v74, 0xffff, v74
	v_and_b32_e32 v75, 0xffff, v75
	v_lshrrev_b32_e32 v211, 16, v68
	v_and_b32_e32 v68, 0xffff, v68
	v_pk_fma_f16 v35, v30, v199, v37
	v_pk_fma_f16 v37, v30, v81, v39
	v_pk_fma_f16 v39, v30, v200, v92
	v_pk_fma_f16 v87, v30, v82, v93
	v_pk_fma_f16 v88, v30, v201, v94
	v_pk_fma_f16 v89, v30, v83, v95
	v_pk_fma_f16 v28, v30, v202, v28
	v_pk_fma_f16 v30, v31, v80, v32
	v_pk_fma_f16 v32, v31, v199, v34
	v_pk_fma_f16 v34, v31, v81, v36
	v_pk_fma_f16 v36, v31, v200, v38
	v_pk_fma_f16 v38, v31, v82, v84
	v_pk_fma_f16 v80, v31, v201, v85
	v_pk_fma_f16 v81, v31, v83, v86
	v_pk_fma_f16 v29, v31, v202, v29
	v_pk_fma_f16 v31, v24, v76, v33
	v_mul_u32_u24_e32 v207, 0x10001, v207
	v_mul_u32_u24_e32 v73, 0x10001, v73
	v_mul_u32_u24_e32 v208, 0x10001, v208
	v_mul_u32_u24_e32 v74, 0x10001, v74
	v_mul_u32_u24_e32 v209, 0x10001, v209
	v_mul_u32_u24_e32 v75, 0x10001, v75
	v_mul_u32_u24_e32 v210, 0x10001, v210
	v_lshrrev_b32_e32 v212, 16, v69
	;; [unrolled: 32-line block ×8, first 2 shown]
	v_lshrrev_b32_e32 v237, 16, v46
	v_lshrrev_b32_e32 v238, 16, v47
	v_and_b32_e32 v45, 0xffff, v45
	v_mul_u32_u24_e32 v44, 0x10001, v44
	v_and_b32_e32 v46, 0xffff, v46
	v_and_b32_e32 v47, 0xffff, v47
	v_lshrrev_b32_e32 v239, 16, v40
	v_and_b32_e32 v40, 0xffff, v40
	v_pk_fma_f16 v21, v12, v227, v23
	v_pk_fma_f16 v23, v12, v53, v25
	;; [unrolled: 1-line block ×16, first 2 shown]
	v_mul_u32_u24_e32 v235, 0x10001, v235
	v_mul_u32_u24_e32 v45, 0x10001, v45
	;; [unrolled: 1-line block ×8, first 2 shown]
	v_pk_fma_f16 v19, v14, v231, v21
	v_pk_fma_f16 v21, v14, v49, v23
	;; [unrolled: 1-line block ×32, first 2 shown]
	s_wait_loadcnt_dscnt 0x0
	s_barrier_signal -1
	s_barrier_wait -1
	global_inv scope:SCOPE_SE
	ds_load_b128 v[12:15], v142 offset:256
	v_lshrrev_b32_e32 v240, 16, v41
	v_lshrrev_b32_e32 v241, 16, v42
	v_lshrrev_b32_e32 v242, 16, v43
	v_and_b32_e32 v41, 0xffff, v41
	v_and_b32_e32 v42, 0xffff, v42
	;; [unrolled: 1-line block ×3, first 2 shown]
	v_mul_u32_u24_e32 v239, 0x10001, v239
	v_mul_u32_u24_e32 v240, 0x10001, v240
	v_mul_u32_u24_e32 v41, 0x10001, v41
	v_mul_u32_u24_e32 v42, 0x10001, v42
	v_mul_u32_u24_e32 v241, 0x10001, v241
	v_mul_u32_u24_e32 v43, 0x10001, v43
	v_mul_u32_u24_e32 v242, 0x10001, v242
	v_pk_fma_f16 v30, v10, v239, v17
	v_pk_fma_f16 v31, v10, v41, v19
	;; [unrolled: 1-line block ×15, first 2 shown]
	ds_load_2addr_b64 v[8:11], v178 offset1:24
	ds_load_b128 v[16:19], v142 offset:272
	ds_load_b128 v[20:23], v142 offset:288
	;; [unrolled: 1-line block ×3, first 2 shown]
	s_wait_dscnt 0x4
	v_lshrrev_b32_e32 v44, 16, v12
	v_and_b32_e32 v12, 0xffff, v12
	v_lshrrev_b32_e32 v45, 16, v13
	v_lshrrev_b32_e32 v46, 16, v14
	;; [unrolled: 1-line block ×3, first 2 shown]
	v_and_b32_e32 v13, 0xffff, v13
	v_and_b32_e32 v14, 0xffff, v14
	;; [unrolled: 1-line block ×3, first 2 shown]
	v_mul_u32_u24_e32 v12, 0x10001, v12
	v_mul_u32_u24_e32 v44, 0x10001, v44
	;; [unrolled: 1-line block ×8, first 2 shown]
	s_wait_dscnt 0x3
	v_pk_fma_f16 v29, v8, v12, v29
	v_pk_fma_f16 v30, v8, v44, v30
	;; [unrolled: 1-line block ×15, first 2 shown]
	s_wait_dscnt 0x2
	v_lshrrev_b32_e32 v15, 16, v16
	v_and_b32_e32 v16, 0xffff, v16
	v_lshrrev_b32_e32 v39, 16, v17
	v_lshrrev_b32_e32 v40, 16, v18
	;; [unrolled: 1-line block ×3, first 2 shown]
	v_and_b32_e32 v17, 0xffff, v17
	v_and_b32_e32 v18, 0xffff, v18
	;; [unrolled: 1-line block ×3, first 2 shown]
	v_mul_u32_u24_e32 v16, 0x10001, v16
	v_mul_u32_u24_e32 v15, 0x10001, v15
	v_mul_u32_u24_e32 v17, 0x10001, v17
	v_mul_u32_u24_e32 v39, 0x10001, v39
	v_mul_u32_u24_e32 v18, 0x10001, v18
	v_mul_u32_u24_e32 v40, 0x10001, v40
	v_mul_u32_u24_e32 v19, 0x10001, v19
	v_mul_u32_u24_e32 v41, 0x10001, v41
	v_pk_fma_f16 v29, v10, v16, v29
	v_pk_fma_f16 v30, v10, v15, v30
	;; [unrolled: 1-line block ×12, first 2 shown]
	ds_load_2addr_b64 v[12:15], v178 offset0:48 offset1:72
	v_pk_fma_f16 v9, v9, v47, v43
	v_pk_fma_f16 v28, v11, v39, v36
	;; [unrolled: 1-line block ×4, first 2 shown]
	s_wait_dscnt 0x2
	v_lshrrev_b32_e32 v37, 16, v21
	v_pk_fma_f16 v9, v11, v41, v9
	v_lshrrev_b32_e32 v11, 16, v20
	v_and_b32_e32 v20, 0xffff, v20
	v_lshrrev_b32_e32 v38, 16, v22
	v_lshrrev_b32_e32 v39, 16, v23
	v_and_b32_e32 v21, 0xffff, v21
	v_and_b32_e32 v22, 0xffff, v22
	;; [unrolled: 1-line block ×3, first 2 shown]
	v_mul_u32_u24_e32 v20, 0x10001, v20
	v_mul_u32_u24_e32 v11, 0x10001, v11
	;; [unrolled: 1-line block ×8, first 2 shown]
	s_wait_dscnt 0x0
	v_pk_fma_f16 v29, v12, v20, v29
	v_pk_fma_f16 v30, v12, v11, v30
	;; [unrolled: 1-line block ×16, first 2 shown]
	v_lshrrev_b32_e32 v8, 16, v24
	v_and_b32_e32 v9, 0xffff, v24
	v_lshrrev_b32_e32 v10, 16, v25
	v_lshrrev_b32_e32 v11, 16, v26
	v_and_b32_e32 v24, 0xffff, v25
	v_lshrrev_b32_e32 v19, 16, v27
	v_mul_u32_u24_e32 v25, 0x10001, v9
	v_and_b32_e32 v9, 0xffff, v26
	v_mul_u32_u24_e32 v26, 0x10001, v8
	v_and_b32_e32 v8, 0xffff, v27
	v_mul_u32_u24_e32 v27, 0x10001, v10
	v_mul_u32_u24_e32 v36, 0x10001, v11
	;; [unrolled: 1-line block ×5, first 2 shown]
	ds_load_b128 v[8:11], v142 offset:320
	v_mul_u32_u24_e32 v38, 0x10001, v19
	v_pk_fma_f16 v29, v14, v25, v29
	v_pk_fma_f16 v30, v14, v26, v30
	;; [unrolled: 1-line block ×14, first 2 shown]
	ds_load_2addr_b64 v[16:19], v178 offset0:96 offset1:120
	v_pk_fma_f16 v23, v15, v37, v23
	v_pk_fma_f16 v27, v15, v38, v13
	ds_load_b128 v[12:15], v142 offset:336
	s_wait_dscnt 0x2
	v_lshrrev_b32_e32 v28, 16, v8
	v_and_b32_e32 v8, 0xffff, v8
	v_lshrrev_b32_e32 v36, 16, v9
	v_and_b32_e32 v9, 0xffff, v9
	v_lshrrev_b32_e32 v37, 16, v10
	v_lshrrev_b32_e32 v38, 16, v11
	v_mul_u32_u24_e32 v8, 0x10001, v8
	v_and_b32_e32 v10, 0xffff, v10
	v_and_b32_e32 v11, 0xffff, v11
	v_mul_u32_u24_e32 v9, 0x10001, v9
	v_mul_u32_u24_e32 v28, 0x10001, v28
	;; [unrolled: 1-line block ×7, first 2 shown]
	s_wait_dscnt 0x1
	v_pk_fma_f16 v29, v16, v8, v29
	v_pk_fma_f16 v31, v16, v9, v31
	;; [unrolled: 1-line block ×4, first 2 shown]
	s_wait_dscnt 0x0
	v_lshrrev_b32_e32 v8, 16, v12
	v_and_b32_e32 v9, 0xffff, v12
	v_pk_fma_f16 v33, v16, v10, v33
	v_pk_fma_f16 v35, v16, v11, v35
	;; [unrolled: 1-line block ×8, first 2 shown]
	v_lshrrev_b32_e32 v10, 16, v13
	v_lshrrev_b32_e32 v11, 16, v14
	v_mul_u32_u24_e32 v27, 0x10001, v9
	v_and_b32_e32 v9, 0xffff, v14
	v_mul_u32_u24_e32 v14, 0x10001, v8
	v_and_b32_e32 v8, 0xffff, v15
	v_pk_fma_f16 v30, v16, v28, v30
	v_pk_fma_f16 v32, v16, v36, v32
	;; [unrolled: 1-line block ×3, first 2 shown]
	v_lshrrev_b32_e32 v12, 16, v15
	v_and_b32_e32 v13, 0xffff, v13
	v_mul_u32_u24_e32 v15, 0x10001, v10
	v_mul_u32_u24_e32 v28, 0x10001, v9
	v_mul_u32_u24_e32 v36, 0x10001, v11
	v_mul_u32_u24_e32 v37, 0x10001, v8
	ds_load_b128 v[8:11], v142 offset:352
	v_pk_fma_f16 v16, v16, v38, v39
	v_mul_u32_u24_e32 v13, 0x10001, v13
	v_mul_u32_u24_e32 v38, 0x10001, v12
	v_pk_fma_f16 v29, v18, v27, v29
	v_pk_fma_f16 v30, v18, v14, v30
	;; [unrolled: 1-line block ×14, first 2 shown]
	ds_load_2addr_b64 v[12:15], v178 offset0:144 offset1:168
	v_pk_fma_f16 v23, v19, v37, v23
	v_pk_fma_f16 v27, v19, v38, v17
	ds_load_b128 v[16:19], v142 offset:368
	s_wait_dscnt 0x2
	v_lshrrev_b32_e32 v28, 16, v8
	v_and_b32_e32 v8, 0xffff, v8
	v_lshrrev_b32_e32 v36, 16, v9
	v_and_b32_e32 v9, 0xffff, v9
	v_lshrrev_b32_e32 v37, 16, v10
	v_lshrrev_b32_e32 v38, 16, v11
	v_mul_u32_u24_e32 v8, 0x10001, v8
	v_and_b32_e32 v10, 0xffff, v10
	v_and_b32_e32 v11, 0xffff, v11
	v_mul_u32_u24_e32 v9, 0x10001, v9
	v_mul_u32_u24_e32 v28, 0x10001, v28
	;; [unrolled: 1-line block ×7, first 2 shown]
	s_wait_dscnt 0x1
	v_pk_fma_f16 v29, v12, v8, v29
	v_pk_fma_f16 v31, v12, v9, v31
	;; [unrolled: 1-line block ×4, first 2 shown]
	s_wait_dscnt 0x0
	v_lshrrev_b32_e32 v8, 16, v16
	v_and_b32_e32 v9, 0xffff, v16
	v_pk_fma_f16 v33, v12, v10, v33
	v_pk_fma_f16 v35, v12, v11, v35
	v_pk_fma_f16 v25, v13, v28, v25
	v_pk_fma_f16 v21, v13, v36, v21
	v_pk_fma_f16 v26, v13, v10, v26
	v_pk_fma_f16 v22, v13, v37, v22
	v_pk_fma_f16 v23, v13, v11, v23
	v_pk_fma_f16 v13, v13, v38, v27
	v_lshrrev_b32_e32 v10, 16, v17
	v_lshrrev_b32_e32 v11, 16, v18
	v_mul_u32_u24_e32 v27, 0x10001, v9
	v_and_b32_e32 v9, 0xffff, v18
	v_mul_u32_u24_e32 v18, 0x10001, v8
	v_and_b32_e32 v8, 0xffff, v19
	v_pk_fma_f16 v30, v12, v28, v30
	v_pk_fma_f16 v32, v12, v36, v32
	v_pk_fma_f16 v34, v12, v37, v34
	v_lshrrev_b32_e32 v16, 16, v19
	v_and_b32_e32 v17, 0xffff, v17
	v_mul_u32_u24_e32 v19, 0x10001, v10
	v_mul_u32_u24_e32 v28, 0x10001, v9
	;; [unrolled: 1-line block ×4, first 2 shown]
	ds_load_b128 v[8:11], v142 offset:384
	v_pk_fma_f16 v12, v12, v38, v39
	v_mul_u32_u24_e32 v17, 0x10001, v17
	v_mul_u32_u24_e32 v38, 0x10001, v16
	v_pk_fma_f16 v29, v14, v27, v29
	v_pk_fma_f16 v30, v14, v18, v30
	;; [unrolled: 1-line block ×14, first 2 shown]
	ds_load_2addr_b64 v[16:19], v178 offset0:192 offset1:216
	v_pk_fma_f16 v23, v15, v37, v23
	v_pk_fma_f16 v27, v15, v38, v13
	ds_load_b128 v[12:15], v142 offset:400
	s_wait_dscnt 0x2
	v_lshrrev_b32_e32 v28, 16, v8
	v_and_b32_e32 v8, 0xffff, v8
	v_lshrrev_b32_e32 v36, 16, v9
	v_and_b32_e32 v9, 0xffff, v9
	v_lshrrev_b32_e32 v37, 16, v10
	v_lshrrev_b32_e32 v38, 16, v11
	v_mul_u32_u24_e32 v8, 0x10001, v8
	v_and_b32_e32 v10, 0xffff, v10
	v_and_b32_e32 v11, 0xffff, v11
	v_mul_u32_u24_e32 v9, 0x10001, v9
	v_mul_u32_u24_e32 v28, 0x10001, v28
	;; [unrolled: 1-line block ×7, first 2 shown]
	s_wait_dscnt 0x1
	v_pk_fma_f16 v29, v16, v8, v29
	v_pk_fma_f16 v31, v16, v9, v31
	;; [unrolled: 1-line block ×4, first 2 shown]
	s_wait_dscnt 0x0
	v_lshrrev_b32_e32 v8, 16, v12
	v_and_b32_e32 v9, 0xffff, v12
	v_pk_fma_f16 v33, v16, v10, v33
	v_pk_fma_f16 v35, v16, v11, v35
	;; [unrolled: 1-line block ×8, first 2 shown]
	v_lshrrev_b32_e32 v10, 16, v13
	v_lshrrev_b32_e32 v11, 16, v14
	v_mul_u32_u24_e32 v27, 0x10001, v9
	v_and_b32_e32 v9, 0xffff, v14
	v_mul_u32_u24_e32 v14, 0x10001, v8
	v_and_b32_e32 v8, 0xffff, v15
	v_pk_fma_f16 v30, v16, v28, v30
	v_pk_fma_f16 v32, v16, v36, v32
	;; [unrolled: 1-line block ×3, first 2 shown]
	v_lshrrev_b32_e32 v12, 16, v15
	v_and_b32_e32 v13, 0xffff, v13
	v_mul_u32_u24_e32 v15, 0x10001, v10
	v_mul_u32_u24_e32 v28, 0x10001, v9
	;; [unrolled: 1-line block ×4, first 2 shown]
	ds_load_b128 v[8:11], v142 offset:416
	v_pk_fma_f16 v16, v16, v38, v39
	v_mul_u32_u24_e32 v13, 0x10001, v13
	v_mul_u32_u24_e32 v38, 0x10001, v12
	v_pk_fma_f16 v29, v18, v27, v29
	v_pk_fma_f16 v30, v18, v14, v30
	;; [unrolled: 1-line block ×14, first 2 shown]
	ds_load_2addr_b64 v[12:15], v177 offset0:112 offset1:136
	v_pk_fma_f16 v23, v19, v37, v23
	v_pk_fma_f16 v27, v19, v38, v17
	ds_load_b128 v[16:19], v142 offset:432
	s_wait_dscnt 0x2
	v_lshrrev_b32_e32 v28, 16, v8
	v_and_b32_e32 v8, 0xffff, v8
	v_lshrrev_b32_e32 v36, 16, v9
	v_and_b32_e32 v9, 0xffff, v9
	v_lshrrev_b32_e32 v37, 16, v10
	v_lshrrev_b32_e32 v38, 16, v11
	v_mul_u32_u24_e32 v8, 0x10001, v8
	v_and_b32_e32 v10, 0xffff, v10
	v_and_b32_e32 v11, 0xffff, v11
	v_mul_u32_u24_e32 v9, 0x10001, v9
	v_mul_u32_u24_e32 v28, 0x10001, v28
	;; [unrolled: 1-line block ×7, first 2 shown]
	s_wait_dscnt 0x1
	v_pk_fma_f16 v29, v12, v8, v29
	v_pk_fma_f16 v31, v12, v9, v31
	;; [unrolled: 1-line block ×4, first 2 shown]
	s_wait_dscnt 0x0
	v_lshrrev_b32_e32 v8, 16, v16
	v_and_b32_e32 v9, 0xffff, v16
	v_pk_fma_f16 v33, v12, v10, v33
	v_pk_fma_f16 v35, v12, v11, v35
	;; [unrolled: 1-line block ×8, first 2 shown]
	v_lshrrev_b32_e32 v10, 16, v17
	v_lshrrev_b32_e32 v11, 16, v18
	v_mul_u32_u24_e32 v27, 0x10001, v9
	v_and_b32_e32 v9, 0xffff, v18
	v_mul_u32_u24_e32 v18, 0x10001, v8
	v_and_b32_e32 v8, 0xffff, v19
	v_pk_fma_f16 v30, v12, v28, v30
	v_pk_fma_f16 v32, v12, v36, v32
	;; [unrolled: 1-line block ×3, first 2 shown]
	v_lshrrev_b32_e32 v16, 16, v19
	v_and_b32_e32 v17, 0xffff, v17
	v_mul_u32_u24_e32 v19, 0x10001, v10
	v_mul_u32_u24_e32 v28, 0x10001, v9
	;; [unrolled: 1-line block ×4, first 2 shown]
	ds_load_b128 v[8:11], v142 offset:448
	v_pk_fma_f16 v12, v12, v38, v39
	v_mul_u32_u24_e32 v17, 0x10001, v17
	v_mul_u32_u24_e32 v38, 0x10001, v16
	v_pk_fma_f16 v29, v14, v27, v29
	v_pk_fma_f16 v30, v14, v18, v30
	;; [unrolled: 1-line block ×14, first 2 shown]
	ds_load_2addr_b64 v[16:19], v176 offset0:32 offset1:56
	v_pk_fma_f16 v23, v15, v37, v23
	v_pk_fma_f16 v27, v15, v38, v13
	ds_load_b128 v[12:15], v142 offset:464
	s_wait_dscnt 0x2
	v_lshrrev_b32_e32 v28, 16, v8
	v_and_b32_e32 v8, 0xffff, v8
	v_lshrrev_b32_e32 v36, 16, v9
	v_and_b32_e32 v9, 0xffff, v9
	v_lshrrev_b32_e32 v37, 16, v10
	v_lshrrev_b32_e32 v38, 16, v11
	v_mul_u32_u24_e32 v8, 0x10001, v8
	v_and_b32_e32 v10, 0xffff, v10
	v_and_b32_e32 v11, 0xffff, v11
	v_mul_u32_u24_e32 v9, 0x10001, v9
	v_mul_u32_u24_e32 v28, 0x10001, v28
	v_mul_u32_u24_e32 v36, 0x10001, v36
	v_mul_u32_u24_e32 v10, 0x10001, v10
	v_mul_u32_u24_e32 v37, 0x10001, v37
	v_mul_u32_u24_e32 v11, 0x10001, v11
	v_mul_u32_u24_e32 v38, 0x10001, v38
	s_wait_dscnt 0x1
	v_pk_fma_f16 v29, v16, v8, v29
	v_pk_fma_f16 v31, v16, v9, v31
	;; [unrolled: 1-line block ×4, first 2 shown]
	s_wait_dscnt 0x0
	v_lshrrev_b32_e32 v8, 16, v12
	v_and_b32_e32 v9, 0xffff, v12
	v_pk_fma_f16 v33, v16, v10, v33
	v_pk_fma_f16 v35, v16, v11, v35
	;; [unrolled: 1-line block ×8, first 2 shown]
	v_lshrrev_b32_e32 v10, 16, v13
	v_lshrrev_b32_e32 v11, 16, v14
	v_mul_u32_u24_e32 v27, 0x10001, v9
	v_and_b32_e32 v9, 0xffff, v14
	v_mul_u32_u24_e32 v14, 0x10001, v8
	v_and_b32_e32 v8, 0xffff, v15
	v_pk_fma_f16 v30, v16, v28, v30
	v_pk_fma_f16 v32, v16, v36, v32
	;; [unrolled: 1-line block ×3, first 2 shown]
	v_lshrrev_b32_e32 v12, 16, v15
	v_and_b32_e32 v13, 0xffff, v13
	v_mul_u32_u24_e32 v15, 0x10001, v10
	v_mul_u32_u24_e32 v28, 0x10001, v9
	;; [unrolled: 1-line block ×4, first 2 shown]
	ds_load_b128 v[8:11], v142 offset:480
	v_pk_fma_f16 v16, v16, v38, v39
	v_mul_u32_u24_e32 v13, 0x10001, v13
	v_mul_u32_u24_e32 v38, 0x10001, v12
	v_pk_fma_f16 v29, v18, v27, v29
	v_pk_fma_f16 v30, v18, v14, v30
	;; [unrolled: 1-line block ×14, first 2 shown]
	ds_load_2addr_b64 v[12:15], v176 offset0:80 offset1:104
	v_pk_fma_f16 v23, v19, v37, v23
	v_pk_fma_f16 v27, v19, v38, v17
	ds_load_b128 v[16:19], v142 offset:496
	s_wait_loadcnt_dscnt 0x0
	s_barrier_signal -1
	s_barrier_wait -1
	global_inv scope:SCOPE_SE
	s_load_b32 s6, s[36:37], 0x4
	v_lshrrev_b32_e32 v28, 16, v8
	v_and_b32_e32 v8, 0xffff, v8
	v_lshrrev_b32_e32 v36, 16, v9
	v_lshrrev_b32_e32 v37, 16, v10
	;; [unrolled: 1-line block ×3, first 2 shown]
	v_and_b32_e32 v9, 0xffff, v9
	v_and_b32_e32 v10, 0xffff, v10
	;; [unrolled: 1-line block ×3, first 2 shown]
	v_mul_u32_u24_e32 v8, 0x10001, v8
	v_mul_u32_u24_e32 v28, 0x10001, v28
	;; [unrolled: 1-line block ×8, first 2 shown]
	v_pk_fma_f16 v29, v12, v8, v29
	v_pk_fma_f16 v31, v12, v9, v31
	;; [unrolled: 1-line block ×9, first 2 shown]
	v_lshrrev_b32_e32 v23, 16, v16
	v_and_b32_e32 v16, 0xffff, v16
	v_lshrrev_b32_e32 v24, 16, v17
	v_and_b32_e32 v17, 0xffff, v17
	v_lshrrev_b32_e32 v25, 16, v18
	v_lshrrev_b32_e32 v26, 16, v19
	v_and_b32_e32 v18, 0xffff, v18
	v_and_b32_e32 v19, 0xffff, v19
	v_pk_fma_f16 v30, v12, v28, v30
	v_pk_fma_f16 v32, v12, v36, v32
	;; [unrolled: 1-line block ×7, first 2 shown]
	v_mul_u32_u24_e32 v16, 0x10001, v16
	v_mul_u32_u24_e32 v23, 0x10001, v23
	v_mul_u32_u24_e32 v17, 0x10001, v17
	v_mul_u32_u24_e32 v24, 0x10001, v24
	v_mul_u32_u24_e32 v18, 0x10001, v18
	v_mul_u32_u24_e32 v25, 0x10001, v25
	v_mul_u32_u24_e32 v19, 0x10001, v19
	v_mul_u32_u24_e32 v26, 0x10001, v26
	s_wait_kmcnt 0x0
	s_lshl_b32 s6, s6, 5
	v_pk_fma_f16 v153, v14, v16, v29
	v_pk_fma_f16 v151, v14, v23, v30
	;; [unrolled: 1-line block ×16, first 2 shown]
	s_wait_alu 0xfffe
	s_add_co_i32 s46, s6, s46
	s_wait_alu 0xfffe
	s_cmp_ge_i32 s46, s42
	s_cbranch_scc1 .LBB33_41
; %bb.40:                               ;   in Loop: Header=BB33_23 Depth=1
	v_dual_mov_b32 v8, v0 :: v_dual_mov_b32 v9, v1
	v_dual_mov_b32 v10, v2 :: v_dual_mov_b32 v11, v3
	v_dual_mov_b32 v12, v4 :: v_dual_mov_b32 v13, v5
	v_dual_mov_b32 v14, v6 :: v_dual_mov_b32 v15, v7
	v_dual_mov_b32 v161, v175 :: v_dual_mov_b32 v162, v174
	v_dual_mov_b32 v160, v173 :: v_dual_mov_b32 v157, v172
	v_dual_mov_b32 v158, v171 :: v_dual_mov_b32 v159, v170
	v_dual_mov_b32 v155, v169 :: v_dual_mov_b32 v156, v168
	s_branch .LBB33_23
.LBB33_41:
	v_mov_b32_e32 v8, v129
.LBB33_42:
	v_cmp_lt_i32_e32 vcc_lo, v165, v128
	s_cmp_lg_u64 s[24:25], 0
	s_cselect_b32 s3, -1, 0
	s_cmp_eq_u32 s26, 0
	s_wait_alu 0xfffd
	v_cndmask_b32_e32 v9, v8, v165, vcc_lo
	v_cmp_lt_i32_e32 vcc_lo, v163, v128
	s_cselect_b32 s4, -1, 0
	s_wait_alu 0xfffe
	s_and_b32 s3, s4, s3
	v_lshlrev_b32_e32 v9, 2, v9
	ds_bpermute_b32 v12, v9, v173
	s_wait_dscnt 0x0
	v_add_f32_e32 v12, v173, v12
	ds_bpermute_b32 v14, v9, v171
	ds_bpermute_b32 v16, v9, v169
	;; [unrolled: 1-line block ×3, first 2 shown]
	s_wait_alu 0xfffd
	v_cndmask_b32_e32 v17, v8, v163, vcc_lo
	ds_bpermute_b32 v11, v9, v174
	ds_bpermute_b32 v13, v9, v172
	;; [unrolled: 1-line block ×4, first 2 shown]
	v_cmp_lt_i32_e32 vcc_lo, v164, v128
	s_wait_dscnt 0x6
	v_dual_add_f32 v14, v171, v14 :: v_dual_lshlrev_b32 v17, 2, v17
	s_wait_dscnt 0x5
	v_add_f32_e32 v16, v169, v16
	s_wait_dscnt 0x4
	v_add_f32_e32 v10, v175, v10
	ds_bpermute_b32 v20, v17, v12
	s_wait_dscnt 0x4
	v_add_f32_e32 v11, v174, v11
	ds_bpermute_b32 v18, v17, v10
	ds_bpermute_b32 v22, v17, v14
	;; [unrolled: 1-line block ×3, first 2 shown]
	s_wait_dscnt 0x6
	v_add_f32_e32 v13, v172, v13
	s_wait_dscnt 0x5
	v_add_f32_e32 v15, v170, v15
	s_wait_dscnt 0x4
	v_add_f32_e32 v9, v168, v9
	s_wait_dscnt 0x3
	v_add_f32_e32 v12, v12, v20
	ds_bpermute_b32 v19, v17, v11
	s_wait_dscnt 0x3
	s_wait_alu 0xfffd
	v_dual_add_f32 v10, v10, v18 :: v_dual_cndmask_b32 v25, v8, v164
	ds_bpermute_b32 v21, v17, v13
	s_wait_dscnt 0x3
	v_add_f32_e32 v14, v14, v22
	s_wait_dscnt 0x2
	v_add_f32_e32 v16, v16, v24
	ds_bpermute_b32 v23, v17, v15
	v_lshlrev_b32_e32 v25, 2, v25
	ds_bpermute_b32 v17, v17, v9
	v_cmp_lt_i32_e32 vcc_lo, v166, v128
	s_wait_dscnt 0x3
	v_add_f32_e32 v11, v11, v19
	ds_bpermute_b32 v19, v25, v12
	s_wait_dscnt 0x2
	v_add_f32_e32 v15, v15, v23
	s_wait_dscnt 0x0
	v_dual_add_f32 v9, v9, v17 :: v_dual_add_f32 v12, v12, v19
	ds_bpermute_b32 v17, v25, v10
	ds_bpermute_b32 v23, v25, v16
	v_add_f32_e32 v13, v13, v21
	ds_bpermute_b32 v21, v25, v14
	ds_bpermute_b32 v22, v25, v15
	;; [unrolled: 1-line block ×3, first 2 shown]
	s_wait_dscnt 0x4
	v_add_f32_e32 v10, v10, v17
	s_wait_dscnt 0x3
	v_add_f32_e32 v16, v16, v23
	ds_bpermute_b32 v20, v25, v13
	s_wait_dscnt 0x3
	v_add_f32_e32 v14, v14, v21
	ds_bpermute_b32 v18, v25, v11
	s_wait_alu 0xfffd
	v_cndmask_b32_e32 v25, v8, v166, vcc_lo
	v_cmp_lt_i32_e32 vcc_lo, v167, v128
	s_wait_alu 0xfffd
	s_delay_alu instid0(VALU_DEP_2)
	v_dual_cndmask_b32 v8, v8, v167 :: v_dual_lshlrev_b32 v25, 2, v25
	s_wait_alu 0xfffe
	s_and_b32 vcc_lo, exec_lo, s3
	ds_bpermute_b32 v19, v25, v12
	v_lshlrev_b32_e32 v8, 2, v8
	s_wait_dscnt 0x0
	v_add_f32_e32 v12, v12, v19
	ds_bpermute_b32 v17, v25, v10
	ds_bpermute_b32 v21, v25, v14
	ds_bpermute_b32 v23, v25, v16
	v_add_f32_e32 v11, v11, v18
	ds_bpermute_b32 v19, v8, v12
	v_add_f32_e32 v9, v9, v24
	v_add_f32_e32 v13, v13, v20
	ds_bpermute_b32 v24, v25, v9
	s_wait_dscnt 0x4
	v_add_f32_e32 v10, v10, v17
	s_wait_dscnt 0x3
	v_add_f32_e32 v14, v14, v21
	ds_bpermute_b32 v18, v25, v11
	s_wait_dscnt 0x3
	v_add_f32_e32 v16, v16, v23
	ds_bpermute_b32 v20, v25, v13
	ds_bpermute_b32 v21, v8, v14
	;; [unrolled: 1-line block ×3, first 2 shown]
	s_wait_dscnt 0x4
	v_add_f32_e32 v17, v9, v24
	ds_bpermute_b32 v9, v8, v10
	v_add_f32_e32 v15, v15, v22
	ds_bpermute_b32 v24, v8, v17
	ds_bpermute_b32 v22, v25, v15
	s_wait_dscnt 0x6
	v_add_f32_e32 v11, v11, v18
	s_wait_dscnt 0x5
	v_add_f32_e32 v13, v13, v20
	ds_bpermute_b32 v18, v8, v11
	ds_bpermute_b32 v20, v8, v13
	s_wait_dscnt 0x2
	v_add_f32_e32 v15, v15, v22
	ds_bpermute_b32 v22, v8, v15
	v_add_f32_e32 v8, v10, v9
	v_add_f32_e32 v10, v12, v19
	;; [unrolled: 1-line block ×3, first 2 shown]
	s_wait_dscnt 0x2
	v_dual_add_f32 v14, v16, v23 :: v_dual_add_f32 v9, v11, v18
	s_wait_dscnt 0x1
	v_add_f32_e32 v11, v13, v20
	s_wait_dscnt 0x0
	v_add_f32_e32 v13, v15, v22
	v_add_f32_e32 v15, v17, v24
	s_wait_alu 0xfffe
	s_cbranch_vccz .LBB33_45
; %bb.43:
	s_ashr_i32 s35, s34, 31
	v_dual_mov_b32 v16, 0 :: v_dual_max_num_f32 v17, v1, v1
	s_lshl_b64 s[4:5], s[34:35], 2
	v_dual_max_num_f32 v20, v4, v4 :: v_dual_max_num_f32 v21, v5, v5
	s_wait_alu 0xfffe
	s_add_nc_u64 s[4:5], s[24:25], s[4:5]
	v_max_num_f32_e32 v19, v3, v3
	global_load_b64 v[24:25], v16, s[4:5]
	v_max_num_f32_e32 v16, v0, v0
	v_dual_max_num_f32 v18, v2, v2 :: v_dual_max_num_f32 v27, v7, v7
	s_wait_loadcnt 0x0
	v_dual_max_num_f32 v22, v24, v24 :: v_dual_max_num_f32 v23, v25, v25
	v_max_num_f32_e32 v26, v6, v6
	s_delay_alu instid0(VALU_DEP_2) | instskip(SKIP_2) | instid1(VALU_DEP_4)
	v_dual_max_num_f32 v16, v16, v22 :: v_dual_max_num_f32 v19, v19, v23
	v_dual_max_num_f32 v17, v17, v23 :: v_dual_max_num_f32 v18, v18, v22
	;; [unrolled: 1-line block ×4, first 2 shown]
	s_delay_alu instid0(VALU_DEP_4) | instskip(NEXT) | instid1(VALU_DEP_4)
	v_sub_f32_e32 v27, v24, v16
	v_dual_sub_f32 v26, v0, v16 :: v_dual_sub_f32 v29, v25, v17
	v_dual_sub_f32 v28, v1, v17 :: v_dual_sub_f32 v31, v24, v18
	;; [unrolled: 1-line block ×7, first 2 shown]
	v_dual_mov_b32 v0, v16 :: v_dual_mov_b32 v3, v19
	v_dual_sub_f32 v24, v24, v22 :: v_dual_mov_b32 v1, v17
	v_dual_mov_b32 v2, v18 :: v_dual_mov_b32 v5, v21
	v_dual_mov_b32 v4, v20 :: v_dual_mov_b32 v7, v23
	v_dual_mov_b32 v6, v22 :: v_dual_mul_f32 v17, 0x3fb8aa3b, v27
	v_dual_mul_f32 v16, 0x3fb8aa3b, v26 :: v_dual_mul_f32 v19, 0x3fb8aa3b, v29
	v_dual_mul_f32 v22, 0x3fb8aa3b, v32 :: v_dual_mul_f32 v41, 0x3fb8aa3b, v35
	;; [unrolled: 1-line block ×3, first 2 shown]
	s_delay_alu instid0(VALU_DEP_3)
	v_fma_f32 v48, 0x3fb8aa3b, v26, -v16
	v_rndne_f32_e32 v49, v16
	v_fma_f32 v50, 0x3fb8aa3b, v27, -v17
	v_rndne_f32_e32 v51, v17
	;; [unrolled: 2-line block ×3, first 2 shown]
	v_rndne_f32_e32 v67, v41
	s_delay_alu instid0(VALU_DEP_4) | instskip(NEXT) | instid1(VALU_DEP_3)
	v_dual_fmac_f32 v48, 0x32a5705f, v26 :: v_dual_sub_f32 v17, v17, v51
	v_dual_sub_f32 v16, v16, v49 :: v_dual_sub_f32 v19, v19, v55
	v_dual_mul_f32 v20, 0x3fb8aa3b, v30 :: v_dual_mul_f32 v23, 0x3fb8aa3b, v33
	v_fma_f32 v52, 0x3fb8aa3b, v28, -v18
	v_rndne_f32_e32 v53, v18
	v_fma_f32 v66, 0x3fb8aa3b, v35, -v41
	v_dual_fmac_f32 v54, 0x32a5705f, v29 :: v_dual_sub_f32 v41, v41, v67
	v_fmac_f32_e32 v50, 0x32a5705f, v27
	v_add_f32_e32 v16, v16, v48
	v_dual_mul_f32 v44, 0x3fb8aa3b, v38 :: v_dual_mul_f32 v45, 0x3fb8aa3b, v24
	v_rndne_f32_e32 v59, v21
	v_rndne_f32_e32 v63, v23
	v_fmac_f32_e32 v52, 0x32a5705f, v28
	v_dual_sub_f32 v18, v18, v53 :: v_dual_add_f32 v19, v19, v54
	v_dual_mul_f32 v46, 0x3fb8aa3b, v39 :: v_dual_add_f32 v17, v17, v50
	v_exp_f32_e32 v16, v16
	v_dual_mul_f32 v40, 0x3fb8aa3b, v34 :: v_dual_mul_f32 v43, 0x3fb8aa3b, v37
	v_fma_f32 v56, 0x3fb8aa3b, v30, -v20
	v_rndne_f32_e32 v57, v20
	v_fma_f32 v58, 0x3fb8aa3b, v31, -v21
	v_fma_f32 v62, 0x3fb8aa3b, v33, -v23
	;; [unrolled: 1-line block ×3, first 2 shown]
	v_rndne_f32_e32 v75, v45
	v_cvt_i32_f32_e32 v49, v49
	v_sub_f32_e32 v21, v21, v59
	v_dual_sub_f32 v23, v23, v63 :: v_dual_add_f32 v18, v18, v52
	v_exp_f32_e32 v17, v17
	v_rndne_f32_e32 v71, v43
	v_cvt_i32_f32_e32 v51, v51
	v_fmac_f32_e32 v56, 0x32a5705f, v30
	v_dual_sub_f32 v20, v20, v57 :: v_dual_sub_f32 v45, v45, v75
	v_fmac_f32_e32 v74, 0x32a5705f, v24
	v_fmac_f32_e32 v66, 0x32a5705f, v35
	v_exp_f32_e32 v18, v18
	v_ldexp_f32 v16, v16, v49
	v_cmp_ngt_f32_e32 vcc_lo, 0xc2ce8ed0, v26
	v_dual_mul_f32 v42, 0x3fb8aa3b, v36 :: v_dual_mul_f32 v47, 0x3fb8aa3b, v25
	v_fma_f32 v60, 0x3fb8aa3b, v32, -v22
	v_rndne_f32_e32 v61, v22
	v_fma_f32 v64, 0x3fb8aa3b, v34, -v40
	v_fma_f32 v70, 0x3fb8aa3b, v37, -v43
	v_cvt_i32_f32_e32 v53, v53
	v_dual_sub_f32 v43, v43, v71 :: v_dual_add_f32 v20, v20, v56
	v_dual_add_f32 v45, v45, v74 :: v_dual_fmac_f32 v62, 0x32a5705f, v33
	v_dual_add_f32 v41, v41, v66 :: v_dual_fmac_f32 v58, 0x32a5705f, v31
	v_exp_f32_e32 v19, v19
	v_ldexp_f32 v17, v17, v51
	s_wait_alu 0xfffd
	v_cndmask_b32_e32 v16, 0, v16, vcc_lo
	v_cmp_ngt_f32_e32 vcc_lo, 0xc2ce8ed0, v27
	v_rndne_f32_e32 v79, v47
	v_cvt_i32_f32_e32 v55, v55
	v_fmac_f32_e32 v60, 0x32a5705f, v32
	s_wait_alu 0xfffd
	v_dual_fmac_f32 v64, 0x32a5705f, v34 :: v_dual_cndmask_b32 v17, 0, v17
	v_dual_add_f32 v23, v23, v62 :: v_dual_sub_f32 v22, v22, v61
	v_add_f32_e32 v21, v21, v58
	v_exp_f32_e32 v20, v20
	v_ldexp_f32 v18, v18, v53
	v_cmp_ngt_f32_e32 vcc_lo, 0xc2ce8ed0, v28
	v_rndne_f32_e32 v69, v42
	v_fma_f32 v78, 0x3fb8aa3b, v25, -v47
	v_cvt_i32_f32_e32 v57, v57
	v_dual_sub_f32 v47, v47, v79 :: v_dual_add_f32 v22, v22, v60
	v_exp_f32_e32 v21, v21
	v_ldexp_f32 v19, v19, v55
	s_wait_alu 0xfffd
	v_cndmask_b32_e32 v18, 0, v18, vcc_lo
	v_cmp_ngt_f32_e32 vcc_lo, 0xc2ce8ed0, v29
	v_fma_f32 v68, 0x3fb8aa3b, v36, -v42
	v_cvt_i32_f32_e32 v59, v59
	v_sub_f32_e32 v42, v42, v69
	v_exp_f32_e32 v22, v22
	v_ldexp_f32 v20, v20, v57
	s_wait_alu 0xfffd
	v_cndmask_b32_e32 v19, 0, v19, vcc_lo
	v_cmp_ngt_f32_e32 vcc_lo, 0xc2ce8ed0, v30
	v_fma_f32 v72, 0x3fb8aa3b, v38, -v44
	v_cvt_i32_f32_e32 v61, v61
	v_exp_f32_e32 v23, v23
	v_ldexp_f32 v21, v21, v59
	s_wait_alu 0xfffd
	v_cndmask_b32_e32 v20, 0, v20, vcc_lo
	v_cmp_ngt_f32_e32 vcc_lo, 0xc2ce8ed0, v31
	v_cvt_i32_f32_e32 v63, v63
	v_fmac_f32_e32 v72, 0x32a5705f, v38
	v_ldexp_f32 v22, v22, v61
	v_rndne_f32_e32 v65, v40
	s_wait_alu 0xfffd
	v_cndmask_b32_e32 v21, 0, v21, vcc_lo
	v_cmp_ngt_f32_e32 vcc_lo, 0xc2ce8ed0, v32
	v_ldexp_f32 v23, v23, v63
	v_fmac_f32_e32 v78, 0x32a5705f, v25
	v_fmac_f32_e32 v68, 0x32a5705f, v36
	v_exp_f32_e32 v41, v41
	s_wait_alu 0xfffd
	v_cndmask_b32_e32 v22, 0, v22, vcc_lo
	v_cmp_ngt_f32_e32 vcc_lo, 0xc2ce8ed0, v33
	v_dual_fmac_f32 v70, 0x32a5705f, v37 :: v_dual_add_f32 v47, v47, v78
	v_add_f32_e32 v42, v42, v68
	v_cvt_i32_f32_e32 v67, v67
	s_wait_alu 0xfffd
	v_dual_cndmask_b32 v23, 0, v23 :: v_dual_sub_f32 v40, v40, v65
	v_add_f32_e32 v43, v43, v70
	v_cvt_i32_f32_e32 v65, v65
	v_exp_f32_e32 v42, v42
	v_cmp_ngt_f32_e32 vcc_lo, 0xc2ce8ed0, v34
	v_add_f32_e32 v40, v40, v64
	v_cvt_i32_f32_e32 v69, v69
	v_exp_f32_e32 v43, v43
	v_ldexp_f32 v41, v41, v67
	v_rndne_f32_e32 v73, v44
	v_exp_f32_e32 v40, v40
	v_cvt_i32_f32_e32 v71, v71
	v_exp_f32_e32 v45, v45
	v_ldexp_f32 v42, v42, v69
	v_exp_f32_e32 v47, v47
	v_fma_f32 v76, 0x3fb8aa3b, v39, -v46
	v_rndne_f32_e32 v77, v46
	v_ldexp_f32 v43, v43, v71
	v_cvt_i32_f32_e32 v75, v75
	v_cvt_i32_f32_e32 v79, v79
	v_ldexp_f32 v40, v40, v65
	s_delay_alu instid0(TRANS32_DEP_2) | instid1(VALU_DEP_3)
	v_ldexp_f32 v45, v45, v75
	s_delay_alu instid0(TRANS32_DEP_1) | instid1(VALU_DEP_3)
	v_ldexp_f32 v47, v47, v79
	s_wait_alu 0xfffd
	s_delay_alu instid0(VALU_DEP_3)
	v_cndmask_b32_e32 v40, 0, v40, vcc_lo
	v_cmp_ngt_f32_e32 vcc_lo, 0xc2ce8ed0, v35
	v_sub_f32_e32 v46, v46, v77
	v_cvt_i32_f32_e32 v77, v77
	s_wait_alu 0xfffd
	v_cndmask_b32_e32 v41, 0, v41, vcc_lo
	v_cmp_ngt_f32_e32 vcc_lo, 0xc2ce8ed0, v36
	s_wait_alu 0xfffd
	v_cndmask_b32_e32 v42, 0, v42, vcc_lo
	v_cmp_ngt_f32_e32 vcc_lo, 0xc2ce8ed0, v37
	v_sub_f32_e32 v44, v44, v73
	v_cvt_i32_f32_e32 v73, v73
	s_wait_alu 0xfffd
	s_delay_alu instid0(VALU_DEP_2) | instskip(SKIP_1) | instid1(VALU_DEP_2)
	v_dual_cndmask_b32 v43, 0, v43 :: v_dual_add_f32 v44, v44, v72
	v_cmp_ngt_f32_e32 vcc_lo, 0xc2ce8ed0, v38
	v_exp_f32_e32 v44, v44
	s_delay_alu instid0(TRANS32_DEP_1) | instskip(SKIP_1) | instid1(VALU_DEP_1)
	v_ldexp_f32 v44, v44, v73
	s_wait_alu 0xfffd
	v_cndmask_b32_e32 v44, 0, v44, vcc_lo
	v_cmp_ngt_f32_e32 vcc_lo, 0xc2ce8ed0, v24
	s_wait_alu 0xfffd
	v_dual_fmac_f32 v76, 0x32a5705f, v39 :: v_dual_cndmask_b32 v45, 0, v45
	s_delay_alu instid0(VALU_DEP_1) | instskip(SKIP_1) | instid1(VALU_DEP_2)
	v_add_f32_e32 v46, v46, v76
	v_cmp_ngt_f32_e32 vcc_lo, 0xc2ce8ed0, v39
	v_exp_f32_e32 v46, v46
	s_delay_alu instid0(TRANS32_DEP_1) | instskip(SKIP_1) | instid1(VALU_DEP_1)
	v_ldexp_f32 v46, v46, v77
	s_wait_alu 0xfffd
	v_cndmask_b32_e32 v46, 0, v46, vcc_lo
	v_cmp_ngt_f32_e32 vcc_lo, 0xc2ce8ed0, v25
	s_wait_alu 0xfffd
	v_cndmask_b32_e32 v47, 0, v47, vcc_lo
	v_cmp_nlt_f32_e32 vcc_lo, 0x42b17218, v26
	s_wait_alu 0xfffd
	v_cndmask_b32_e32 v26, 0x7f800000, v16, vcc_lo
	v_cmp_nlt_f32_e32 vcc_lo, 0x42b17218, v27
	;; [unrolled: 3-line block ×5, first 2 shown]
	s_wait_alu 0xfffd
	s_delay_alu instid0(VALU_DEP_2)
	v_dual_fmac_f32 v17, v9, v27 :: v_dual_cndmask_b32 v28, 0x7f800000, v20
	v_cmp_nlt_f32_e32 vcc_lo, 0x42b17218, v31
	v_cvt_f16_f32_e32 v9, v27
	s_wait_alu 0xfffd
	v_cndmask_b32_e32 v18, 0x7f800000, v21, vcc_lo
	v_cmp_nlt_f32_e32 vcc_lo, 0x42b17218, v32
	s_wait_alu 0xfffd
	s_delay_alu instid0(VALU_DEP_2)
	v_dual_fmac_f32 v18, v10, v28 :: v_dual_cndmask_b32 v29, 0x7f800000, v22
	v_cmp_nlt_f32_e32 vcc_lo, 0x42b17218, v33
	v_cvt_f16_f32_e32 v10, v28
	s_wait_alu 0xfffd
	v_cndmask_b32_e32 v19, 0x7f800000, v23, vcc_lo
	v_cmp_nlt_f32_e32 vcc_lo, 0x42b17218, v34
	;; [unrolled: 8-line block ×3, first 2 shown]
	s_delay_alu instid0(VALU_DEP_3) | instskip(NEXT) | instid1(VALU_DEP_3)
	v_and_b32_e32 v27, 0xffff, v11
	v_dual_mov_b32 v11, v19 :: v_dual_fmac_f32 v20, v12, v30
	s_wait_alu 0xfffd
	v_cndmask_b32_e32 v31, 0x7f800000, v42, vcc_lo
	v_cmp_nlt_f32_e32 vcc_lo, 0x42b17218, v37
	v_cvt_f16_f32_e32 v12, v30
	v_mul_u32_u24_e32 v27, 0x10001, v27
	s_wait_alu 0xfffd
	v_cndmask_b32_e32 v21, 0x7f800000, v43, vcc_lo
	v_cmp_nlt_f32_e32 vcc_lo, 0x42b17218, v38
	v_and_b32_e32 v28, 0xffff, v12
	v_mov_b32_e32 v12, v20
	v_pk_mul_f16 v132, v132, v27
	s_wait_alu 0xfffd
	v_dual_fmac_f32 v21, v13, v31 :: v_dual_cndmask_b32 v32, 0x7f800000, v44
	v_cmp_nlt_f32_e32 vcc_lo, 0x42b17218, v24
	v_cvt_f16_f32_e32 v13, v31
	v_mul_u32_u24_e32 v28, 0x10001, v28
	v_pk_mul_f16 v133, v133, v27
	s_wait_alu 0xfffd
	v_cndmask_b32_e32 v22, 0x7f800000, v45, vcc_lo
	v_cmp_nlt_f32_e32 vcc_lo, 0x42b17218, v39
	v_and_b32_e32 v29, 0xffff, v13
	v_mov_b32_e32 v13, v21
	v_pk_mul_f16 v130, v130, v28
	v_fmac_f32_e32 v22, v14, v32
	s_wait_alu 0xfffd
	v_cndmask_b32_e32 v24, 0x7f800000, v46, vcc_lo
	v_cmp_nlt_f32_e32 vcc_lo, 0x42b17218, v25
	v_cvt_f16_f32_e32 v14, v32
	v_and_b32_e32 v25, 0xffff, v9
	v_mul_u32_u24_e32 v29, 0x10001, v29
	v_mov_b32_e32 v9, v17
	s_wait_alu 0xfffd
	v_cndmask_b32_e32 v23, 0x7f800000, v47, vcc_lo
	v_and_b32_e32 v30, 0xffff, v14
	v_mul_u32_u24_e32 v25, 0x10001, v25
	v_mov_b32_e32 v14, v22
	v_pk_mul_f16 v131, v131, v28
	v_fmac_f32_e32 v23, v15, v24
	v_cvt_f16_f32_e32 v15, v24
	v_mul_u32_u24_e32 v30, 0x10001, v30
	v_pk_mul_f16 v151, v151, v25
	v_pk_mul_f16 v152, v152, v25
	;; [unrolled: 1-line block ×3, first 2 shown]
	v_and_b32_e32 v15, 0xffff, v15
	v_pk_mul_f16 v127, v127, v29
	v_pk_mul_f16 v124, v124, v30
	;; [unrolled: 1-line block ×3, first 2 shown]
	s_delay_alu instid0(VALU_DEP_4) | instskip(NEXT) | instid1(VALU_DEP_1)
	v_mul_u32_u24_e32 v15, 0x10001, v15
	v_pk_mul_f16 v123, v123, v15
	v_pk_mul_f16 v122, v122, v15
	v_dual_mov_b32 v15, v23 :: v_dual_fmac_f32 v16, v8, v26
	v_cvt_f16_f32_e32 v8, v26
	v_and_b32_e32 v26, 0xffff, v10
	v_mov_b32_e32 v10, v18
	s_delay_alu instid0(VALU_DEP_3) | instskip(NEXT) | instid1(VALU_DEP_3)
	v_and_b32_e32 v24, 0xffff, v8
	v_mul_u32_u24_e32 v26, 0x10001, v26
	v_mov_b32_e32 v8, v16
	s_delay_alu instid0(VALU_DEP_3) | instskip(NEXT) | instid1(VALU_DEP_3)
	v_mul_u32_u24_e32 v24, 0x10001, v24
	v_pk_mul_f16 v144, v144, v26
	v_pk_mul_f16 v147, v147, v26
	s_delay_alu instid0(VALU_DEP_3) | instskip(SKIP_3) | instid1(VALU_DEP_1)
	v_pk_mul_f16 v153, v153, v24
	v_pk_mul_f16 v154, v154, v24
	v_add_nc_u32_e32 v24, s33, v120
	s_mov_b32 s3, exec_lo
	v_cmpx_gt_i32_e64 s38, v24
	s_cbranch_execnz .LBB33_46
.LBB33_44:
	s_nop 0
	s_sendmsg sendmsg(MSG_DEALLOC_VGPRS)
	s_endpgm
.LBB33_45:
	s_delay_alu instid0(VALU_DEP_1)
	v_dual_mov_b32 v23, v15 :: v_dual_mov_b32 v22, v14
	v_dual_mov_b32 v21, v13 :: v_dual_mov_b32 v20, v12
	;; [unrolled: 1-line block ×4, first 2 shown]
	v_add_nc_u32_e32 v24, s33, v120
	s_mov_b32 s3, exec_lo
	s_delay_alu instid0(VALU_DEP_1)
	v_cmpx_gt_i32_e64 s38, v24
	s_cbranch_execz .LBB33_44
.LBB33_46:
	s_load_b32 s1, s[0:1], 0xd4
	v_mov_b32_e32 v26, 1.0
	s_wait_kmcnt 0x0
	s_cmp_lg_u32 s1, 1
	s_cselect_b32 s4, -1, 0
	s_cmp_eq_u32 s1, 1
	s_cselect_b32 s0, -1, 0
	s_wait_alu 0xfffe
	s_and_b32 vcc_lo, exec_lo, s4
	s_wait_alu 0xfffe
	s_cbranch_vccnz .LBB33_48
; %bb.47:
	v_div_scale_f32 v24, null, v8, v8, 1.0
	s_delay_alu instid0(VALU_DEP_1) | instskip(NEXT) | instid1(TRANS32_DEP_1)
	v_rcp_f32_e32 v25, v24
	v_fma_f32 v26, -v24, v25, 1.0
	s_delay_alu instid0(VALU_DEP_1) | instskip(SKIP_1) | instid1(VALU_DEP_1)
	v_fmac_f32_e32 v25, v26, v25
	v_div_scale_f32 v26, vcc_lo, 1.0, v8, 1.0
	v_mul_f32_e32 v27, v26, v25
	s_delay_alu instid0(VALU_DEP_1) | instskip(NEXT) | instid1(VALU_DEP_1)
	v_fma_f32 v28, -v24, v27, v26
	v_fmac_f32_e32 v27, v28, v25
	s_delay_alu instid0(VALU_DEP_1) | instskip(SKIP_1) | instid1(VALU_DEP_1)
	v_fma_f32 v24, -v24, v27, v26
	s_wait_alu 0xfffd
	v_div_fmas_f32 v24, v24, v25, v27
	s_delay_alu instid0(VALU_DEP_1)
	v_div_fixup_f32 v26, v24, v8, 1.0
.LBB33_48:
	s_mul_i32 s3, s40, s38
	s_wait_alu 0xfffe
	s_add_co_i32 s3, s3, s33
	s_wait_alu 0xfffe
	v_add_nc_u32_e32 v8, s3, v120
	s_delay_alu instid0(VALU_DEP_1) | instskip(NEXT) | instid1(VALU_DEP_1)
	v_mul_lo_u32 v8, v8, s39
	v_add_nc_u32_e32 v24, s34, v8
	s_delay_alu instid0(VALU_DEP_1)
	v_mad_co_u64_u32 v[24:25], null, s1, v24, s[26:27]
	s_and_saveexec_b32 s5, s2
	s_cbranch_execz .LBB33_50
; %bb.49:
	v_lshrrev_b32_e32 v25, 16, v154
	v_mad_co_u64_u32 v[27:28], null, 0x60, v24, v[104:105]
	v_lshrrev_b32_e32 v29, 16, v153
	v_cvt_f32_f16_e64 v32, v154
	s_delay_alu instid0(VALU_DEP_4) | instskip(SKIP_3) | instid1(VALU_DEP_4)
	v_cvt_f32_f16_e32 v25, v25
	v_mov_b32_e32 v28, 0
	v_cvt_f32_f16_e64 v33, v153
	v_cvt_f32_f16_e32 v34, v29
	v_mul_f32_e32 v29, v26, v25
	s_delay_alu instid0(VALU_DEP_4) | instskip(NEXT) | instid1(VALU_DEP_1)
	v_lshlrev_b64_e32 v[27:28], 2, v[27:28]
	v_add_co_u32 v30, vcc_lo, s28, v27
	s_wait_alu 0xfffd
	s_delay_alu instid0(VALU_DEP_2)
	v_add_co_ci_u32_e64 v31, null, s29, v28, vcc_lo
	v_mul_f32_e32 v28, v26, v32
	v_mul_f32_e32 v27, v26, v34
	;; [unrolled: 1-line block ×3, first 2 shown]
	global_store_b128 v[30:31], v[26:29], off
.LBB33_50:
	s_wait_alu 0xfffe
	s_or_b32 exec_lo, exec_lo, s5
	v_cmp_eq_u32_e32 vcc_lo, 0, v119
	s_and_b32 s4, vcc_lo, s4
	s_wait_alu 0xfffe
	s_and_saveexec_b32 s5, s4
	s_cbranch_execz .LBB33_52
; %bb.51:
	v_ashrrev_i32_e32 v25, 31, v24
	v_dual_mov_b32 v26, v0 :: v_dual_mov_b32 v27, v16
	s_delay_alu instid0(VALU_DEP_2) | instskip(NEXT) | instid1(VALU_DEP_1)
	v_lshlrev_b64_e32 v[24:25], 3, v[24:25]
	v_add_co_u32 v24, vcc_lo, s30, v24
	s_wait_alu 0xfffd
	s_delay_alu instid0(VALU_DEP_2)
	v_add_co_ci_u32_e64 v25, null, s31, v25, vcc_lo
	global_store_b64 v[24:25], v[26:27], off
.LBB33_52:
	s_wait_alu 0xfffe
	s_or_b32 exec_lo, exec_lo, s5
	v_cndmask_b32_e64 v24, 0, 1, s0
	v_mov_b32_e32 v0, 1.0
	s_and_not1_b32 vcc_lo, exec_lo, s0
	s_wait_alu 0xfffe
	s_cbranch_vccnz .LBB33_54
; %bb.53:
	v_div_scale_f32 v0, null, v9, v9, 1.0
	s_delay_alu instid0(VALU_DEP_1) | instskip(NEXT) | instid1(TRANS32_DEP_1)
	v_rcp_f32_e32 v16, v0
	v_fma_f32 v25, -v0, v16, 1.0
	s_delay_alu instid0(VALU_DEP_1) | instskip(SKIP_1) | instid1(VALU_DEP_1)
	v_fmac_f32_e32 v16, v25, v16
	v_div_scale_f32 v25, vcc_lo, 1.0, v9, 1.0
	v_mul_f32_e32 v26, v25, v16
	s_delay_alu instid0(VALU_DEP_1) | instskip(NEXT) | instid1(VALU_DEP_1)
	v_fma_f32 v27, -v0, v26, v25
	v_fmac_f32_e32 v26, v27, v16
	s_delay_alu instid0(VALU_DEP_1) | instskip(SKIP_1) | instid1(VALU_DEP_1)
	v_fma_f32 v0, -v0, v26, v25
	s_wait_alu 0xfffd
	v_div_fmas_f32 v0, v0, v16, v26
	s_delay_alu instid0(VALU_DEP_1)
	v_div_fixup_f32 v0, v0, v9, 1.0
.LBB33_54:
	s_add_co_i32 s0, s34, 1
	s_wait_alu 0xfffe
	v_add_nc_u32_e32 v8, s0, v8
	s_delay_alu instid0(VALU_DEP_1)
	v_mad_co_u64_u32 v[8:9], null, s1, v8, s[26:27]
	s_and_saveexec_b32 s5, s2
	s_cbranch_execz .LBB33_56
; %bb.55:
	v_mad_co_u64_u32 v[25:26], null, 0x60, v8, v[104:105]
	v_cvt_f32_f16_e64 v27, v152
	v_mov_b32_e32 v26, 0
	v_lshrrev_b32_e32 v9, 16, v152
	v_lshrrev_b32_e32 v16, 16, v151
	v_cvt_f32_f16_e64 v31, v151
	v_mul_f32_e32 v27, v0, v27
	v_lshlrev_b64_e32 v[25:26], 2, v[25:26]
	v_cvt_f32_f16_e32 v9, v9
	v_cvt_f32_f16_e32 v16, v16
	s_delay_alu instid0(VALU_DEP_2) | instskip(NEXT) | instid1(VALU_DEP_4)
	v_mul_f32_e32 v28, v0, v9
	v_add_co_u32 v29, vcc_lo, s28, v25
	s_wait_alu 0xfffd
	v_add_co_ci_u32_e64 v30, null, s29, v26, vcc_lo
	v_mul_f32_e32 v26, v0, v16
	v_mul_f32_e32 v25, v0, v31
	global_store_b128 v[29:30], v[25:28], off
.LBB33_56:
	s_wait_alu 0xfffe
	s_or_b32 exec_lo, exec_lo, s5
	s_and_saveexec_b32 s5, s4
	s_cbranch_execz .LBB33_58
; %bb.57:
	v_ashrrev_i32_e32 v9, 31, v8
	v_mov_b32_e32 v16, v1
	s_delay_alu instid0(VALU_DEP_2) | instskip(NEXT) | instid1(VALU_DEP_1)
	v_lshlrev_b64_e32 v[8:9], 3, v[8:9]
	v_add_co_u32 v8, vcc_lo, s30, v8
	s_wait_alu 0xfffd
	s_delay_alu instid0(VALU_DEP_2)
	v_add_co_ci_u32_e64 v9, null, s31, v9, vcc_lo
	global_store_b64 v[8:9], v[16:17], off
.LBB33_58:
	s_wait_alu 0xfffe
	s_or_b32 exec_lo, exec_lo, s5
	v_add_nc_u32_e32 v0, s33, v118
	s_delay_alu instid0(VALU_DEP_1)
	v_cmp_gt_i32_e32 vcc_lo, s38, v0
	s_and_b32 exec_lo, exec_lo, vcc_lo
	s_cbranch_execz .LBB33_44
; %bb.59:
	v_cmp_ne_u32_e32 vcc_lo, 1, v24
	v_mov_b32_e32 v8, 1.0
	s_cbranch_vccnz .LBB33_61
; %bb.60:
	v_div_scale_f32 v0, null, v10, v10, 1.0
	s_delay_alu instid0(VALU_DEP_1) | instskip(NEXT) | instid1(TRANS32_DEP_1)
	v_rcp_f32_e32 v1, v0
	v_fma_f32 v8, -v0, v1, 1.0
	s_delay_alu instid0(VALU_DEP_1) | instskip(SKIP_1) | instid1(VALU_DEP_1)
	v_fmac_f32_e32 v1, v8, v1
	v_div_scale_f32 v8, vcc_lo, 1.0, v10, 1.0
	v_mul_f32_e32 v9, v8, v1
	s_delay_alu instid0(VALU_DEP_1) | instskip(NEXT) | instid1(VALU_DEP_1)
	v_fma_f32 v16, -v0, v9, v8
	v_fmac_f32_e32 v9, v16, v1
	s_delay_alu instid0(VALU_DEP_1) | instskip(SKIP_1) | instid1(VALU_DEP_1)
	v_fma_f32 v0, -v0, v9, v8
	s_wait_alu 0xfffd
	v_div_fmas_f32 v0, v0, v1, v9
	s_delay_alu instid0(VALU_DEP_1)
	v_div_fixup_f32 v8, v0, v10, 1.0
.LBB33_61:
	v_add_nc_u32_e32 v0, s3, v118
	s_delay_alu instid0(VALU_DEP_1) | instskip(NEXT) | instid1(VALU_DEP_1)
	v_mad_co_u64_u32 v[0:1], null, v0, s39, s[34:35]
	v_mad_co_u64_u32 v[0:1], null, s1, v0, s[26:27]
	s_and_saveexec_b32 s5, s2
	s_cbranch_execz .LBB33_63
; %bb.62:
	v_mad_co_u64_u32 v[9:10], null, 0x60, v0, v[104:105]
	v_cvt_f32_f16_e64 v17, v147
	v_mov_b32_e32 v10, 0
	v_lshrrev_b32_e32 v1, 16, v147
	v_lshrrev_b32_e32 v16, 16, v144
	v_cvt_f32_f16_e64 v25, v144
	v_mul_f32_e32 v27, v8, v17
	v_lshlrev_b64_e32 v[9:10], 2, v[9:10]
	v_cvt_f32_f16_e32 v1, v1
	v_cvt_f32_f16_e32 v16, v16
	v_mul_f32_e32 v25, v8, v25
	s_delay_alu instid0(VALU_DEP_3)
	v_mul_f32_e32 v28, v8, v1
	v_add_co_u32 v9, vcc_lo, s28, v9
	s_wait_alu 0xfffd
	v_add_co_ci_u32_e64 v10, null, s29, v10, vcc_lo
	v_mul_f32_e32 v26, v8, v16
	global_store_b128 v[9:10], v[25:28], off
.LBB33_63:
	s_wait_alu 0xfffe
	s_or_b32 exec_lo, exec_lo, s5
	s_and_saveexec_b32 s5, s4
	s_cbranch_execz .LBB33_65
; %bb.64:
	v_ashrrev_i32_e32 v1, 31, v0
	v_mov_b32_e32 v17, v2
	s_delay_alu instid0(VALU_DEP_2) | instskip(NEXT) | instid1(VALU_DEP_1)
	v_lshlrev_b64_e32 v[0:1], 3, v[0:1]
	v_add_co_u32 v0, vcc_lo, s30, v0
	s_wait_alu 0xfffd
	s_delay_alu instid0(VALU_DEP_2)
	v_add_co_ci_u32_e64 v1, null, s31, v1, vcc_lo
	global_store_b64 v[0:1], v[17:18], off
.LBB33_65:
	s_wait_alu 0xfffe
	s_or_b32 exec_lo, exec_lo, s5
	v_lshrrev_b32_e32 v0, 1, v117
	s_delay_alu instid0(VALU_DEP_1) | instskip(NEXT) | instid1(VALU_DEP_1)
	v_add_nc_u32_e32 v1, s33, v0
	v_cmp_gt_i32_e32 vcc_lo, s38, v1
	s_and_b32 exec_lo, exec_lo, vcc_lo
	s_cbranch_execz .LBB33_44
; %bb.66:
	v_cmp_ne_u32_e32 vcc_lo, 1, v24
	v_mov_b32_e32 v2, 1.0
	s_cbranch_vccnz .LBB33_68
; %bb.67:
	v_div_scale_f32 v1, null, v11, v11, 1.0
	s_delay_alu instid0(VALU_DEP_1) | instskip(NEXT) | instid1(TRANS32_DEP_1)
	v_rcp_f32_e32 v2, v1
	v_fma_f32 v8, -v1, v2, 1.0
	s_delay_alu instid0(VALU_DEP_1) | instskip(SKIP_1) | instid1(VALU_DEP_1)
	v_fmac_f32_e32 v2, v8, v2
	v_div_scale_f32 v8, vcc_lo, 1.0, v11, 1.0
	v_mul_f32_e32 v9, v8, v2
	s_delay_alu instid0(VALU_DEP_1) | instskip(NEXT) | instid1(VALU_DEP_1)
	v_fma_f32 v10, -v1, v9, v8
	v_fmac_f32_e32 v9, v10, v2
	s_delay_alu instid0(VALU_DEP_1) | instskip(SKIP_1) | instid1(VALU_DEP_1)
	v_fma_f32 v1, -v1, v9, v8
	s_wait_alu 0xfffd
	v_div_fmas_f32 v1, v1, v2, v9
	s_delay_alu instid0(VALU_DEP_1)
	v_div_fixup_f32 v2, v1, v11, 1.0
.LBB33_68:
	v_add_nc_u32_e32 v0, s3, v0
	s_delay_alu instid0(VALU_DEP_1) | instskip(NEXT) | instid1(VALU_DEP_1)
	v_mad_co_u64_u32 v[0:1], null, v0, s39, s[0:1]
	v_mad_co_u64_u32 v[0:1], null, s1, v0, s[26:27]
	s_and_saveexec_b32 s5, s2
	s_cbranch_execz .LBB33_70
; %bb.69:
	v_mad_co_u64_u32 v[8:9], null, 0x60, v0, v[104:105]
	v_lshrrev_b32_e32 v10, 16, v132
	v_cvt_f32_f16_e64 v18, v133
	v_mov_b32_e32 v9, 0
	v_lshrrev_b32_e32 v1, 16, v133
	v_cvt_f32_f16_e64 v25, v132
	v_cvt_f32_f16_e32 v26, v10
	v_mul_f32_e32 v10, v2, v18
	v_lshlrev_b64_e32 v[8:9], 2, v[8:9]
	v_cvt_f32_f16_e32 v1, v1
	s_delay_alu instid0(VALU_DEP_1) | instskip(NEXT) | instid1(VALU_DEP_3)
	v_mul_f32_e32 v11, v2, v1
	v_add_co_u32 v16, vcc_lo, s28, v8
	s_wait_alu 0xfffd
	s_delay_alu instid0(VALU_DEP_4)
	v_add_co_ci_u32_e64 v17, null, s29, v9, vcc_lo
	v_mul_f32_e32 v9, v2, v26
	v_mul_f32_e32 v8, v2, v25
	global_store_b128 v[16:17], v[8:11], off
.LBB33_70:
	s_wait_alu 0xfffe
	s_or_b32 exec_lo, exec_lo, s5
	s_and_saveexec_b32 s5, s4
	s_cbranch_execz .LBB33_72
; %bb.71:
	v_ashrrev_i32_e32 v1, 31, v0
	v_mov_b32_e32 v18, v3
	s_delay_alu instid0(VALU_DEP_2) | instskip(NEXT) | instid1(VALU_DEP_1)
	v_lshlrev_b64_e32 v[0:1], 3, v[0:1]
	v_add_co_u32 v0, vcc_lo, s30, v0
	s_wait_alu 0xfffd
	s_delay_alu instid0(VALU_DEP_2)
	v_add_co_ci_u32_e64 v1, null, s31, v1, vcc_lo
	global_store_b64 v[0:1], v[18:19], off
.LBB33_72:
	s_wait_alu 0xfffe
	s_or_b32 exec_lo, exec_lo, s5
	v_lshrrev_b32_e32 v0, 1, v116
	s_delay_alu instid0(VALU_DEP_1) | instskip(NEXT) | instid1(VALU_DEP_1)
	v_add_nc_u32_e32 v1, s33, v0
	v_cmp_gt_i32_e32 vcc_lo, s38, v1
	s_and_b32 exec_lo, exec_lo, vcc_lo
	s_cbranch_execz .LBB33_44
; %bb.73:
	v_cmp_ne_u32_e32 vcc_lo, 1, v24
	v_mov_b32_e32 v2, 1.0
	s_cbranch_vccnz .LBB33_75
; %bb.74:
	v_div_scale_f32 v1, null, v12, v12, 1.0
	s_delay_alu instid0(VALU_DEP_1) | instskip(NEXT) | instid1(TRANS32_DEP_1)
	v_rcp_f32_e32 v2, v1
	v_fma_f32 v3, -v1, v2, 1.0
	s_delay_alu instid0(VALU_DEP_1) | instskip(SKIP_1) | instid1(VALU_DEP_1)
	v_fmac_f32_e32 v2, v3, v2
	v_div_scale_f32 v3, vcc_lo, 1.0, v12, 1.0
	v_mul_f32_e32 v8, v3, v2
	s_delay_alu instid0(VALU_DEP_1) | instskip(NEXT) | instid1(VALU_DEP_1)
	v_fma_f32 v9, -v1, v8, v3
	v_fmac_f32_e32 v8, v9, v2
	s_delay_alu instid0(VALU_DEP_1) | instskip(SKIP_1) | instid1(VALU_DEP_1)
	v_fma_f32 v1, -v1, v8, v3
	s_wait_alu 0xfffd
	v_div_fmas_f32 v1, v1, v2, v8
	s_delay_alu instid0(VALU_DEP_1)
	v_div_fixup_f32 v2, v1, v12, 1.0
.LBB33_75:
	v_add_nc_u32_e32 v0, s3, v0
	s_delay_alu instid0(VALU_DEP_1) | instskip(NEXT) | instid1(VALU_DEP_1)
	v_mad_co_u64_u32 v[0:1], null, v0, s39, s[34:35]
	v_mad_co_u64_u32 v[0:1], null, s1, v0, s[26:27]
	s_and_saveexec_b32 s5, s2
	s_cbranch_execz .LBB33_77
; %bb.76:
	v_mad_co_u64_u32 v[8:9], null, 0x60, v0, v[104:105]
	v_cvt_f32_f16_e64 v10, v131
	v_mov_b32_e32 v9, 0
	v_lshrrev_b32_e32 v1, 16, v131
	v_lshrrev_b32_e32 v3, 16, v130
	v_cvt_f32_f16_e64 v12, v130
	v_mul_f32_e32 v10, v2, v10
	v_lshlrev_b64_e32 v[8:9], 2, v[8:9]
	v_cvt_f32_f16_e32 v1, v1
	v_cvt_f32_f16_e32 v3, v3
	s_delay_alu instid0(VALU_DEP_2) | instskip(NEXT) | instid1(VALU_DEP_4)
	v_mul_f32_e32 v11, v2, v1
	v_add_co_u32 v16, vcc_lo, s28, v8
	s_wait_alu 0xfffd
	v_add_co_ci_u32_e64 v17, null, s29, v9, vcc_lo
	v_mul_f32_e32 v9, v2, v3
	v_mul_f32_e32 v8, v2, v12
	global_store_b128 v[16:17], v[8:11], off
.LBB33_77:
	s_wait_alu 0xfffe
	s_or_b32 exec_lo, exec_lo, s5
	s_and_saveexec_b32 s5, s4
	s_cbranch_execz .LBB33_79
; %bb.78:
	v_ashrrev_i32_e32 v1, 31, v0
	v_mov_b32_e32 v19, v4
	s_delay_alu instid0(VALU_DEP_2) | instskip(NEXT) | instid1(VALU_DEP_1)
	v_lshlrev_b64_e32 v[0:1], 3, v[0:1]
	v_add_co_u32 v0, vcc_lo, s30, v0
	s_wait_alu 0xfffd
	s_delay_alu instid0(VALU_DEP_2)
	v_add_co_ci_u32_e64 v1, null, s31, v1, vcc_lo
	global_store_b64 v[0:1], v[19:20], off
.LBB33_79:
	s_wait_alu 0xfffe
	s_or_b32 exec_lo, exec_lo, s5
	v_lshrrev_b32_e32 v0, 1, v115
	s_delay_alu instid0(VALU_DEP_1) | instskip(NEXT) | instid1(VALU_DEP_1)
	v_add_nc_u32_e32 v1, s33, v0
	v_cmp_gt_i32_e32 vcc_lo, s38, v1
	s_and_b32 exec_lo, exec_lo, vcc_lo
	s_cbranch_execz .LBB33_44
; %bb.80:
	v_cmp_ne_u32_e32 vcc_lo, 1, v24
	v_mov_b32_e32 v2, 1.0
	s_cbranch_vccnz .LBB33_82
; %bb.81:
	v_div_scale_f32 v1, null, v13, v13, 1.0
	s_delay_alu instid0(VALU_DEP_1) | instskip(NEXT) | instid1(TRANS32_DEP_1)
	v_rcp_f32_e32 v2, v1
	v_fma_f32 v3, -v1, v2, 1.0
	s_delay_alu instid0(VALU_DEP_1) | instskip(SKIP_1) | instid1(VALU_DEP_1)
	v_fmac_f32_e32 v2, v3, v2
	v_div_scale_f32 v3, vcc_lo, 1.0, v13, 1.0
	v_mul_f32_e32 v4, v3, v2
	s_delay_alu instid0(VALU_DEP_1) | instskip(NEXT) | instid1(VALU_DEP_1)
	v_fma_f32 v8, -v1, v4, v3
	v_fmac_f32_e32 v4, v8, v2
	s_delay_alu instid0(VALU_DEP_1) | instskip(SKIP_1) | instid1(VALU_DEP_1)
	v_fma_f32 v1, -v1, v4, v3
	s_wait_alu 0xfffd
	v_div_fmas_f32 v1, v1, v2, v4
	s_delay_alu instid0(VALU_DEP_1)
	v_div_fixup_f32 v2, v1, v13, 1.0
.LBB33_82:
	v_add_nc_u32_e32 v0, s3, v0
	s_delay_alu instid0(VALU_DEP_1) | instskip(NEXT) | instid1(VALU_DEP_1)
	v_mad_co_u64_u32 v[0:1], null, v0, s39, s[0:1]
	v_mad_co_u64_u32 v[0:1], null, s1, v0, s[26:27]
	s_and_saveexec_b32 s5, s2
	s_cbranch_execz .LBB33_84
; %bb.83:
	v_lshrrev_b32_e32 v1, 16, v127
	v_mad_co_u64_u32 v[3:4], null, 0x60, v0, v[104:105]
	v_lshrrev_b32_e32 v8, 16, v126
	v_cvt_f32_f16_e32 v9, v127
	s_delay_alu instid0(VALU_DEP_4)
	v_cvt_f32_f16_e32 v1, v1
	v_mov_b32_e32 v4, 0
	v_cvt_f32_f16_e32 v12, v126
	v_cvt_f32_f16_e32 v8, v8
	v_mul_f32_e32 v10, v2, v9
	v_mul_f32_e32 v11, v2, v1
	v_lshlrev_b64_e32 v[3:4], 2, v[3:4]
	s_delay_alu instid0(VALU_DEP_4) | instskip(SKIP_1) | instid1(VALU_DEP_3)
	v_mul_f32_e32 v9, v2, v8
	v_mul_f32_e32 v8, v2, v12
	v_add_co_u32 v3, vcc_lo, s28, v3
	s_wait_alu 0xfffd
	s_delay_alu instid0(VALU_DEP_4)
	v_add_co_ci_u32_e64 v4, null, s29, v4, vcc_lo
	global_store_b128 v[3:4], v[8:11], off
.LBB33_84:
	s_wait_alu 0xfffe
	s_or_b32 exec_lo, exec_lo, s5
	s_and_saveexec_b32 s5, s4
	s_cbranch_execz .LBB33_86
; %bb.85:
	v_ashrrev_i32_e32 v1, 31, v0
	v_mov_b32_e32 v20, v5
	s_delay_alu instid0(VALU_DEP_2) | instskip(NEXT) | instid1(VALU_DEP_1)
	v_lshlrev_b64_e32 v[0:1], 3, v[0:1]
	v_add_co_u32 v0, vcc_lo, s30, v0
	s_wait_alu 0xfffd
	s_delay_alu instid0(VALU_DEP_2)
	v_add_co_ci_u32_e64 v1, null, s31, v1, vcc_lo
	global_store_b64 v[0:1], v[20:21], off
.LBB33_86:
	s_wait_alu 0xfffe
	s_or_b32 exec_lo, exec_lo, s5
	v_lshrrev_b32_e32 v0, 1, v114
	s_delay_alu instid0(VALU_DEP_1) | instskip(NEXT) | instid1(VALU_DEP_1)
	v_add_nc_u32_e32 v1, s33, v0
	v_cmp_gt_i32_e32 vcc_lo, s38, v1
	s_and_b32 exec_lo, exec_lo, vcc_lo
	s_cbranch_execz .LBB33_44
; %bb.87:
	v_cmp_ne_u32_e32 vcc_lo, 1, v24
	v_mov_b32_e32 v2, 1.0
	s_cbranch_vccnz .LBB33_89
; %bb.88:
	v_div_scale_f32 v1, null, v14, v14, 1.0
	s_delay_alu instid0(VALU_DEP_1) | instskip(NEXT) | instid1(TRANS32_DEP_1)
	v_rcp_f32_e32 v2, v1
	v_fma_f32 v3, -v1, v2, 1.0
	s_delay_alu instid0(VALU_DEP_1) | instskip(SKIP_1) | instid1(VALU_DEP_1)
	v_fmac_f32_e32 v2, v3, v2
	v_div_scale_f32 v3, vcc_lo, 1.0, v14, 1.0
	v_mul_f32_e32 v4, v3, v2
	s_delay_alu instid0(VALU_DEP_1) | instskip(NEXT) | instid1(VALU_DEP_1)
	v_fma_f32 v5, -v1, v4, v3
	v_fmac_f32_e32 v4, v5, v2
	s_delay_alu instid0(VALU_DEP_1) | instskip(SKIP_1) | instid1(VALU_DEP_1)
	v_fma_f32 v1, -v1, v4, v3
	s_wait_alu 0xfffd
	v_div_fmas_f32 v1, v1, v2, v4
	s_delay_alu instid0(VALU_DEP_1)
	v_div_fixup_f32 v2, v1, v14, 1.0
.LBB33_89:
	v_add_nc_u32_e32 v0, s3, v0
	s_delay_alu instid0(VALU_DEP_1) | instskip(NEXT) | instid1(VALU_DEP_1)
	v_mad_co_u64_u32 v[0:1], null, v0, s39, s[34:35]
	v_mad_co_u64_u32 v[0:1], null, s1, v0, s[26:27]
	s_and_saveexec_b32 s5, s2
	s_cbranch_execz .LBB33_91
; %bb.90:
	v_lshrrev_b32_e32 v1, 16, v125
	v_mad_co_u64_u32 v[3:4], null, 0x60, v0, v[104:105]
	v_lshrrev_b32_e32 v5, 16, v124
	v_cvt_f32_f16_e32 v10, v125
	s_delay_alu instid0(VALU_DEP_4) | instskip(SKIP_3) | instid1(VALU_DEP_4)
	v_cvt_f32_f16_e32 v1, v1
	v_mov_b32_e32 v4, 0
	v_cvt_f32_f16_e32 v11, v124
	v_cvt_f32_f16_e32 v12, v5
	v_mul_f32_e32 v5, v2, v1
	s_delay_alu instid0(VALU_DEP_4) | instskip(NEXT) | instid1(VALU_DEP_1)
	v_lshlrev_b64_e32 v[3:4], 2, v[3:4]
	v_add_co_u32 v8, vcc_lo, s28, v3
	s_wait_alu 0xfffd
	s_delay_alu instid0(VALU_DEP_2)
	v_add_co_ci_u32_e64 v9, null, s29, v4, vcc_lo
	v_mul_f32_e32 v4, v2, v10
	v_mul_f32_e32 v3, v2, v12
	;; [unrolled: 1-line block ×3, first 2 shown]
	global_store_b128 v[8:9], v[2:5], off
.LBB33_91:
	s_wait_alu 0xfffe
	s_or_b32 exec_lo, exec_lo, s5
	s_and_saveexec_b32 s5, s4
	s_cbranch_execz .LBB33_93
; %bb.92:
	v_ashrrev_i32_e32 v1, 31, v0
	v_mov_b32_e32 v21, v6
	s_delay_alu instid0(VALU_DEP_2) | instskip(NEXT) | instid1(VALU_DEP_1)
	v_lshlrev_b64_e32 v[0:1], 3, v[0:1]
	v_add_co_u32 v0, vcc_lo, s30, v0
	s_wait_alu 0xfffd
	s_delay_alu instid0(VALU_DEP_2)
	v_add_co_ci_u32_e64 v1, null, s31, v1, vcc_lo
	global_store_b64 v[0:1], v[21:22], off
.LBB33_93:
	s_wait_alu 0xfffe
	s_or_b32 exec_lo, exec_lo, s5
	v_lshrrev_b32_e32 v0, 1, v113
	s_delay_alu instid0(VALU_DEP_1) | instskip(NEXT) | instid1(VALU_DEP_1)
	v_add_nc_u32_e32 v1, s33, v0
	v_cmp_gt_i32_e32 vcc_lo, s38, v1
	s_and_b32 exec_lo, exec_lo, vcc_lo
	s_cbranch_execz .LBB33_44
; %bb.94:
	v_cmp_ne_u32_e32 vcc_lo, 1, v24
	v_mov_b32_e32 v2, 1.0
	s_cbranch_vccnz .LBB33_96
; %bb.95:
	v_div_scale_f32 v1, null, v15, v15, 1.0
	s_delay_alu instid0(VALU_DEP_1) | instskip(NEXT) | instid1(TRANS32_DEP_1)
	v_rcp_f32_e32 v2, v1
	v_fma_f32 v3, -v1, v2, 1.0
	s_delay_alu instid0(VALU_DEP_1) | instskip(SKIP_1) | instid1(VALU_DEP_1)
	v_fmac_f32_e32 v2, v3, v2
	v_div_scale_f32 v3, vcc_lo, 1.0, v15, 1.0
	v_mul_f32_e32 v4, v3, v2
	s_delay_alu instid0(VALU_DEP_1) | instskip(NEXT) | instid1(VALU_DEP_1)
	v_fma_f32 v5, -v1, v4, v3
	v_fmac_f32_e32 v4, v5, v2
	s_delay_alu instid0(VALU_DEP_1) | instskip(SKIP_1) | instid1(VALU_DEP_1)
	v_fma_f32 v1, -v1, v4, v3
	s_wait_alu 0xfffd
	v_div_fmas_f32 v1, v1, v2, v4
	s_delay_alu instid0(VALU_DEP_1)
	v_div_fixup_f32 v2, v1, v15, 1.0
.LBB33_96:
	v_add_nc_u32_e32 v0, s3, v0
	s_delay_alu instid0(VALU_DEP_1) | instskip(NEXT) | instid1(VALU_DEP_1)
	v_mad_co_u64_u32 v[0:1], null, v0, s39, s[0:1]
	v_mad_co_u64_u32 v[0:1], null, s1, v0, s[26:27]
	s_and_saveexec_b32 s0, s2
	s_cbranch_execz .LBB33_98
; %bb.97:
	v_lshrrev_b32_e32 v1, 16, v122
	v_mad_co_u64_u32 v[3:4], null, 0x60, v0, v[104:105]
	v_lshrrev_b32_e32 v5, 16, v123
	v_cvt_f32_f16_e32 v6, v122
	s_delay_alu instid0(VALU_DEP_4) | instskip(SKIP_3) | instid1(VALU_DEP_4)
	v_cvt_f32_f16_e32 v1, v1
	v_mov_b32_e32 v4, 0
	v_cvt_f32_f16_e32 v10, v123
	v_cvt_f32_f16_e32 v11, v5
	v_mul_f32_e32 v5, v2, v1
	s_delay_alu instid0(VALU_DEP_4) | instskip(NEXT) | instid1(VALU_DEP_1)
	v_lshlrev_b64_e32 v[3:4], 2, v[3:4]
	v_add_co_u32 v8, vcc_lo, s28, v3
	s_wait_alu 0xfffd
	s_delay_alu instid0(VALU_DEP_2)
	v_add_co_ci_u32_e64 v9, null, s29, v4, vcc_lo
	v_mul_f32_e32 v4, v2, v6
	v_mul_f32_e32 v3, v2, v11
	;; [unrolled: 1-line block ×3, first 2 shown]
	global_store_b128 v[8:9], v[2:5], off
.LBB33_98:
	s_wait_alu 0xfffe
	s_or_b32 exec_lo, exec_lo, s0
	s_delay_alu instid0(SALU_CYCLE_1)
	s_and_b32 exec_lo, exec_lo, s4
	s_cbranch_execz .LBB33_44
; %bb.99:
	v_ashrrev_i32_e32 v1, 31, v0
	v_mov_b32_e32 v22, v7
	s_delay_alu instid0(VALU_DEP_2) | instskip(NEXT) | instid1(VALU_DEP_1)
	v_lshlrev_b64_e32 v[0:1], 3, v[0:1]
	v_add_co_u32 v0, vcc_lo, s30, v0
	s_wait_alu 0xfffd
	s_delay_alu instid0(VALU_DEP_2)
	v_add_co_ci_u32_e64 v1, null, s31, v1, vcc_lo
	global_store_b64 v[0:1], v[22:23], off
	s_nop 0
	s_sendmsg sendmsg(MSG_DEALLOC_VGPRS)
	s_endpgm
	.section	.rodata,"a",@progbits
	.p2align	6, 0x0
	.amdhsa_kernel _ZL15flash_attn_tileILi96ELi96ELi32ELi2ELb0EEvPKcS1_S1_S1_S1_PKiPfP15HIP_vector_typeIfLj2EEffffjfiS5_IjLj3EEiiiiiiiiiiiliiliiiiil
		.amdhsa_group_segment_fixed_size 20096
		.amdhsa_private_segment_fixed_size 0
		.amdhsa_kernarg_size 464
		.amdhsa_user_sgpr_count 2
		.amdhsa_user_sgpr_dispatch_ptr 0
		.amdhsa_user_sgpr_queue_ptr 0
		.amdhsa_user_sgpr_kernarg_segment_ptr 1
		.amdhsa_user_sgpr_dispatch_id 0
		.amdhsa_user_sgpr_private_segment_size 0
		.amdhsa_wavefront_size32 1
		.amdhsa_uses_dynamic_stack 0
		.amdhsa_enable_private_segment 0
		.amdhsa_system_sgpr_workgroup_id_x 1
		.amdhsa_system_sgpr_workgroup_id_y 1
		.amdhsa_system_sgpr_workgroup_id_z 1
		.amdhsa_system_sgpr_workgroup_info 0
		.amdhsa_system_vgpr_workitem_id 1
		.amdhsa_next_free_vgpr 243
		.amdhsa_next_free_sgpr 58
		.amdhsa_reserve_vcc 1
		.amdhsa_float_round_mode_32 0
		.amdhsa_float_round_mode_16_64 0
		.amdhsa_float_denorm_mode_32 3
		.amdhsa_float_denorm_mode_16_64 3
		.amdhsa_fp16_overflow 0
		.amdhsa_workgroup_processor_mode 1
		.amdhsa_memory_ordered 1
		.amdhsa_forward_progress 1
		.amdhsa_inst_pref_size 186
		.amdhsa_round_robin_scheduling 0
		.amdhsa_exception_fp_ieee_invalid_op 0
		.amdhsa_exception_fp_denorm_src 0
		.amdhsa_exception_fp_ieee_div_zero 0
		.amdhsa_exception_fp_ieee_overflow 0
		.amdhsa_exception_fp_ieee_underflow 0
		.amdhsa_exception_fp_ieee_inexact 0
		.amdhsa_exception_int_div_zero 0
	.end_amdhsa_kernel
	.section	.text._ZL15flash_attn_tileILi96ELi96ELi32ELi2ELb0EEvPKcS1_S1_S1_S1_PKiPfP15HIP_vector_typeIfLj2EEffffjfiS5_IjLj3EEiiiiiiiiiiiliiliiiiil,"axG",@progbits,_ZL15flash_attn_tileILi96ELi96ELi32ELi2ELb0EEvPKcS1_S1_S1_S1_PKiPfP15HIP_vector_typeIfLj2EEffffjfiS5_IjLj3EEiiiiiiiiiiiliiliiiiil,comdat
.Lfunc_end33:
	.size	_ZL15flash_attn_tileILi96ELi96ELi32ELi2ELb0EEvPKcS1_S1_S1_S1_PKiPfP15HIP_vector_typeIfLj2EEffffjfiS5_IjLj3EEiiiiiiiiiiiliiliiiiil, .Lfunc_end33-_ZL15flash_attn_tileILi96ELi96ELi32ELi2ELb0EEvPKcS1_S1_S1_S1_PKiPfP15HIP_vector_typeIfLj2EEffffjfiS5_IjLj3EEiiiiiiiiiiiliiliiiiil
                                        ; -- End function
	.set _ZL15flash_attn_tileILi96ELi96ELi32ELi2ELb0EEvPKcS1_S1_S1_S1_PKiPfP15HIP_vector_typeIfLj2EEffffjfiS5_IjLj3EEiiiiiiiiiiiliiliiiiil.num_vgpr, 243
	.set _ZL15flash_attn_tileILi96ELi96ELi32ELi2ELb0EEvPKcS1_S1_S1_S1_PKiPfP15HIP_vector_typeIfLj2EEffffjfiS5_IjLj3EEiiiiiiiiiiiliiliiiiil.num_agpr, 0
	.set _ZL15flash_attn_tileILi96ELi96ELi32ELi2ELb0EEvPKcS1_S1_S1_S1_PKiPfP15HIP_vector_typeIfLj2EEffffjfiS5_IjLj3EEiiiiiiiiiiiliiliiiiil.numbered_sgpr, 58
	.set _ZL15flash_attn_tileILi96ELi96ELi32ELi2ELb0EEvPKcS1_S1_S1_S1_PKiPfP15HIP_vector_typeIfLj2EEffffjfiS5_IjLj3EEiiiiiiiiiiiliiliiiiil.num_named_barrier, 0
	.set _ZL15flash_attn_tileILi96ELi96ELi32ELi2ELb0EEvPKcS1_S1_S1_S1_PKiPfP15HIP_vector_typeIfLj2EEffffjfiS5_IjLj3EEiiiiiiiiiiiliiliiiiil.private_seg_size, 0
	.set _ZL15flash_attn_tileILi96ELi96ELi32ELi2ELb0EEvPKcS1_S1_S1_S1_PKiPfP15HIP_vector_typeIfLj2EEffffjfiS5_IjLj3EEiiiiiiiiiiiliiliiiiil.uses_vcc, 1
	.set _ZL15flash_attn_tileILi96ELi96ELi32ELi2ELb0EEvPKcS1_S1_S1_S1_PKiPfP15HIP_vector_typeIfLj2EEffffjfiS5_IjLj3EEiiiiiiiiiiiliiliiiiil.uses_flat_scratch, 0
	.set _ZL15flash_attn_tileILi96ELi96ELi32ELi2ELb0EEvPKcS1_S1_S1_S1_PKiPfP15HIP_vector_typeIfLj2EEffffjfiS5_IjLj3EEiiiiiiiiiiiliiliiiiil.has_dyn_sized_stack, 0
	.set _ZL15flash_attn_tileILi96ELi96ELi32ELi2ELb0EEvPKcS1_S1_S1_S1_PKiPfP15HIP_vector_typeIfLj2EEffffjfiS5_IjLj3EEiiiiiiiiiiiliiliiiiil.has_recursion, 0
	.set _ZL15flash_attn_tileILi96ELi96ELi32ELi2ELb0EEvPKcS1_S1_S1_S1_PKiPfP15HIP_vector_typeIfLj2EEffffjfiS5_IjLj3EEiiiiiiiiiiiliiliiiiil.has_indirect_call, 0
	.section	.AMDGPU.csdata,"",@progbits
; Kernel info:
; codeLenInByte = 23752
; TotalNumSgprs: 60
; NumVgprs: 243
; ScratchSize: 0
; MemoryBound: 0
; FloatMode: 240
; IeeeMode: 1
; LDSByteSize: 20096 bytes/workgroup (compile time only)
; SGPRBlocks: 0
; VGPRBlocks: 30
; NumSGPRsForWavesPerEU: 60
; NumVGPRsForWavesPerEU: 243
; Occupancy: 5
; WaveLimiterHint : 1
; COMPUTE_PGM_RSRC2:SCRATCH_EN: 0
; COMPUTE_PGM_RSRC2:USER_SGPR: 2
; COMPUTE_PGM_RSRC2:TRAP_HANDLER: 0
; COMPUTE_PGM_RSRC2:TGID_X_EN: 1
; COMPUTE_PGM_RSRC2:TGID_Y_EN: 1
; COMPUTE_PGM_RSRC2:TGID_Z_EN: 1
; COMPUTE_PGM_RSRC2:TIDIG_COMP_CNT: 1
	.section	.text._ZL25flash_attn_mask_to_KV_maxILi32EEvPK7__half2Piiii,"axG",@progbits,_ZL25flash_attn_mask_to_KV_maxILi32EEvPK7__half2Piiii,comdat
	.globl	_ZL25flash_attn_mask_to_KV_maxILi32EEvPK7__half2Piiii ; -- Begin function _ZL25flash_attn_mask_to_KV_maxILi32EEvPK7__half2Piiii
	.p2align	8
	.type	_ZL25flash_attn_mask_to_KV_maxILi32EEvPK7__half2Piiii,@function
_ZL25flash_attn_mask_to_KV_maxILi32EEvPK7__half2Piiii: ; @_ZL25flash_attn_mask_to_KV_maxILi32EEvPK7__half2Piiii
; %bb.0:
	s_load_b64 s[8:9], s[0:1], 0x0
	s_mov_b32 s2, exec_lo
	v_cmpx_gt_u32_e32 32, v0
; %bb.1:
	v_dual_mov_b32 v2, 1 :: v_dual_lshlrev_b32 v1, 2, v0
	ds_store_b32 v1, v2
; %bb.2:
	s_or_b32 exec_lo, exec_lo, s2
	s_clause 0x2
	s_load_b96 s[4:6], s[0:1], 0x10
	s_load_b64 s[2:3], s[0:1], 0x8
	s_load_b32 s1, s[0:1], 0x20
	v_dual_mov_b32 v2, 0 :: v_dual_and_b32 v1, 31, v0
	v_lshrrev_b32_e32 v5, 3, v0
	s_wait_dscnt 0x0
	s_barrier_signal -1
	s_delay_alu instid0(VALU_DEP_2)
	v_lshlrev_b32_e32 v6, 2, v1
	s_barrier_wait -1
	global_inv scope:SCOPE_SE
	s_wait_kmcnt 0x0
	s_mul_i32 s0, ttmp9, s5
	s_mul_i32 s6, s6, ttmp7
	s_lshl_b32 s0, s0, 5
	s_delay_alu instid0(SALU_CYCLE_1) | instskip(SKIP_2) | instid1(SALU_CYCLE_1)
	s_add_co_i32 s6, s6, s0
	v_cmp_eq_u32_e64 s0, 0, v1
	s_ashr_i32 s7, s6, 31
	s_lshl_b64 s[6:7], s[6:7], 2
	s_delay_alu instid0(SALU_CYCLE_1)
	s_add_nc_u64 s[6:7], s[8:9], s[6:7]
	s_lshl_b32 s8, s4, 8
	s_branch .LBB34_4
.LBB34_3:                               ;   in Loop: Header=BB34_4 Depth=1
	s_wait_alu 0xfffe
	s_or_b32 exec_lo, exec_lo, s9
	s_wait_dscnt 0x0
	s_barrier_signal -1
	s_barrier_wait -1
	global_inv scope:SCOPE_SE
	ds_load_b32 v1, v6
	s_wait_loadcnt_dscnt 0x0
	s_barrier_signal -1
	s_barrier_wait -1
	global_inv scope:SCOPE_SE
	v_cmp_ne_u32_e32 vcc_lo, 0, v1
	s_cmp_lg_u32 vcc_lo, exec_lo
	s_cselect_b32 s9, -1, 0
	s_wait_alu 0xfffe
	s_and_b32 vcc_lo, exec_lo, s9
	s_wait_alu 0xfffe
	s_cbranch_vccnz .LBB34_132
.LBB34_4:                               ; =>This Inner Loop Header: Depth=1
	s_mov_b32 s4, s8
	s_addk_co_i32 s8, 0xff00
	s_wait_alu 0xfffe
	s_cmp_lt_i32 s8, 0
	s_cbranch_scc1 .LBB34_131
; %bb.5:                                ;   in Loop: Header=BB34_4 Depth=1
	s_lshr_b32 s9, s8, 1
	s_wait_alu 0xfffe
	v_add_nc_u32_e32 v1, s9, v0
	s_delay_alu instid0(VALU_DEP_1) | instskip(NEXT) | instid1(VALU_DEP_1)
	v_lshlrev_b64_e32 v[3:4], 2, v[1:2]
	v_add_co_u32 v3, vcc_lo, s6, v3
	s_wait_alu 0xfffd
	s_delay_alu instid0(VALU_DEP_2) | instskip(SKIP_4) | instid1(VALU_DEP_2)
	v_add_co_ci_u32_e64 v4, null, s7, v4, vcc_lo
	global_load_b32 v3, v[3:4], off
	s_wait_loadcnt 0x0
	v_lshrrev_b32_e32 v4, 16, v3
	v_cmp_class_f16_e64 s9, v3, 0x204
	v_cmp_class_f16_e64 s10, v4, 0x204
	s_and_b32 s11, s9, s10
	s_mov_b32 s10, 0
	s_wait_alu 0xfffe
	s_and_saveexec_b32 s9, s11
	s_cbranch_execz .LBB34_129
; %bb.6:                                ;   in Loop: Header=BB34_4 Depth=1
	v_add_nc_u32_e32 v3, s5, v1
	s_mov_b32 s11, 0
	s_delay_alu instid0(VALU_DEP_1) | instskip(NEXT) | instid1(VALU_DEP_1)
	v_ashrrev_i32_e32 v4, 31, v3
	v_lshlrev_b64_e32 v[7:8], 2, v[3:4]
	s_delay_alu instid0(VALU_DEP_1) | instskip(SKIP_1) | instid1(VALU_DEP_2)
	v_add_co_u32 v7, vcc_lo, s6, v7
	s_wait_alu 0xfffd
	v_add_co_ci_u32_e64 v8, null, s7, v8, vcc_lo
	global_load_b32 v1, v[7:8], off
	s_wait_loadcnt 0x0
	v_cmp_class_f16_e64 s12, v1, 0x204
	s_and_saveexec_b32 s10, s12
	s_cbranch_execz .LBB34_128
; %bb.7:                                ;   in Loop: Header=BB34_4 Depth=1
	v_lshrrev_b32_e32 v1, 16, v1
	s_mov_b32 s12, 0
	s_delay_alu instid0(VALU_DEP_1)
	v_cmp_class_f16_e64 s13, v1, 0x204
	s_and_saveexec_b32 s11, s13
	s_cbranch_execz .LBB34_127
; %bb.8:                                ;   in Loop: Header=BB34_4 Depth=1
	v_add_nc_u32_e32 v3, s5, v3
	s_mov_b32 s13, 0
	s_delay_alu instid0(VALU_DEP_1) | instskip(NEXT) | instid1(VALU_DEP_1)
	v_ashrrev_i32_e32 v4, 31, v3
	v_lshlrev_b64_e32 v[7:8], 2, v[3:4]
	s_delay_alu instid0(VALU_DEP_1) | instskip(SKIP_1) | instid1(VALU_DEP_2)
	v_add_co_u32 v7, vcc_lo, s6, v7
	s_wait_alu 0xfffd
	v_add_co_ci_u32_e64 v8, null, s7, v8, vcc_lo
	global_load_b32 v1, v[7:8], off
	s_wait_loadcnt 0x0
	v_cmp_class_f16_e64 s14, v1, 0x204
	s_and_saveexec_b32 s12, s14
	s_cbranch_execz .LBB34_126
; %bb.9:                                ;   in Loop: Header=BB34_4 Depth=1
	v_lshrrev_b32_e32 v1, 16, v1
	s_mov_b32 s14, 0
	s_delay_alu instid0(VALU_DEP_1)
	v_cmp_class_f16_e64 s15, v1, 0x204
	s_and_saveexec_b32 s13, s15
	s_cbranch_execz .LBB34_125
; %bb.10:                               ;   in Loop: Header=BB34_4 Depth=1
	v_add_nc_u32_e32 v3, s5, v3
	s_mov_b32 s15, 0
	s_delay_alu instid0(VALU_DEP_1) | instskip(NEXT) | instid1(VALU_DEP_1)
	v_ashrrev_i32_e32 v4, 31, v3
	v_lshlrev_b64_e32 v[7:8], 2, v[3:4]
	s_delay_alu instid0(VALU_DEP_1) | instskip(SKIP_1) | instid1(VALU_DEP_2)
	v_add_co_u32 v7, vcc_lo, s6, v7
	s_wait_alu 0xfffd
	v_add_co_ci_u32_e64 v8, null, s7, v8, vcc_lo
	global_load_b32 v1, v[7:8], off
	s_wait_loadcnt 0x0
	v_cmp_class_f16_e64 s16, v1, 0x204
	s_and_saveexec_b32 s14, s16
	s_cbranch_execz .LBB34_124
; %bb.11:                               ;   in Loop: Header=BB34_4 Depth=1
	v_lshrrev_b32_e32 v1, 16, v1
	s_mov_b32 s16, 0
	s_delay_alu instid0(VALU_DEP_1)
	v_cmp_class_f16_e64 s17, v1, 0x204
	s_and_saveexec_b32 s15, s17
	s_cbranch_execz .LBB34_123
; %bb.12:                               ;   in Loop: Header=BB34_4 Depth=1
	v_add_nc_u32_e32 v3, s5, v3
	s_mov_b32 s17, 0
	s_delay_alu instid0(VALU_DEP_1) | instskip(NEXT) | instid1(VALU_DEP_1)
	v_ashrrev_i32_e32 v4, 31, v3
	v_lshlrev_b64_e32 v[7:8], 2, v[3:4]
	s_delay_alu instid0(VALU_DEP_1) | instskip(SKIP_1) | instid1(VALU_DEP_2)
	v_add_co_u32 v7, vcc_lo, s6, v7
	s_wait_alu 0xfffd
	v_add_co_ci_u32_e64 v8, null, s7, v8, vcc_lo
	global_load_b32 v1, v[7:8], off
	s_wait_loadcnt 0x0
	v_cmp_class_f16_e64 s18, v1, 0x204
	s_and_saveexec_b32 s16, s18
	s_cbranch_execz .LBB34_122
; %bb.13:                               ;   in Loop: Header=BB34_4 Depth=1
	;; [unrolled: 22-line block ×28, first 2 shown]
	v_lshrrev_b32_e32 v1, 16, v1
	s_mov_b32 s71, 0
	s_delay_alu instid0(VALU_DEP_1)
	v_cmp_class_f16_e64 s72, v1, 0x204
	s_and_saveexec_b32 s70, s72
	s_cbranch_execz .LBB34_69
; %bb.66:                               ;   in Loop: Header=BB34_4 Depth=1
	v_add_nc_u32_e32 v3, s5, v3
	s_delay_alu instid0(VALU_DEP_1) | instskip(NEXT) | instid1(VALU_DEP_1)
	v_ashrrev_i32_e32 v4, 31, v3
	v_lshlrev_b64_e32 v[3:4], 2, v[3:4]
	s_delay_alu instid0(VALU_DEP_1) | instskip(SKIP_1) | instid1(VALU_DEP_2)
	v_add_co_u32 v3, vcc_lo, s6, v3
	s_wait_alu 0xfffd
	v_add_co_ci_u32_e64 v4, null, s7, v4, vcc_lo
	global_load_b32 v1, v[3:4], off
	s_wait_loadcnt 0x0
	v_cmp_class_f16_e64 s73, v1, 0x204
	s_and_saveexec_b32 s72, s73
; %bb.67:                               ;   in Loop: Header=BB34_4 Depth=1
	v_lshrrev_b32_e32 v1, 16, v1
	s_delay_alu instid0(VALU_DEP_1)
	v_cmp_class_f16_e64 s71, v1, 0x204
	s_and_b32 s71, s71, exec_lo
; %bb.68:                               ;   in Loop: Header=BB34_4 Depth=1
	s_or_b32 exec_lo, exec_lo, s72
	s_delay_alu instid0(SALU_CYCLE_1)
	s_and_b32 s71, s71, exec_lo
.LBB34_69:                              ;   in Loop: Header=BB34_4 Depth=1
	s_or_b32 exec_lo, exec_lo, s70
	s_delay_alu instid0(SALU_CYCLE_1)
	s_and_b32 s70, s71, exec_lo
.LBB34_70:                              ;   in Loop: Header=BB34_4 Depth=1
	s_or_b32 exec_lo, exec_lo, s69
	s_delay_alu instid0(SALU_CYCLE_1)
	s_and_b32 s69, s70, exec_lo
.LBB34_71:                              ;   in Loop: Header=BB34_4 Depth=1
	s_or_b32 exec_lo, exec_lo, s68
	s_delay_alu instid0(SALU_CYCLE_1)
	s_and_b32 s68, s69, exec_lo
.LBB34_72:                              ;   in Loop: Header=BB34_4 Depth=1
	s_or_b32 exec_lo, exec_lo, s67
	s_delay_alu instid0(SALU_CYCLE_1)
	s_and_b32 s67, s68, exec_lo
.LBB34_73:                              ;   in Loop: Header=BB34_4 Depth=1
	s_or_b32 exec_lo, exec_lo, s66
	s_delay_alu instid0(SALU_CYCLE_1)
	s_and_b32 s66, s67, exec_lo
.LBB34_74:                              ;   in Loop: Header=BB34_4 Depth=1
	s_or_b32 exec_lo, exec_lo, s65
	s_delay_alu instid0(SALU_CYCLE_1)
	s_and_b32 s65, s66, exec_lo
.LBB34_75:                              ;   in Loop: Header=BB34_4 Depth=1
	s_or_b32 exec_lo, exec_lo, s64
	s_delay_alu instid0(SALU_CYCLE_1)
	s_and_b32 s64, s65, exec_lo
.LBB34_76:                              ;   in Loop: Header=BB34_4 Depth=1
	s_or_b32 exec_lo, exec_lo, s63
	s_delay_alu instid0(SALU_CYCLE_1)
	s_and_b32 s63, s64, exec_lo
.LBB34_77:                              ;   in Loop: Header=BB34_4 Depth=1
	s_or_b32 exec_lo, exec_lo, s62
	s_delay_alu instid0(SALU_CYCLE_1)
	s_and_b32 s62, s63, exec_lo
.LBB34_78:                              ;   in Loop: Header=BB34_4 Depth=1
	s_or_b32 exec_lo, exec_lo, s61
	s_delay_alu instid0(SALU_CYCLE_1)
	s_and_b32 s61, s62, exec_lo
.LBB34_79:                              ;   in Loop: Header=BB34_4 Depth=1
	s_or_b32 exec_lo, exec_lo, s60
	s_delay_alu instid0(SALU_CYCLE_1)
	s_and_b32 s60, s61, exec_lo
.LBB34_80:                              ;   in Loop: Header=BB34_4 Depth=1
	s_or_b32 exec_lo, exec_lo, s59
	s_delay_alu instid0(SALU_CYCLE_1)
	s_and_b32 s59, s60, exec_lo
.LBB34_81:                              ;   in Loop: Header=BB34_4 Depth=1
	s_or_b32 exec_lo, exec_lo, s58
	s_delay_alu instid0(SALU_CYCLE_1)
	s_and_b32 s58, s59, exec_lo
.LBB34_82:                              ;   in Loop: Header=BB34_4 Depth=1
	s_or_b32 exec_lo, exec_lo, s57
	s_delay_alu instid0(SALU_CYCLE_1)
	s_and_b32 s57, s58, exec_lo
.LBB34_83:                              ;   in Loop: Header=BB34_4 Depth=1
	s_or_b32 exec_lo, exec_lo, s56
	s_delay_alu instid0(SALU_CYCLE_1)
	s_and_b32 s56, s57, exec_lo
.LBB34_84:                              ;   in Loop: Header=BB34_4 Depth=1
	s_or_b32 exec_lo, exec_lo, s55
	s_delay_alu instid0(SALU_CYCLE_1)
	s_and_b32 s55, s56, exec_lo
.LBB34_85:                              ;   in Loop: Header=BB34_4 Depth=1
	s_or_b32 exec_lo, exec_lo, s54
	s_delay_alu instid0(SALU_CYCLE_1)
	s_and_b32 s54, s55, exec_lo
.LBB34_86:                              ;   in Loop: Header=BB34_4 Depth=1
	s_or_b32 exec_lo, exec_lo, s53
	s_delay_alu instid0(SALU_CYCLE_1)
	s_and_b32 s53, s54, exec_lo
.LBB34_87:                              ;   in Loop: Header=BB34_4 Depth=1
	s_or_b32 exec_lo, exec_lo, s52
	s_delay_alu instid0(SALU_CYCLE_1)
	s_and_b32 s52, s53, exec_lo
.LBB34_88:                              ;   in Loop: Header=BB34_4 Depth=1
	s_or_b32 exec_lo, exec_lo, s51
	s_delay_alu instid0(SALU_CYCLE_1)
	s_and_b32 s51, s52, exec_lo
.LBB34_89:                              ;   in Loop: Header=BB34_4 Depth=1
	s_or_b32 exec_lo, exec_lo, s50
	s_delay_alu instid0(SALU_CYCLE_1)
	s_and_b32 s50, s51, exec_lo
.LBB34_90:                              ;   in Loop: Header=BB34_4 Depth=1
	s_or_b32 exec_lo, exec_lo, s49
	s_delay_alu instid0(SALU_CYCLE_1)
	s_and_b32 s49, s50, exec_lo
.LBB34_91:                              ;   in Loop: Header=BB34_4 Depth=1
	s_or_b32 exec_lo, exec_lo, s48
	s_delay_alu instid0(SALU_CYCLE_1)
	s_and_b32 s48, s49, exec_lo
.LBB34_92:                              ;   in Loop: Header=BB34_4 Depth=1
	s_or_b32 exec_lo, exec_lo, s47
	s_delay_alu instid0(SALU_CYCLE_1)
	s_and_b32 s47, s48, exec_lo
.LBB34_93:                              ;   in Loop: Header=BB34_4 Depth=1
	s_or_b32 exec_lo, exec_lo, s46
	s_delay_alu instid0(SALU_CYCLE_1)
	s_and_b32 s46, s47, exec_lo
.LBB34_94:                              ;   in Loop: Header=BB34_4 Depth=1
	s_or_b32 exec_lo, exec_lo, s45
	s_delay_alu instid0(SALU_CYCLE_1)
	s_and_b32 s45, s46, exec_lo
.LBB34_95:                              ;   in Loop: Header=BB34_4 Depth=1
	s_or_b32 exec_lo, exec_lo, s44
	s_delay_alu instid0(SALU_CYCLE_1)
	s_and_b32 s44, s45, exec_lo
.LBB34_96:                              ;   in Loop: Header=BB34_4 Depth=1
	s_or_b32 exec_lo, exec_lo, s43
	s_delay_alu instid0(SALU_CYCLE_1)
	s_and_b32 s43, s44, exec_lo
.LBB34_97:                              ;   in Loop: Header=BB34_4 Depth=1
	s_or_b32 exec_lo, exec_lo, s42
	s_delay_alu instid0(SALU_CYCLE_1)
	s_and_b32 s42, s43, exec_lo
.LBB34_98:                              ;   in Loop: Header=BB34_4 Depth=1
	s_or_b32 exec_lo, exec_lo, s41
	s_delay_alu instid0(SALU_CYCLE_1)
	s_and_b32 s41, s42, exec_lo
.LBB34_99:                              ;   in Loop: Header=BB34_4 Depth=1
	s_or_b32 exec_lo, exec_lo, s40
	s_delay_alu instid0(SALU_CYCLE_1)
	s_and_b32 s40, s41, exec_lo
.LBB34_100:                             ;   in Loop: Header=BB34_4 Depth=1
	s_or_b32 exec_lo, exec_lo, s39
	s_delay_alu instid0(SALU_CYCLE_1)
	s_and_b32 s39, s40, exec_lo
.LBB34_101:                             ;   in Loop: Header=BB34_4 Depth=1
	s_or_b32 exec_lo, exec_lo, s38
	s_delay_alu instid0(SALU_CYCLE_1)
	s_and_b32 s38, s39, exec_lo
.LBB34_102:                             ;   in Loop: Header=BB34_4 Depth=1
	s_or_b32 exec_lo, exec_lo, s37
	s_delay_alu instid0(SALU_CYCLE_1)
	s_and_b32 s37, s38, exec_lo
.LBB34_103:                             ;   in Loop: Header=BB34_4 Depth=1
	s_or_b32 exec_lo, exec_lo, s36
	s_delay_alu instid0(SALU_CYCLE_1)
	s_and_b32 s36, s37, exec_lo
.LBB34_104:                             ;   in Loop: Header=BB34_4 Depth=1
	s_or_b32 exec_lo, exec_lo, s35
	s_delay_alu instid0(SALU_CYCLE_1)
	s_and_b32 s35, s36, exec_lo
.LBB34_105:                             ;   in Loop: Header=BB34_4 Depth=1
	s_or_b32 exec_lo, exec_lo, s34
	s_delay_alu instid0(SALU_CYCLE_1)
	s_and_b32 s34, s35, exec_lo
.LBB34_106:                             ;   in Loop: Header=BB34_4 Depth=1
	s_or_b32 exec_lo, exec_lo, s33
	s_delay_alu instid0(SALU_CYCLE_1)
	s_and_b32 s33, s34, exec_lo
.LBB34_107:                             ;   in Loop: Header=BB34_4 Depth=1
	s_or_b32 exec_lo, exec_lo, s31
	s_delay_alu instid0(SALU_CYCLE_1)
	s_and_b32 s31, s33, exec_lo
.LBB34_108:                             ;   in Loop: Header=BB34_4 Depth=1
	s_or_b32 exec_lo, exec_lo, s30
	s_delay_alu instid0(SALU_CYCLE_1)
	s_and_b32 s30, s31, exec_lo
.LBB34_109:                             ;   in Loop: Header=BB34_4 Depth=1
	s_or_b32 exec_lo, exec_lo, s29
	s_delay_alu instid0(SALU_CYCLE_1)
	s_and_b32 s29, s30, exec_lo
.LBB34_110:                             ;   in Loop: Header=BB34_4 Depth=1
	s_or_b32 exec_lo, exec_lo, s28
	s_delay_alu instid0(SALU_CYCLE_1)
	s_and_b32 s28, s29, exec_lo
.LBB34_111:                             ;   in Loop: Header=BB34_4 Depth=1
	s_or_b32 exec_lo, exec_lo, s27
	s_delay_alu instid0(SALU_CYCLE_1)
	s_and_b32 s27, s28, exec_lo
.LBB34_112:                             ;   in Loop: Header=BB34_4 Depth=1
	s_or_b32 exec_lo, exec_lo, s26
	s_delay_alu instid0(SALU_CYCLE_1)
	s_and_b32 s26, s27, exec_lo
.LBB34_113:                             ;   in Loop: Header=BB34_4 Depth=1
	s_or_b32 exec_lo, exec_lo, s25
	s_delay_alu instid0(SALU_CYCLE_1)
	s_and_b32 s25, s26, exec_lo
.LBB34_114:                             ;   in Loop: Header=BB34_4 Depth=1
	s_or_b32 exec_lo, exec_lo, s24
	s_delay_alu instid0(SALU_CYCLE_1)
	s_and_b32 s24, s25, exec_lo
.LBB34_115:                             ;   in Loop: Header=BB34_4 Depth=1
	s_or_b32 exec_lo, exec_lo, s23
	s_delay_alu instid0(SALU_CYCLE_1)
	s_and_b32 s23, s24, exec_lo
.LBB34_116:                             ;   in Loop: Header=BB34_4 Depth=1
	s_or_b32 exec_lo, exec_lo, s22
	s_delay_alu instid0(SALU_CYCLE_1)
	s_and_b32 s22, s23, exec_lo
.LBB34_117:                             ;   in Loop: Header=BB34_4 Depth=1
	s_or_b32 exec_lo, exec_lo, s21
	s_delay_alu instid0(SALU_CYCLE_1)
	s_and_b32 s21, s22, exec_lo
.LBB34_118:                             ;   in Loop: Header=BB34_4 Depth=1
	s_or_b32 exec_lo, exec_lo, s20
	s_delay_alu instid0(SALU_CYCLE_1)
	s_and_b32 s20, s21, exec_lo
.LBB34_119:                             ;   in Loop: Header=BB34_4 Depth=1
	s_or_b32 exec_lo, exec_lo, s19
	s_delay_alu instid0(SALU_CYCLE_1)
	s_and_b32 s19, s20, exec_lo
.LBB34_120:                             ;   in Loop: Header=BB34_4 Depth=1
	s_or_b32 exec_lo, exec_lo, s18
	s_delay_alu instid0(SALU_CYCLE_1)
	s_and_b32 s18, s19, exec_lo
.LBB34_121:                             ;   in Loop: Header=BB34_4 Depth=1
	s_or_b32 exec_lo, exec_lo, s17
	s_delay_alu instid0(SALU_CYCLE_1)
	s_and_b32 s17, s18, exec_lo
.LBB34_122:                             ;   in Loop: Header=BB34_4 Depth=1
	s_or_b32 exec_lo, exec_lo, s16
	s_delay_alu instid0(SALU_CYCLE_1)
	s_and_b32 s16, s17, exec_lo
.LBB34_123:                             ;   in Loop: Header=BB34_4 Depth=1
	s_or_b32 exec_lo, exec_lo, s15
	s_delay_alu instid0(SALU_CYCLE_1)
	s_and_b32 s15, s16, exec_lo
.LBB34_124:                             ;   in Loop: Header=BB34_4 Depth=1
	s_or_b32 exec_lo, exec_lo, s14
	s_delay_alu instid0(SALU_CYCLE_1)
	s_and_b32 s14, s15, exec_lo
.LBB34_125:                             ;   in Loop: Header=BB34_4 Depth=1
	s_or_b32 exec_lo, exec_lo, s13
	s_delay_alu instid0(SALU_CYCLE_1)
	s_and_b32 s13, s14, exec_lo
.LBB34_126:                             ;   in Loop: Header=BB34_4 Depth=1
	s_or_b32 exec_lo, exec_lo, s12
	s_delay_alu instid0(SALU_CYCLE_1)
	s_and_b32 s12, s13, exec_lo
.LBB34_127:                             ;   in Loop: Header=BB34_4 Depth=1
	s_wait_alu 0xfffe
	s_or_b32 exec_lo, exec_lo, s11
	s_delay_alu instid0(SALU_CYCLE_1)
	s_and_b32 s11, s12, exec_lo
.LBB34_128:                             ;   in Loop: Header=BB34_4 Depth=1
	s_wait_alu 0xfffe
	s_or_b32 exec_lo, exec_lo, s10
	s_delay_alu instid0(SALU_CYCLE_1)
	s_and_b32 s10, s11, exec_lo
.LBB34_129:                             ;   in Loop: Header=BB34_4 Depth=1
	s_wait_alu 0xfffe
	s_or_b32 exec_lo, exec_lo, s9
	v_cndmask_b32_e64 v1, 0, 1, s10
	s_mov_b32 s11, exec_lo
	s_delay_alu instid0(VALU_DEP_1)
	v_cmp_ne_u32_e32 vcc_lo, 0, v1
	s_and_saveexec_b32 s9, s0
	s_cbranch_execz .LBB34_3
; %bb.130:                              ;   in Loop: Header=BB34_4 Depth=1
	s_wait_alu 0xfffe
	s_cmp_eq_u32 vcc_lo, s11
	s_cselect_b32 s10, -1, 0
	s_wait_alu 0xfffe
	v_cndmask_b32_e64 v1, 0, 1, s10
	ds_store_b32 v5, v1
	s_branch .LBB34_3
.LBB34_131:                             ;   in Loop: Header=BB34_4 Depth=1
	s_cbranch_execz .LBB34_4
.LBB34_132:
	s_mov_b32 s0, exec_lo
	v_cmpx_eq_u32_e32 0, v0
	s_cbranch_execz .LBB34_134
; %bb.133:
	s_mul_i32 s0, s1, ttmp7
	v_dual_mov_b32 v0, 0 :: v_dual_mov_b32 v1, s4
	s_add_co_i32 s0, s0, ttmp9
	s_delay_alu instid0(SALU_CYCLE_1) | instskip(NEXT) | instid1(SALU_CYCLE_1)
	s_ashr_i32 s1, s0, 31
	s_lshl_b64 s[0:1], s[0:1], 2
	s_delay_alu instid0(SALU_CYCLE_1)
	s_add_nc_u64 s[0:1], s[2:3], s[0:1]
	global_store_b32 v0, v1, s[0:1]
.LBB34_134:
	s_endpgm
	.section	.rodata,"a",@progbits
	.p2align	6, 0x0
	.amdhsa_kernel _ZL25flash_attn_mask_to_KV_maxILi32EEvPK7__half2Piiii
		.amdhsa_group_segment_fixed_size 128
		.amdhsa_private_segment_fixed_size 0
		.amdhsa_kernarg_size 288
		.amdhsa_user_sgpr_count 2
		.amdhsa_user_sgpr_dispatch_ptr 0
		.amdhsa_user_sgpr_queue_ptr 0
		.amdhsa_user_sgpr_kernarg_segment_ptr 1
		.amdhsa_user_sgpr_dispatch_id 0
		.amdhsa_user_sgpr_private_segment_size 0
		.amdhsa_wavefront_size32 1
		.amdhsa_uses_dynamic_stack 0
		.amdhsa_enable_private_segment 0
		.amdhsa_system_sgpr_workgroup_id_x 1
		.amdhsa_system_sgpr_workgroup_id_y 1
		.amdhsa_system_sgpr_workgroup_id_z 0
		.amdhsa_system_sgpr_workgroup_info 0
		.amdhsa_system_vgpr_workitem_id 0
		.amdhsa_next_free_vgpr 9
		.amdhsa_next_free_sgpr 74
		.amdhsa_reserve_vcc 1
		.amdhsa_float_round_mode_32 0
		.amdhsa_float_round_mode_16_64 0
		.amdhsa_float_denorm_mode_32 3
		.amdhsa_float_denorm_mode_16_64 3
		.amdhsa_fp16_overflow 0
		.amdhsa_workgroup_processor_mode 1
		.amdhsa_memory_ordered 1
		.amdhsa_forward_progress 1
		.amdhsa_inst_pref_size 37
		.amdhsa_round_robin_scheduling 0
		.amdhsa_exception_fp_ieee_invalid_op 0
		.amdhsa_exception_fp_denorm_src 0
		.amdhsa_exception_fp_ieee_div_zero 0
		.amdhsa_exception_fp_ieee_overflow 0
		.amdhsa_exception_fp_ieee_underflow 0
		.amdhsa_exception_fp_ieee_inexact 0
		.amdhsa_exception_int_div_zero 0
	.end_amdhsa_kernel
	.section	.text._ZL25flash_attn_mask_to_KV_maxILi32EEvPK7__half2Piiii,"axG",@progbits,_ZL25flash_attn_mask_to_KV_maxILi32EEvPK7__half2Piiii,comdat
.Lfunc_end34:
	.size	_ZL25flash_attn_mask_to_KV_maxILi32EEvPK7__half2Piiii, .Lfunc_end34-_ZL25flash_attn_mask_to_KV_maxILi32EEvPK7__half2Piiii
                                        ; -- End function
	.set _ZL25flash_attn_mask_to_KV_maxILi32EEvPK7__half2Piiii.num_vgpr, 9
	.set _ZL25flash_attn_mask_to_KV_maxILi32EEvPK7__half2Piiii.num_agpr, 0
	.set _ZL25flash_attn_mask_to_KV_maxILi32EEvPK7__half2Piiii.numbered_sgpr, 74
	.set _ZL25flash_attn_mask_to_KV_maxILi32EEvPK7__half2Piiii.num_named_barrier, 0
	.set _ZL25flash_attn_mask_to_KV_maxILi32EEvPK7__half2Piiii.private_seg_size, 0
	.set _ZL25flash_attn_mask_to_KV_maxILi32EEvPK7__half2Piiii.uses_vcc, 1
	.set _ZL25flash_attn_mask_to_KV_maxILi32EEvPK7__half2Piiii.uses_flat_scratch, 0
	.set _ZL25flash_attn_mask_to_KV_maxILi32EEvPK7__half2Piiii.has_dyn_sized_stack, 0
	.set _ZL25flash_attn_mask_to_KV_maxILi32EEvPK7__half2Piiii.has_recursion, 0
	.set _ZL25flash_attn_mask_to_KV_maxILi32EEvPK7__half2Piiii.has_indirect_call, 0
	.section	.AMDGPU.csdata,"",@progbits
; Kernel info:
; codeLenInByte = 4720
; TotalNumSgprs: 76
; NumVgprs: 9
; ScratchSize: 0
; MemoryBound: 0
; FloatMode: 240
; IeeeMode: 1
; LDSByteSize: 128 bytes/workgroup (compile time only)
; SGPRBlocks: 0
; VGPRBlocks: 1
; NumSGPRsForWavesPerEU: 76
; NumVGPRsForWavesPerEU: 9
; Occupancy: 16
; WaveLimiterHint : 0
; COMPUTE_PGM_RSRC2:SCRATCH_EN: 0
; COMPUTE_PGM_RSRC2:USER_SGPR: 2
; COMPUTE_PGM_RSRC2:TRAP_HANDLER: 0
; COMPUTE_PGM_RSRC2:TGID_X_EN: 1
; COMPUTE_PGM_RSRC2:TGID_Y_EN: 1
; COMPUTE_PGM_RSRC2:TGID_Z_EN: 0
; COMPUTE_PGM_RSRC2:TIDIG_COMP_CNT: 0
	.section	.text._ZL33flash_attn_stream_k_fixup_uniformILi96ELi32ELi2EEvPfPK15HIP_vector_typeIfLj2EEiiiiiiS1_IjLj3EES5_S5_,"axG",@progbits,_ZL33flash_attn_stream_k_fixup_uniformILi96ELi32ELi2EEvPfPK15HIP_vector_typeIfLj2EEiiiiiiS1_IjLj3EES5_S5_,comdat
	.globl	_ZL33flash_attn_stream_k_fixup_uniformILi96ELi32ELi2EEvPfPK15HIP_vector_typeIfLj2EEiiiiiiS1_IjLj3EES5_S5_ ; -- Begin function _ZL33flash_attn_stream_k_fixup_uniformILi96ELi32ELi2EEvPfPK15HIP_vector_typeIfLj2EEiiiiiiS1_IjLj3EES5_S5_
	.p2align	8
	.type	_ZL33flash_attn_stream_k_fixup_uniformILi96ELi32ELi2EEvPfPK15HIP_vector_typeIfLj2EEiiiiiiS1_IjLj3EES5_S5_,@function
_ZL33flash_attn_stream_k_fixup_uniformILi96ELi32ELi2EEvPfPK15HIP_vector_typeIfLj2EEiiiiiiS1_IjLj3EES5_S5_: ; @_ZL33flash_attn_stream_k_fixup_uniformILi96ELi32ELi2EEvPfPK15HIP_vector_typeIfLj2EEiiiiiiS1_IjLj3EES5_S5_
; %bb.0:
	s_clause 0x1
	s_load_b256 s[4:11], s[0:1], 0x1c
	s_load_b128 s[12:15], s[0:1], 0x3c
	s_wait_kmcnt 0x0
	s_mul_hi_u32 s2, s7, ttmp9
	s_delay_alu instid0(SALU_CYCLE_1) | instskip(NEXT) | instid1(SALU_CYCLE_1)
	s_add_co_i32 s2, ttmp9, s2
	s_lshr_b32 s7, s2, s8
	s_delay_alu instid0(SALU_CYCLE_1) | instskip(NEXT) | instid1(SALU_CYCLE_1)
	s_mul_i32 s2, s7, s9
	s_sub_co_i32 s9, ttmp9, s2
	s_delay_alu instid0(SALU_CYCLE_1) | instskip(NEXT) | instid1(SALU_CYCLE_1)
	s_mul_hi_u32 s2, s9, s10
	s_add_co_i32 s8, s9, s2
	s_load_b64 s[2:3], s[0:1], 0x10
	s_lshr_b32 s8, s8, s11
	s_delay_alu instid0(SALU_CYCLE_1) | instskip(NEXT) | instid1(SALU_CYCLE_1)
	s_mul_i32 s10, s8, s12
	s_sub_co_i32 s9, s9, s10
	s_delay_alu instid0(SALU_CYCLE_1) | instskip(NEXT) | instid1(SALU_CYCLE_1)
	s_mul_hi_u32 s10, s9, s13
	s_add_co_i32 s10, s9, s10
	s_delay_alu instid0(SALU_CYCLE_1) | instskip(NEXT) | instid1(SALU_CYCLE_1)
	s_lshr_b32 s12, s10, s14
	s_mul_i32 s10, s12, s15
	s_lshl_b32 s12, s12, 1
	s_sub_co_i32 s11, s9, s10
	s_and_b32 s9, ttmp7, 0xffff
	s_lshl_b32 s13, s11, 5
	s_lshr_b32 s10, ttmp7, 16
	s_add_co_i32 s13, s13, s9
	s_wait_kmcnt 0x0
	s_cmp_lt_i32 s13, s2
	s_cselect_b32 s13, -1, 0
	s_add_co_i32 s12, s12, s10
	s_delay_alu instid0(SALU_CYCLE_1) | instskip(SKIP_1) | instid1(SALU_CYCLE_1)
	s_cmp_lt_i32 s12, s5
	s_cselect_b32 s14, -1, 0
	s_and_b32 s13, s13, s14
	s_delay_alu instid0(SALU_CYCLE_1)
	s_and_not1_b32 vcc_lo, exec_lo, s13
	s_cbranch_vccnz .LBB35_6
; %bb.1:
	s_mul_i32 s8, s8, s5
	s_mul_i32 s5, s3, s11
	;; [unrolled: 1-line block ×3, first 2 shown]
	s_mulk_i32 s5, 0xc00
	s_add_co_i32 s2, s2, s9
	v_or_b32_e32 v1, s5, v0
	s_mul_i32 s7, s2, s3
	s_add_co_i32 s5, s12, s8
	s_load_b128 s[0:3], s[0:1], 0x0
	s_add_co_i32 s5, s5, s7
	s_mul_i32 s8, s6, ttmp9
	s_wait_alu 0xfffe
	v_mad_co_u64_u32 v[1:2], null, 0x60, s5, v[1:2]
	s_lshl_b32 s5, s9, 1
	s_add_co_i32 s11, s8, s6
	s_delay_alu instid0(SALU_CYCLE_1) | instskip(SKIP_1) | instid1(VALU_DEP_1)
	s_add_co_i32 s7, s11, -2
	v_ashrrev_i32_e32 v2, 31, v1
	v_lshlrev_b64_e32 v[1:2], 2, v[1:2]
	s_wait_kmcnt 0x0
	s_delay_alu instid0(VALU_DEP_1) | instskip(NEXT) | instid1(VALU_DEP_1)
	v_add_co_u32 v1, vcc_lo, s0, v1
	v_add_co_ci_u32_e64 v2, null, s1, v2, vcc_lo
	s_wait_alu 0xfffe
	s_add_co_i32 s0, s5, s10
	s_lshl_b32 s1, s11, 6
	global_load_b32 v5, v[1:2], off
	s_wait_alu 0xfffe
	s_add_co_i32 s0, s0, s1
	s_wait_alu 0xfffe
	s_sub_co_i32 s0, s0, 64
	s_wait_alu 0xfffe
	s_ashr_i32 s1, s0, 31
	s_wait_alu 0xfffe
	s_lshl_b64 s[0:1], s[0:1], 3
	s_cmp_lt_i32 s7, s8
	s_wait_alu 0xfffe
	s_add_nc_u64 s[0:1], s[2:3], s[0:1]
	s_load_b32 s12, s[0:1], 0x4
	s_cbranch_scc1 .LBB35_4
; %bb.2:
	s_load_b32 s0, s[0:1], 0x0
	s_add_co_i32 s1, ttmp9, 1
	s_mulk_i32 s9, 0xc0
	s_wait_alu 0xfffe
	s_mul_i32 s1, s6, s1
	s_lshl_b32 s14, s4, 8
	s_wait_alu 0xfffe
	s_lshl_b32 s13, s1, 6
	s_mulk_i32 s1, 0x1800
	s_add_co_i32 s13, s10, s13
	s_mulk_i32 s10, 0x60
	s_lshl_b32 s4, s4, 6
	s_add_co_i32 s9, s10, s9
	s_ashr_i32 s15, s14, 31
	s_wait_alu 0xfffe
	s_add_co_i32 s9, s9, s1
	s_add_co_i32 s1, s13, s4
	v_add3_u32 v3, s9, v0, 0xffffd000
	s_wait_kmcnt 0x0
	v_mov_b32_e32 v6, s12
	s_lshl_b64 s[6:7], s[14:15], 2
	s_wait_alu 0xfffe
	s_add_co_i32 s4, s1, s5
	s_add_nc_u64 s[6:7], s[2:3], s[6:7]
	s_add_co_i32 s1, s11, -1
	s_wait_alu 0xfffe
	s_addk_co_i32 s4, 0xff80
.LBB35_3:                               ; =>This Inner Loop Header: Depth=1
	v_ashrrev_i32_e32 v4, 31, v3
	s_wait_alu 0xfffe
	s_ashr_i32 s5, s4, 31
	v_mov_b32_e32 v10, v6
	s_wait_alu 0xfffe
	s_lshl_b64 s[10:11], s[4:5], 3
	s_wait_loadcnt 0x0
	v_mov_b32_e32 v9, v5
	v_lshlrev_b64_e32 v[7:8], 2, v[3:4]
	s_wait_alu 0xfffe
	s_add_nc_u64 s[10:11], s[2:3], s[10:11]
	v_max_num_f32_e64 v4, s0, s0
	s_load_b64 s[10:11], s[10:11], 0x0
	v_add_nc_u32_e32 v3, 0xffffe800, v3
	v_add_co_u32 v7, vcc_lo, s6, v7
	s_wait_alu 0xfffd
	v_add_co_ci_u32_e64 v8, null, s7, v8, vcc_lo
	v_readfirstlane_b32 s5, v4
	global_load_b32 v0, v[7:8], off
	s_wait_kmcnt 0x0
	v_max_num_f32_e64 v4, s10, s10
	s_delay_alu instid0(VALU_DEP_1) | instskip(SKIP_2) | instid1(SALU_CYCLE_2)
	v_readfirstlane_b32 s9, v4
	s_max_num_f32 s5, s5, s9
	s_wait_alu 0xfffe
	s_sub_f32 s0, s0, s5
	s_sub_f32 s9, s10, s5
	s_wait_alu 0xfffe
	s_delay_alu instid0(SALU_CYCLE_1) | instskip(NEXT) | instid1(SALU_CYCLE_1)
	s_mul_f32 s10, s0, 0x3fb8aa3b
	s_mul_f32 s12, s9, 0x3fb8aa3b
	s_wait_alu 0xfffe
	s_delay_alu instid0(SALU_CYCLE_1)
	s_xor_b32 s13, s10, 0x80000000
	s_rndne_f32 s14, s10
	s_wait_alu 0xfffe
	s_fmamk_f32 s13, s0, 0x3fb8aa3b, s13
	s_cmp_nlt_f32 s0, 0xc2ce8ed0
	s_rndne_f32 s15, s12
	s_sub_f32 s10, s10, s14
	s_wait_alu 0xfffe
	s_fmamk_f32 s13, s0, 0x32a5705f, s13
	s_cvt_i32_f32 s14, s14
	s_cselect_b32 vcc_lo, -1, 0
	s_cmp_ngt_f32 s0, 0x42b17218
	s_wait_alu 0xfffe
	s_add_f32 s10, s10, s13
	s_sub_f32 s13, s12, s15
	s_wait_alu 0xfffe
	s_delay_alu instid0(SALU_CYCLE_1) | instskip(SKIP_1) | instid1(TRANS32_DEP_1)
	v_s_exp_f32 s10, s10
	s_wait_alu 0xf1ff
	v_ldexp_f32 v4, s10, s14
	s_cvt_i32_f32 s10, s15
	s_delay_alu instid0(VALU_DEP_1) | instskip(SKIP_3) | instid1(VALU_DEP_1)
	v_cndmask_b32_e32 v4, 0, v4, vcc_lo
	s_cselect_b32 vcc_lo, -1, 0
	s_cmp_ge_f32 s0, 0xc1a00000
	s_wait_alu 0xfffe
	v_cndmask_b32_e32 v4, 0x7f800000, v4, vcc_lo
	s_cselect_b32 vcc_lo, -1, 0
	s_xor_b32 s0, s12, 0x80000000
	s_cmp_nlt_f32 s9, 0xc2ce8ed0
	s_wait_alu 0xfffe
	s_fmamk_f32 s0, s9, 0x3fb8aa3b, s0
	s_wait_alu 0xfffe
	s_delay_alu instid0(SALU_CYCLE_2) | instskip(SKIP_1) | instid1(SALU_CYCLE_2)
	s_fmamk_f32 s0, s9, 0x32a5705f, s0
	s_wait_alu 0xfffe
	s_add_f32 s0, s13, s0
	s_wait_alu 0xfffe
	s_delay_alu instid0(SALU_CYCLE_2) | instskip(SKIP_1) | instid1(TRANS32_DEP_1)
	v_s_exp_f32 s0, s0
	s_wait_alu 0xf1ff
	v_ldexp_f32 v7, s0, s10
	s_cselect_b32 s0, -1, 0
	s_cmp_ngt_f32 s9, 0x42b17218
	s_wait_alu 0xfffe
	s_delay_alu instid0(VALU_DEP_1) | instskip(SKIP_3) | instid1(VALU_DEP_1)
	v_cndmask_b32_e64 v7, 0, v7, s0
	s_cselect_b32 s0, -1, 0
	s_cmp_ge_f32 s9, 0xc1a00000
	s_wait_alu 0xfffe
	v_cndmask_b32_e64 v7, 0x7f800000, v7, s0
	s_cselect_b32 s0, -1, 0
	s_add_co_i32 s1, s1, -1
	s_sub_co_i32 s4, s4, 64
	s_wait_alu 0xfffe
	s_cmp_le_i32 s1, s8
	v_cndmask_b32_e64 v7, 0, v7, s0
	s_mov_b32 s0, s5
	s_wait_loadcnt 0x0
	s_delay_alu instid0(VALU_DEP_1) | instskip(NEXT) | instid1(VALU_DEP_1)
	v_dual_mul_f32 v5, v0, v7 :: v_dual_cndmask_b32 v4, 0, v4
	v_dual_mul_f32 v8, s11, v7 :: v_dual_fmac_f32 v5, v9, v4
	s_delay_alu instid0(VALU_DEP_1) | instskip(NEXT) | instid1(VALU_DEP_1)
	v_mov_b32_e32 v6, v8
	v_fmac_f32_e32 v6, v10, v4
	s_cbranch_scc0 .LBB35_3
	s_branch .LBB35_5
.LBB35_4:
	s_wait_kmcnt 0x0
	v_mov_b32_e32 v6, s12
.LBB35_5:
	s_wait_loadcnt 0x0
	s_delay_alu instid0(VALU_DEP_1) | instskip(NEXT) | instid1(VALU_DEP_1)
	v_div_scale_f32 v0, null, v6, v6, v5
	v_rcp_f32_e32 v3, v0
	s_delay_alu instid0(TRANS32_DEP_1) | instskip(NEXT) | instid1(VALU_DEP_1)
	v_fma_f32 v4, -v0, v3, 1.0
	v_fmac_f32_e32 v3, v4, v3
	v_div_scale_f32 v4, vcc_lo, v5, v6, v5
	s_delay_alu instid0(VALU_DEP_1) | instskip(NEXT) | instid1(VALU_DEP_1)
	v_mul_f32_e32 v7, v4, v3
	v_fma_f32 v8, -v0, v7, v4
	s_delay_alu instid0(VALU_DEP_1) | instskip(NEXT) | instid1(VALU_DEP_1)
	v_fmac_f32_e32 v7, v8, v3
	v_fma_f32 v0, -v0, v7, v4
	s_wait_alu 0xfffd
	s_delay_alu instid0(VALU_DEP_1) | instskip(NEXT) | instid1(VALU_DEP_1)
	v_div_fmas_f32 v0, v0, v3, v7
	v_div_fixup_f32 v0, v0, v6, v5
	global_store_b32 v[1:2], v0, off
.LBB35_6:
	s_endpgm
	.section	.rodata,"a",@progbits
	.p2align	6, 0x0
	.amdhsa_kernel _ZL33flash_attn_stream_k_fixup_uniformILi96ELi32ELi2EEvPfPK15HIP_vector_typeIfLj2EEiiiiiiS1_IjLj3EES5_S5_
		.amdhsa_group_segment_fixed_size 0
		.amdhsa_private_segment_fixed_size 0
		.amdhsa_kernarg_size 76
		.amdhsa_user_sgpr_count 2
		.amdhsa_user_sgpr_dispatch_ptr 0
		.amdhsa_user_sgpr_queue_ptr 0
		.amdhsa_user_sgpr_kernarg_segment_ptr 1
		.amdhsa_user_sgpr_dispatch_id 0
		.amdhsa_user_sgpr_private_segment_size 0
		.amdhsa_wavefront_size32 1
		.amdhsa_uses_dynamic_stack 0
		.amdhsa_enable_private_segment 0
		.amdhsa_system_sgpr_workgroup_id_x 1
		.amdhsa_system_sgpr_workgroup_id_y 1
		.amdhsa_system_sgpr_workgroup_id_z 1
		.amdhsa_system_sgpr_workgroup_info 0
		.amdhsa_system_vgpr_workitem_id 0
		.amdhsa_next_free_vgpr 11
		.amdhsa_next_free_sgpr 16
		.amdhsa_reserve_vcc 1
		.amdhsa_float_round_mode_32 0
		.amdhsa_float_round_mode_16_64 0
		.amdhsa_float_denorm_mode_32 3
		.amdhsa_float_denorm_mode_16_64 3
		.amdhsa_fp16_overflow 0
		.amdhsa_workgroup_processor_mode 1
		.amdhsa_memory_ordered 1
		.amdhsa_forward_progress 1
		.amdhsa_inst_pref_size 9
		.amdhsa_round_robin_scheduling 0
		.amdhsa_exception_fp_ieee_invalid_op 0
		.amdhsa_exception_fp_denorm_src 0
		.amdhsa_exception_fp_ieee_div_zero 0
		.amdhsa_exception_fp_ieee_overflow 0
		.amdhsa_exception_fp_ieee_underflow 0
		.amdhsa_exception_fp_ieee_inexact 0
		.amdhsa_exception_int_div_zero 0
	.end_amdhsa_kernel
	.section	.text._ZL33flash_attn_stream_k_fixup_uniformILi96ELi32ELi2EEvPfPK15HIP_vector_typeIfLj2EEiiiiiiS1_IjLj3EES5_S5_,"axG",@progbits,_ZL33flash_attn_stream_k_fixup_uniformILi96ELi32ELi2EEvPfPK15HIP_vector_typeIfLj2EEiiiiiiS1_IjLj3EES5_S5_,comdat
.Lfunc_end35:
	.size	_ZL33flash_attn_stream_k_fixup_uniformILi96ELi32ELi2EEvPfPK15HIP_vector_typeIfLj2EEiiiiiiS1_IjLj3EES5_S5_, .Lfunc_end35-_ZL33flash_attn_stream_k_fixup_uniformILi96ELi32ELi2EEvPfPK15HIP_vector_typeIfLj2EEiiiiiiS1_IjLj3EES5_S5_
                                        ; -- End function
	.set _ZL33flash_attn_stream_k_fixup_uniformILi96ELi32ELi2EEvPfPK15HIP_vector_typeIfLj2EEiiiiiiS1_IjLj3EES5_S5_.num_vgpr, 11
	.set _ZL33flash_attn_stream_k_fixup_uniformILi96ELi32ELi2EEvPfPK15HIP_vector_typeIfLj2EEiiiiiiS1_IjLj3EES5_S5_.num_agpr, 0
	.set _ZL33flash_attn_stream_k_fixup_uniformILi96ELi32ELi2EEvPfPK15HIP_vector_typeIfLj2EEiiiiiiS1_IjLj3EES5_S5_.numbered_sgpr, 16
	.set _ZL33flash_attn_stream_k_fixup_uniformILi96ELi32ELi2EEvPfPK15HIP_vector_typeIfLj2EEiiiiiiS1_IjLj3EES5_S5_.num_named_barrier, 0
	.set _ZL33flash_attn_stream_k_fixup_uniformILi96ELi32ELi2EEvPfPK15HIP_vector_typeIfLj2EEiiiiiiS1_IjLj3EES5_S5_.private_seg_size, 0
	.set _ZL33flash_attn_stream_k_fixup_uniformILi96ELi32ELi2EEvPfPK15HIP_vector_typeIfLj2EEiiiiiiS1_IjLj3EES5_S5_.uses_vcc, 1
	.set _ZL33flash_attn_stream_k_fixup_uniformILi96ELi32ELi2EEvPfPK15HIP_vector_typeIfLj2EEiiiiiiS1_IjLj3EES5_S5_.uses_flat_scratch, 0
	.set _ZL33flash_attn_stream_k_fixup_uniformILi96ELi32ELi2EEvPfPK15HIP_vector_typeIfLj2EEiiiiiiS1_IjLj3EES5_S5_.has_dyn_sized_stack, 0
	.set _ZL33flash_attn_stream_k_fixup_uniformILi96ELi32ELi2EEvPfPK15HIP_vector_typeIfLj2EEiiiiiiS1_IjLj3EES5_S5_.has_recursion, 0
	.set _ZL33flash_attn_stream_k_fixup_uniformILi96ELi32ELi2EEvPfPK15HIP_vector_typeIfLj2EEiiiiiiS1_IjLj3EES5_S5_.has_indirect_call, 0
	.section	.AMDGPU.csdata,"",@progbits
; Kernel info:
; codeLenInByte = 1152
; TotalNumSgprs: 18
; NumVgprs: 11
; ScratchSize: 0
; MemoryBound: 0
; FloatMode: 240
; IeeeMode: 1
; LDSByteSize: 0 bytes/workgroup (compile time only)
; SGPRBlocks: 0
; VGPRBlocks: 1
; NumSGPRsForWavesPerEU: 18
; NumVGPRsForWavesPerEU: 11
; Occupancy: 16
; WaveLimiterHint : 0
; COMPUTE_PGM_RSRC2:SCRATCH_EN: 0
; COMPUTE_PGM_RSRC2:USER_SGPR: 2
; COMPUTE_PGM_RSRC2:TRAP_HANDLER: 0
; COMPUTE_PGM_RSRC2:TGID_X_EN: 1
; COMPUTE_PGM_RSRC2:TGID_Y_EN: 1
; COMPUTE_PGM_RSRC2:TGID_Z_EN: 1
; COMPUTE_PGM_RSRC2:TIDIG_COMP_CNT: 0
	.section	.text._ZL33flash_attn_stream_k_fixup_generalILi96ELi32ELi2EEvPfPK15HIP_vector_typeIfLj2EEiiiiS1_IjLj3EES5_S5_S5_,"axG",@progbits,_ZL33flash_attn_stream_k_fixup_generalILi96ELi32ELi2EEvPfPK15HIP_vector_typeIfLj2EEiiiiS1_IjLj3EES5_S5_S5_,comdat
	.globl	_ZL33flash_attn_stream_k_fixup_generalILi96ELi32ELi2EEvPfPK15HIP_vector_typeIfLj2EEiiiiS1_IjLj3EES5_S5_S5_ ; -- Begin function _ZL33flash_attn_stream_k_fixup_generalILi96ELi32ELi2EEvPfPK15HIP_vector_typeIfLj2EEiiiiS1_IjLj3EES5_S5_S5_
	.p2align	8
	.type	_ZL33flash_attn_stream_k_fixup_generalILi96ELi32ELi2EEvPfPK15HIP_vector_typeIfLj2EEiiiiS1_IjLj3EES5_S5_S5_,@function
_ZL33flash_attn_stream_k_fixup_generalILi96ELi32ELi2EEvPfPK15HIP_vector_typeIfLj2EEiiiiS1_IjLj3EES5_S5_S5_: ; @_ZL33flash_attn_stream_k_fixup_generalILi96ELi32ELi2EEvPfPK15HIP_vector_typeIfLj2EEiiiiS1_IjLj3EES5_S5_S5_
; %bb.0:
	s_clause 0x1
	s_load_b128 s[4:7], s[0:1], 0x10
	s_load_b32 s16, s[0:1], 0x50
	s_mov_b32 s2, ttmp9
	s_ashr_i32 s3, ttmp9, 31
	s_mov_b32 s17, 0
	s_delay_alu instid0(SALU_CYCLE_1) | instskip(SKIP_3) | instid1(SALU_CYCLE_1)
	s_mov_b32 s8, s17
	s_wait_kmcnt 0x0
	s_ashr_i32 s19, s7, 31
	s_mov_b32 s18, s7
	s_mul_u64 s[2:3], s[18:19], s[2:3]
	s_delay_alu instid0(SALU_CYCLE_1) | instskip(NEXT) | instid1(SALU_CYCLE_1)
	s_mov_b32 s9, s3
	s_cmp_lg_u64 s[8:9], 0
	s_cbranch_scc0 .LBB36_21
; %bb.1:
	s_add_nc_u64 s[8:9], s[16:17], 0
	s_mov_b32 s15, s17
	s_xor_b64 s[8:9], s[8:9], 0
	s_mov_b32 s23, s17
	s_cvt_f32_u32 s7, s8
	s_cvt_f32_u32 s10, s9
	s_sub_nc_u64 s[12:13], 0, s[8:9]
	s_delay_alu instid0(SALU_CYCLE_2) | instskip(NEXT) | instid1(SALU_CYCLE_3)
	s_fmamk_f32 s7, s10, 0x4f800000, s7
	v_s_rcp_f32 s7, s7
	s_delay_alu instid0(TRANS32_DEP_1) | instskip(SKIP_1) | instid1(SALU_CYCLE_2)
	s_mul_f32 s7, s7, 0x5f7ffffc
	s_wait_alu 0xfffe
	s_mul_f32 s10, s7, 0x2f800000
	s_delay_alu instid0(SALU_CYCLE_3) | instskip(NEXT) | instid1(SALU_CYCLE_3)
	s_trunc_f32 s10, s10
	s_fmamk_f32 s7, s10, 0xcf800000, s7
	s_cvt_u32_f32 s11, s10
	s_wait_alu 0xfffe
	s_delay_alu instid0(SALU_CYCLE_1) | instskip(NEXT) | instid1(SALU_CYCLE_3)
	s_cvt_u32_f32 s10, s7
	s_mul_u64 s[20:21], s[12:13], s[10:11]
	s_delay_alu instid0(SALU_CYCLE_1)
	s_mul_hi_u32 s25, s10, s21
	s_mul_i32 s24, s10, s21
	s_mul_hi_u32 s14, s10, s20
	s_mul_i32 s22, s11, s20
	s_add_nc_u64 s[14:15], s[14:15], s[24:25]
	s_mul_hi_u32 s7, s11, s20
	s_mul_hi_u32 s26, s11, s21
	s_add_co_u32 s14, s14, s22
	s_wait_alu 0xfffe
	s_add_co_ci_u32 s22, s15, s7
	s_mul_i32 s20, s11, s21
	s_add_co_ci_u32 s21, s26, 0
	s_delay_alu instid0(SALU_CYCLE_1)
	s_add_nc_u64 s[14:15], s[22:23], s[20:21]
	s_mov_b32 s21, s17
	s_add_co_u32 s10, s10, s14
	s_cselect_b32 s7, -1, 0
	s_wait_alu 0xfffe
	s_cmp_lg_u32 s7, 0
	s_add_co_ci_u32 s11, s11, s15
	s_mov_b32 s15, s17
	s_mul_u64 s[12:13], s[12:13], s[10:11]
	s_delay_alu instid0(SALU_CYCLE_1)
	s_mul_hi_u32 s23, s10, s13
	s_mul_i32 s22, s10, s13
	s_mul_hi_u32 s14, s10, s12
	s_mul_i32 s20, s11, s12
	s_add_nc_u64 s[14:15], s[14:15], s[22:23]
	s_mul_hi_u32 s7, s11, s12
	s_mul_hi_u32 s24, s11, s13
	s_mul_i32 s12, s11, s13
	s_add_co_u32 s13, s14, s20
	s_wait_alu 0xfffe
	s_add_co_ci_u32 s20, s15, s7
	s_add_co_ci_u32 s13, s24, 0
	s_mov_b32 s15, s17
	s_add_nc_u64 s[12:13], s[20:21], s[12:13]
	s_delay_alu instid0(SALU_CYCLE_1) | instskip(SKIP_1) | instid1(SALU_CYCLE_1)
	s_add_co_u32 s7, s10, s12
	s_cselect_b32 s10, -1, 0
	s_cmp_lg_u32 s10, 0
	s_add_co_ci_u32 s20, s11, s13
	s_ashr_i32 s10, s3, 31
	s_delay_alu instid0(SALU_CYCLE_1) | instskip(NEXT) | instid1(SALU_CYCLE_1)
	s_mov_b32 s11, s10
	s_add_nc_u64 s[12:13], s[2:3], s[10:11]
	s_delay_alu instid0(SALU_CYCLE_1) | instskip(NEXT) | instid1(SALU_CYCLE_1)
	s_xor_b64 s[12:13], s[12:13], s[10:11]
	s_mul_hi_u32 s23, s12, s20
	s_mul_i32 s22, s12, s20
	s_wait_alu 0xfffe
	s_mul_hi_u32 s14, s12, s7
	s_mul_hi_u32 s24, s13, s7
	s_mul_i32 s7, s13, s7
	s_add_nc_u64 s[14:15], s[14:15], s[22:23]
	s_mul_hi_u32 s3, s13, s20
	s_wait_alu 0xfffe
	s_add_co_u32 s7, s14, s7
	s_mul_i32 s22, s13, s20
	s_add_co_ci_u32 s20, s15, s24
	s_add_co_ci_u32 s23, s3, 0
	s_delay_alu instid0(SALU_CYCLE_1) | instskip(NEXT) | instid1(SALU_CYCLE_1)
	s_add_nc_u64 s[14:15], s[20:21], s[22:23]
	s_mul_u64 s[20:21], s[8:9], s[14:15]
	s_delay_alu instid0(SALU_CYCLE_1)
	s_sub_co_u32 s3, s12, s20
	s_cselect_b32 s7, -1, 0
	s_sub_co_i32 s12, s13, s21
	s_wait_alu 0xfffe
	s_cmp_lg_u32 s7, 0
	s_sub_co_ci_u32 s12, s12, s9
	s_sub_co_u32 s20, s3, s8
	s_cselect_b32 s22, -1, 0
	s_delay_alu instid0(SALU_CYCLE_1) | instskip(SKIP_2) | instid1(SALU_CYCLE_1)
	s_cmp_lg_u32 s22, 0
	s_add_nc_u64 s[22:23], s[14:15], 1
	s_sub_co_ci_u32 s12, s12, 0
	s_cmp_ge_u32 s12, s9
	s_cselect_b32 s24, -1, 0
	s_cmp_ge_u32 s20, s8
	s_cselect_b32 s20, -1, 0
	s_cmp_eq_u32 s12, s9
	s_cselect_b32 s12, s20, s24
	s_add_nc_u64 s[24:25], s[14:15], 2
	s_cmp_lg_u32 s12, 0
	s_cselect_b32 s12, s24, s22
	s_cselect_b32 s20, s25, s23
	s_cmp_lg_u32 s7, 0
	s_sub_co_ci_u32 s7, s13, s21
	s_wait_alu 0xfffe
	s_cmp_ge_u32 s7, s9
	s_cselect_b32 s13, -1, 0
	s_cmp_ge_u32 s3, s8
	s_cselect_b32 s3, -1, 0
	s_cmp_eq_u32 s7, s9
	s_cselect_b32 s3, s3, s13
	s_delay_alu instid0(SALU_CYCLE_1) | instskip(SKIP_4) | instid1(SALU_CYCLE_1)
	s_cmp_lg_u32 s3, 0
	s_mov_b32 s3, s17
	s_cselect_b32 s9, s20, s15
	s_cselect_b32 s8, s12, s14
	s_xor_b64 s[10:11], s[10:11], 0
	s_xor_b64 s[8:9], s[8:9], s[10:11]
	s_delay_alu instid0(SALU_CYCLE_1)
	s_sub_nc_u64 s[20:21], s[8:9], s[10:11]
	s_and_not1_b32 vcc_lo, exec_lo, s3
	s_cbranch_vccnz .LBB36_3
.LBB36_2:
	v_cvt_f32_u32_e32 v1, s16
	s_sub_co_i32 s7, 0, s16
	s_delay_alu instid0(VALU_DEP_1) | instskip(NEXT) | instid1(TRANS32_DEP_1)
	v_rcp_iflag_f32_e32 v1, v1
	v_mul_f32_e32 v1, 0x4f7ffffe, v1
	s_delay_alu instid0(VALU_DEP_1) | instskip(NEXT) | instid1(VALU_DEP_1)
	v_cvt_u32_f32_e32 v1, v1
	v_readfirstlane_b32 s3, v1
	s_wait_alu 0xfffe
	s_mul_i32 s7, s7, s3
	s_wait_alu 0xfffe
	s_mul_hi_u32 s7, s3, s7
	s_wait_alu 0xfffe
	s_add_co_i32 s3, s3, s7
	s_delay_alu instid0(SALU_CYCLE_1) | instskip(NEXT) | instid1(SALU_CYCLE_1)
	s_mul_hi_u32 s3, s2, s3
	s_mul_i32 s7, s3, s16
	s_wait_alu 0xfffe
	s_sub_co_i32 s2, s2, s7
	s_add_co_i32 s7, s3, 1
	s_sub_co_i32 s8, s2, s16
	s_cmp_ge_u32 s2, s16
	s_wait_alu 0xfffe
	s_cselect_b32 s3, s7, s3
	s_cselect_b32 s2, s8, s2
	s_add_co_i32 s7, s3, 1
	s_cmp_ge_u32 s2, s16
	s_wait_alu 0xfffe
	s_cselect_b32 s20, s7, s3
.LBB36_3:
	s_add_co_i32 s2, ttmp9, 1
	s_mov_b32 s8, 0
	s_ashr_i32 s3, s2, 31
	s_delay_alu instid0(SALU_CYCLE_1) | instskip(NEXT) | instid1(SALU_CYCLE_1)
	s_mul_u64 s[2:3], s[18:19], s[2:3]
	s_mov_b32 s9, s3
	s_delay_alu instid0(SALU_CYCLE_1)
	s_cmp_lg_u64 s[8:9], 0
	s_cbranch_scc0 .LBB36_22
; %bb.4:
	s_add_nc_u64 s[10:11], s[16:17], 0
	s_mov_b32 s23, s8
	s_xor_b64 s[10:11], s[10:11], 0
	s_mov_b32 s27, s8
	s_cvt_f32_u32 s7, s10
	s_cvt_f32_u32 s9, s11
	s_sub_nc_u64 s[14:15], 0, s[10:11]
	s_wait_alu 0xfffe
	s_delay_alu instid0(SALU_CYCLE_1) | instskip(SKIP_1) | instid1(SALU_CYCLE_2)
	s_fmamk_f32 s7, s9, 0x4f800000, s7
	s_wait_alu 0xfffe
	v_s_rcp_f32 s7, s7
	s_delay_alu instid0(TRANS32_DEP_1) | instskip(SKIP_1) | instid1(SALU_CYCLE_2)
	s_mul_f32 s7, s7, 0x5f7ffffc
	s_wait_alu 0xfffe
	s_mul_f32 s9, s7, 0x2f800000
	s_delay_alu instid0(SALU_CYCLE_3) | instskip(NEXT) | instid1(SALU_CYCLE_3)
	s_trunc_f32 s9, s9
	s_fmamk_f32 s7, s9, 0xcf800000, s7
	s_cvt_u32_f32 s13, s9
	s_wait_alu 0xfffe
	s_delay_alu instid0(SALU_CYCLE_1) | instskip(NEXT) | instid1(SALU_CYCLE_3)
	s_cvt_u32_f32 s12, s7
	s_mul_u64 s[24:25], s[14:15], s[12:13]
	s_delay_alu instid0(SALU_CYCLE_1)
	s_mul_hi_u32 s29, s12, s25
	s_mul_i32 s28, s12, s25
	s_mul_hi_u32 s22, s12, s24
	s_mul_i32 s9, s13, s24
	s_add_nc_u64 s[22:23], s[22:23], s[28:29]
	s_mul_hi_u32 s7, s13, s24
	s_mul_hi_u32 s21, s13, s25
	s_add_co_u32 s9, s22, s9
	s_wait_alu 0xfffe
	s_add_co_ci_u32 s26, s23, s7
	s_mul_i32 s24, s13, s25
	s_add_co_ci_u32 s25, s21, 0
	s_delay_alu instid0(SALU_CYCLE_1)
	s_add_nc_u64 s[22:23], s[26:27], s[24:25]
	s_mov_b32 s25, s8
	s_add_co_u32 s12, s12, s22
	s_cselect_b32 s7, -1, 0
	s_wait_alu 0xfffe
	s_cmp_lg_u32 s7, 0
	s_add_co_ci_u32 s13, s13, s23
	s_mov_b32 s23, s8
	s_mul_u64 s[14:15], s[14:15], s[12:13]
	s_delay_alu instid0(SALU_CYCLE_1)
	s_mul_hi_u32 s27, s12, s15
	s_mul_i32 s26, s12, s15
	s_mul_hi_u32 s22, s12, s14
	s_mul_i32 s9, s13, s14
	s_add_nc_u64 s[22:23], s[22:23], s[26:27]
	s_mul_hi_u32 s7, s13, s14
	s_mul_hi_u32 s21, s13, s15
	s_add_co_u32 s9, s22, s9
	s_wait_alu 0xfffe
	s_add_co_ci_u32 s24, s23, s7
	s_mul_i32 s14, s13, s15
	s_add_co_ci_u32 s15, s21, 0
	s_mov_b32 s23, s8
	s_add_nc_u64 s[14:15], s[24:25], s[14:15]
	s_delay_alu instid0(SALU_CYCLE_1) | instskip(SKIP_1) | instid1(SALU_CYCLE_1)
	s_add_co_u32 s7, s12, s14
	s_cselect_b32 s9, -1, 0
	s_cmp_lg_u32 s9, 0
	s_add_co_ci_u32 s9, s13, s15
	s_ashr_i32 s12, s3, 31
	s_delay_alu instid0(SALU_CYCLE_1) | instskip(NEXT) | instid1(SALU_CYCLE_1)
	s_mov_b32 s13, s12
	s_add_nc_u64 s[14:15], s[2:3], s[12:13]
	s_delay_alu instid0(SALU_CYCLE_1) | instskip(NEXT) | instid1(SALU_CYCLE_1)
	s_xor_b64 s[14:15], s[14:15], s[12:13]
	s_mul_hi_u32 s27, s14, s9
	s_mul_i32 s26, s14, s9
	s_wait_alu 0xfffe
	s_mul_hi_u32 s22, s14, s7
	s_mul_hi_u32 s21, s15, s7
	s_mul_i32 s7, s15, s7
	s_add_nc_u64 s[22:23], s[22:23], s[26:27]
	s_mul_hi_u32 s3, s15, s9
	s_wait_alu 0xfffe
	s_add_co_u32 s7, s22, s7
	s_add_co_ci_u32 s24, s23, s21
	s_mul_i32 s26, s15, s9
	s_add_co_ci_u32 s27, s3, 0
	s_delay_alu instid0(SALU_CYCLE_1) | instskip(NEXT) | instid1(SALU_CYCLE_1)
	s_add_nc_u64 s[22:23], s[24:25], s[26:27]
	s_mul_u64 s[24:25], s[10:11], s[22:23]
	s_add_nc_u64 s[26:27], s[22:23], 1
	s_sub_co_u32 s3, s14, s24
	s_cselect_b32 s7, -1, 0
	s_sub_co_i32 s9, s15, s25
	s_wait_alu 0xfffe
	s_cmp_lg_u32 s7, 0
	s_add_nc_u64 s[28:29], s[22:23], 2
	s_sub_co_ci_u32 s9, s9, s11
	s_sub_co_u32 s14, s3, s10
	s_cselect_b32 s21, -1, 0
	s_delay_alu instid0(SALU_CYCLE_1) | instskip(SKIP_1) | instid1(SALU_CYCLE_1)
	s_cmp_lg_u32 s21, 0
	s_sub_co_ci_u32 s9, s9, 0
	s_cmp_ge_u32 s9, s11
	s_cselect_b32 s21, -1, 0
	s_cmp_ge_u32 s14, s10
	s_cselect_b32 s14, -1, 0
	s_cmp_eq_u32 s9, s11
	s_cselect_b32 s9, s14, s21
	s_delay_alu instid0(SALU_CYCLE_1)
	s_cmp_lg_u32 s9, 0
	s_cselect_b32 s9, s28, s26
	s_cselect_b32 s14, s29, s27
	s_cmp_lg_u32 s7, 0
	s_sub_co_ci_u32 s7, s15, s25
	s_wait_alu 0xfffe
	s_cmp_ge_u32 s7, s11
	s_cselect_b32 s15, -1, 0
	s_cmp_ge_u32 s3, s10
	s_cselect_b32 s3, -1, 0
	s_cmp_eq_u32 s7, s11
	s_cselect_b32 s3, s3, s15
	s_delay_alu instid0(SALU_CYCLE_1) | instskip(SKIP_3) | instid1(SALU_CYCLE_1)
	s_cmp_lg_u32 s3, 0
	s_cselect_b32 s11, s14, s23
	s_cselect_b32 s10, s9, s22
	s_xor_b64 s[12:13], s[12:13], 0
	s_xor_b64 s[10:11], s[10:11], s[12:13]
	s_delay_alu instid0(SALU_CYCLE_1)
	s_sub_nc_u64 s[10:11], s[10:11], s[12:13]
	s_load_b96 s[12:14], s[0:1], 0x44
	s_and_not1_b32 vcc_lo, exec_lo, s8
	s_cbranch_vccnz .LBB36_6
.LBB36_5:
	v_cvt_f32_u32_e32 v1, s16
	s_sub_co_i32 s7, 0, s16
	s_delay_alu instid0(VALU_DEP_1) | instskip(NEXT) | instid1(TRANS32_DEP_1)
	v_rcp_iflag_f32_e32 v1, v1
	v_mul_f32_e32 v1, 0x4f7ffffe, v1
	s_delay_alu instid0(VALU_DEP_1) | instskip(NEXT) | instid1(VALU_DEP_1)
	v_cvt_u32_f32_e32 v1, v1
	v_readfirstlane_b32 s3, v1
	s_wait_alu 0xfffe
	s_mul_i32 s7, s7, s3
	s_wait_alu 0xfffe
	s_mul_hi_u32 s7, s3, s7
	s_wait_alu 0xfffe
	s_add_co_i32 s3, s3, s7
	s_delay_alu instid0(SALU_CYCLE_1) | instskip(NEXT) | instid1(SALU_CYCLE_1)
	s_mul_hi_u32 s3, s2, s3
	s_mul_i32 s7, s3, s16
	s_wait_alu 0xfffe
	s_sub_co_i32 s2, s2, s7
	s_add_co_i32 s7, s3, 1
	s_sub_co_i32 s8, s2, s16
	s_cmp_ge_u32 s2, s16
	s_wait_alu 0xfffe
	s_cselect_b32 s3, s7, s3
	s_cselect_b32 s2, s8, s2
	s_add_co_i32 s7, s3, 1
	s_cmp_ge_u32 s2, s16
	s_wait_alu 0xfffe
	s_cselect_b32 s10, s7, s3
.LBB36_6:
	s_mov_b32 s21, 0
	s_wait_kmcnt 0x0
	s_mov_b32 s22, s12
	s_mov_b32 s23, s21
	s_cmp_eq_u32 s20, s10
	s_mul_u64 s[2:3], s[20:21], s[22:23]
	s_cselect_b32 s7, -1, 0
	s_add_co_i32 s2, s3, s20
	s_mov_b32 s11, s21
	s_lshr_b32 s12, s2, s13
	s_mul_u64 s[2:3], s[10:11], s[22:23]
	s_mul_i32 s2, s12, s14
	s_delay_alu instid0(SALU_CYCLE_1) | instskip(SKIP_2) | instid1(SALU_CYCLE_1)
	s_cmp_eq_u32 s2, s20
	s_cselect_b32 s2, -1, 0
	s_add_co_i32 s3, s3, s10
	s_lshr_b32 s3, s3, s13
	s_delay_alu instid0(SALU_CYCLE_1)
	s_cmp_eq_u32 s12, s3
	s_mul_i32 s3, s3, s14
	s_cselect_b32 s8, -1, 0
	s_cmp_lg_u32 s3, s10
	s_cselect_b32 s3, -1, 0
	s_wait_alu 0xfffe
	s_or_b32 s2, s7, s2
	s_and_b32 s3, s8, s3
	s_delay_alu instid0(SALU_CYCLE_1) | instskip(NEXT) | instid1(SALU_CYCLE_1)
	s_or_b32 s2, s2, s3
	s_and_b32 vcc_lo, exec_lo, s2
	s_cbranch_vccnz .LBB36_24
; %bb.7:
	s_load_b256 s[24:31], s[0:1], 0x20
	s_mov_b32 s3, s21
	s_wait_kmcnt 0x0
	s_mov_b32 s2, s24
	s_delay_alu instid0(SALU_CYCLE_1) | instskip(NEXT) | instid1(SALU_CYCLE_1)
	s_mul_u64 s[2:3], s[20:21], s[2:3]
	s_add_co_i32 s2, s3, s20
	s_delay_alu instid0(SALU_CYCLE_1) | instskip(SKIP_2) | instid1(SALU_CYCLE_1)
	s_lshr_b32 s7, s2, s25
	s_load_b32 s2, s[0:1], 0x40
	s_mul_i32 s3, s7, s26
	s_sub_co_i32 s3, s20, s3
	s_delay_alu instid0(SALU_CYCLE_1) | instskip(NEXT) | instid1(SALU_CYCLE_1)
	s_mul_hi_u32 s8, s3, s27
	s_add_co_i32 s8, s3, s8
	s_delay_alu instid0(SALU_CYCLE_1) | instskip(NEXT) | instid1(SALU_CYCLE_1)
	s_lshr_b32 s15, s8, s28
	s_mul_i32 s8, s15, s29
	s_delay_alu instid0(SALU_CYCLE_1) | instskip(NEXT) | instid1(SALU_CYCLE_1)
	s_sub_co_i32 s8, s3, s8
	s_mul_hi_u32 s3, s8, s30
	s_delay_alu instid0(SALU_CYCLE_1) | instskip(NEXT) | instid1(SALU_CYCLE_1)
	s_add_co_i32 s3, s8, s3
	s_lshr_b32 s10, s3, s31
	s_mov_b32 s3, s21
	s_wait_kmcnt 0x0
	s_mul_i32 s2, s10, s2
	s_lshl_b32 s24, s10, 1
	s_sub_co_i32 s2, s8, s2
	s_delay_alu instid0(SALU_CYCLE_1) | instskip(SKIP_2) | instid1(SALU_CYCLE_1)
	s_mul_u64 s[8:9], s[2:3], s[22:23]
	s_lshr_b32 s3, ttmp7, 16
	s_add_co_i32 s2, s2, s9
	s_lshr_b32 s21, s2, s13
	s_and_b32 s2, ttmp7, 0xffff
	s_lshl_b32 s8, s21, 5
	s_delay_alu instid0(SALU_CYCLE_1) | instskip(NEXT) | instid1(SALU_CYCLE_1)
	s_add_co_i32 s8, s8, s2
	s_cmp_lt_i32 s8, s4
	s_cselect_b32 s8, -1, 0
	s_add_co_i32 s24, s24, s3
	s_delay_alu instid0(SALU_CYCLE_1) | instskip(SKIP_1) | instid1(SALU_CYCLE_1)
	s_cmp_lt_i32 s24, s6
	s_cselect_b32 s9, -1, 0
	s_and_b32 s8, s8, s9
	s_delay_alu instid0(SALU_CYCLE_1)
	s_and_not1_b32 vcc_lo, exec_lo, s8
	s_cbranch_vccnz .LBB36_24
; %bb.8:
	s_mul_i32 s4, s7, s4
	s_load_b128 s[8:11], s[0:1], 0x0
	s_add_co_i32 s0, s4, s2
	s_mul_i32 s15, s15, s6
	s_mul_i32 s0, s0, s5
	s_add_co_i32 s1, s24, s15
	s_mul_i32 s4, s5, s21
	s_add_co_i32 s0, s1, s0
	s_mulk_i32 s4, 0xc00
	s_mulk_i32 s0, 0x60
	s_lshl_b32 s15, s2, 1
	v_add3_u32 v1, s4, s0, v0
	s_add_nc_u64 s[0:1], s[16:17], 0
	s_add_co_i32 s15, s15, s3
	s_wait_alu 0xfffe
	s_xor_b64 s[6:7], s[0:1], 0
	s_lshl_b32 s0, ttmp9, 6
	v_ashrrev_i32_e32 v2, 31, v1
	s_wait_alu 0xfffe
	s_cvt_f32_u32 s1, s6
	s_cvt_f32_u32 s2, s7
	s_add_co_i32 s0, s15, s0
	v_cvt_f32_u32_e32 v3, s16
	v_lshlrev_b64_e32 v[1:2], 2, v[1:2]
	s_wait_alu 0xfffe
	s_fmamk_f32 s2, s2, 0x4f800000, s1
	s_ashr_i32 s1, s0, 31
	s_add_co_i32 s34, ttmp9, -1
	s_wait_alu 0xfffe
	s_lshl_b64 s[0:1], s[0:1], 3
	v_s_rcp_f32 s2, s2
	s_wait_kmcnt 0x0
	v_add_co_u32 v1, vcc_lo, s8, v1
	s_delay_alu instid0(VALU_DEP_1)
	v_add_co_ci_u32_e64 v2, null, s9, v2, vcc_lo
	s_wait_alu 0xfffe
	s_add_nc_u64 s[0:1], s[10:11], s[0:1]
	v_rcp_iflag_f32_e32 v3, v3
	s_load_b64 s[26:27], s[0:1], 0x0
	global_load_b32 v5, v[1:2], off
	s_mul_f32 s2, s2, 0x5f7ffffc
	s_mov_b32 s8, 0
	s_lshl_b32 s0, s16, 8
	s_wait_alu 0xfffe
	s_mov_b32 s1, s8
	s_mul_f32 s3, s2, 0x2f800000
	s_wait_alu 0xfffe
	s_lshl_b64 s[0:1], s[0:1], 2
	s_sub_nc_u64 s[30:31], 0, s[6:7]
	v_mul_f32_e32 v6, 0x4f7ffffe, v3
	s_trunc_f32 s3, s3
	s_wait_alu 0xfffe
	s_add_nc_u64 s[24:25], s[10:11], s[0:1]
	v_mad_co_u64_u32 v[3:4], null, 0x60, s15, v[0:1]
	s_fmamk_f32 s0, s3, 0xcf800000, s2
	v_cvt_u32_f32_e32 v0, v6
	s_cvt_u32_f32 s29, s3
	s_wait_alu 0xfffe
	s_cvt_u32_f32 s28, s0
	s_wait_kmcnt 0x0
	v_mov_b32_e32 v4, s27
.LBB36_9:                               ; =>This Inner Loop Header: Depth=1
	s_wait_alu 0xfffe
	s_ashr_i32 s35, s34, 31
	s_mov_b32 s2, -1
	s_wait_alu 0xfffe
	s_mul_u64 s[0:1], s[34:35], s[18:19]
                                        ; implicit-def: $sgpr38_sgpr39
	s_wait_alu 0xfffe
	s_mov_b32 s9, s1
	s_wait_alu 0xfffe
	s_cmp_lg_u64 s[8:9], 0
	s_cbranch_scc0 .LBB36_11
; %bb.10:                               ;   in Loop: Header=BB36_9 Depth=1
	s_mul_u64 s[2:3], s[30:31], s[28:29]
	s_mov_b32 s37, s8
	s_wait_alu 0xfffe
	s_mul_hi_u32 s5, s28, s3
	s_mul_i32 s4, s28, s3
	s_mul_hi_u32 s36, s28, s2
	s_mul_hi_u32 s9, s29, s2
	s_wait_alu 0xfffe
	s_add_nc_u64 s[4:5], s[36:37], s[4:5]
	s_mul_i32 s2, s29, s2
	s_mul_hi_u32 s17, s29, s3
	s_wait_alu 0xfffe
	s_add_co_u32 s2, s4, s2
	s_add_co_ci_u32 s2, s5, s9
	s_add_co_ci_u32 s5, s17, 0
	s_mul_i32 s4, s29, s3
	s_mov_b32 s3, s8
	s_mov_b32 s39, s8
	s_wait_alu 0xfffe
	s_add_nc_u64 s[2:3], s[2:3], s[4:5]
	s_wait_alu 0xfffe
	s_add_co_u32 s2, s28, s2
	s_cselect_b32 s4, -1, 0
	s_wait_alu 0xfffe
	s_cmp_lg_u32 s4, 0
	s_add_co_ci_u32 s3, s29, s3
	s_wait_alu 0xfffe
	s_mul_u64 s[4:5], s[30:31], s[2:3]
	s_wait_alu 0xfffe
	s_mul_hi_u32 s37, s2, s5
	s_mul_i32 s36, s2, s5
	s_mul_hi_u32 s38, s2, s4
	s_mul_hi_u32 s9, s3, s4
	s_mul_i32 s4, s3, s4
	s_wait_alu 0xfffe
	s_add_nc_u64 s[36:37], s[38:39], s[36:37]
	s_mul_hi_u32 s17, s3, s5
	s_wait_alu 0xfffe
	s_add_co_u32 s4, s36, s4
	s_add_co_ci_u32 s4, s37, s9
	s_add_co_ci_u32 s37, s17, 0
	s_mul_i32 s36, s3, s5
	s_mov_b32 s5, s8
	s_wait_alu 0xfffe
	s_add_nc_u64 s[4:5], s[4:5], s[36:37]
	s_mov_b32 s37, s8
	s_wait_alu 0xfffe
	s_add_co_u32 s9, s2, s4
	s_cselect_b32 s2, -1, 0
	s_wait_alu 0xfffe
	s_cmp_lg_u32 s2, 0
	s_add_co_ci_u32 s17, s3, s5
	s_ashr_i32 s2, s1, 31
	s_wait_alu 0xfffe
	s_mov_b32 s3, s2
	s_wait_alu 0xfffe
	s_add_nc_u64 s[4:5], s[0:1], s[2:3]
	s_wait_alu 0xfffe
	s_xor_b64 s[4:5], s[4:5], s[2:3]
	s_wait_alu 0xfffe
	s_mul_hi_u32 s39, s4, s17
	s_mul_i32 s38, s4, s17
	s_mul_hi_u32 s36, s4, s9
	s_mul_i32 s21, s5, s9
	s_wait_alu 0xfffe
	s_add_nc_u64 s[36:37], s[36:37], s[38:39]
	s_mul_hi_u32 s9, s5, s9
	s_mul_hi_u32 s1, s5, s17
	s_wait_alu 0xfffe
	s_add_co_u32 s21, s36, s21
	s_add_co_ci_u32 s36, s37, s9
	s_add_co_ci_u32 s39, s1, 0
	s_mul_i32 s38, s5, s17
	s_mov_b32 s37, s8
	s_wait_alu 0xfffe
	s_add_nc_u64 s[36:37], s[36:37], s[38:39]
	s_wait_alu 0xfffe
	s_mul_u64 s[38:39], s[6:7], s[36:37]
	s_add_nc_u64 s[40:41], s[36:37], 1
	s_sub_co_u32 s1, s4, s38
	s_cselect_b32 s4, -1, 0
	s_sub_co_i32 s9, s5, s39
	s_wait_alu 0xfffe
	s_cmp_lg_u32 s4, 0
	s_add_nc_u64 s[42:43], s[36:37], 2
	s_sub_co_ci_u32 s9, s9, s7
	s_sub_co_u32 s17, s1, s6
	s_cselect_b32 s21, -1, 0
	s_delay_alu instid0(SALU_CYCLE_1)
	s_cmp_lg_u32 s21, 0
	s_wait_alu 0xfffe
	s_sub_co_ci_u32 s9, s9, 0
	s_wait_alu 0xfffe
	s_cmp_ge_u32 s9, s7
	s_cselect_b32 s21, -1, 0
	s_cmp_ge_u32 s17, s6
	s_cselect_b32 s17, -1, 0
	s_cmp_eq_u32 s9, s7
	s_wait_alu 0xfffe
	s_cselect_b32 s9, s17, s21
	s_wait_alu 0xfffe
	s_cmp_lg_u32 s9, 0
	s_cselect_b32 s9, s42, s40
	s_cselect_b32 s17, s43, s41
	s_cmp_lg_u32 s4, 0
	s_sub_co_ci_u32 s4, s5, s39
	s_wait_alu 0xfffe
	s_cmp_ge_u32 s4, s7
	s_cselect_b32 s5, -1, 0
	s_cmp_ge_u32 s1, s6
	s_cselect_b32 s1, -1, 0
	s_cmp_eq_u32 s4, s7
	s_wait_alu 0xfffe
	s_cselect_b32 s1, s1, s5
	s_wait_alu 0xfffe
	s_cmp_lg_u32 s1, 0
	s_cselect_b32 s5, s17, s37
	s_cselect_b32 s4, s9, s36
	s_xor_b64 s[2:3], s[2:3], 0
	s_wait_alu 0xfffe
	s_xor_b64 s[4:5], s[4:5], s[2:3]
	s_wait_alu 0xfffe
	s_sub_nc_u64 s[38:39], s[4:5], s[2:3]
	s_mov_b32 s2, 0
.LBB36_11:                              ;   in Loop: Header=BB36_9 Depth=1
	s_wait_alu 0xfffe
	s_and_not1_b32 vcc_lo, exec_lo, s2
	s_wait_alu 0xfffe
	s_cbranch_vccnz .LBB36_13
; %bb.12:                               ;   in Loop: Header=BB36_9 Depth=1
	v_readfirstlane_b32 s1, v0
	s_sub_co_i32 s2, 0, s16
	s_wait_alu 0xfffe
	s_mul_i32 s2, s2, s1
	s_wait_alu 0xfffe
	s_mul_hi_u32 s2, s1, s2
	s_wait_alu 0xfffe
	s_add_co_i32 s1, s1, s2
	s_wait_alu 0xfffe
	s_mul_hi_u32 s1, s0, s1
	s_wait_alu 0xfffe
	s_mul_i32 s2, s1, s16
	s_wait_alu 0xfffe
	s_sub_co_i32 s0, s0, s2
	s_add_co_i32 s2, s1, 1
	s_wait_alu 0xfffe
	s_sub_co_i32 s3, s0, s16
	s_cmp_ge_u32 s0, s16
	s_cselect_b32 s1, s2, s1
	s_wait_alu 0xfffe
	s_cselect_b32 s0, s3, s0
	s_add_co_i32 s2, s1, 1
	s_wait_alu 0xfffe
	s_cmp_ge_u32 s0, s16
	s_cselect_b32 s38, s2, s1
.LBB36_13:                              ;   in Loop: Header=BB36_9 Depth=1
	v_readfirstlane_b32 s9, v0
	s_cmp_lg_u32 s20, s38
	s_mov_b32 s0, -1
                                        ; implicit-def: $sgpr21
                                        ; implicit-def: $vgpr6
                                        ; implicit-def: $vgpr7
                                        ; implicit-def: $sgpr17
                                        ; implicit-def: $sgpr27
	s_cbranch_scc1 .LBB36_16
; %bb.14:                               ;   in Loop: Header=BB36_9 Depth=1
	s_wait_alu 0xfffe
	s_and_not1_b32 vcc_lo, exec_lo, s0
	s_wait_alu 0xfffe
	s_cbranch_vccz .LBB36_19
.LBB36_15:                              ;   in Loop: Header=BB36_9 Depth=1
	s_and_not1_b32 vcc_lo, exec_lo, s21
	s_wait_alu 0xfffe
	s_cbranch_vccnz .LBB36_20
	s_branch .LBB36_23
.LBB36_16:                              ;   in Loop: Header=BB36_9 Depth=1
	s_add_co_i32 s0, s34, s16
	s_mov_b32 s1, s8
	s_wait_alu 0xfffe
	s_lshl_b32 s0, s0, 6
	v_max_num_f32_e64 v6, s26, s26
	s_wait_alu 0xfffe
	s_add_co_i32 s0, s0, s15
	s_mov_b32 s39, s8
	s_wait_alu 0xfffe
	s_lshl_b64 s[0:1], s[0:1], 3
	s_mul_u64 s[40:41], s[38:39], s[22:23]
	s_wait_alu 0xfffe
	s_add_nc_u64 s[0:1], s[10:11], s[0:1]
	s_mov_b32 s27, s20
	s_load_b64 s[36:37], s[0:1], 0x0
	v_readfirstlane_b32 s0, v6
	s_wait_kmcnt 0x0
	v_max_num_f32_e64 v7, s36, s36
	s_delay_alu instid0(VALU_DEP_1) | instskip(SKIP_2) | instid1(SALU_CYCLE_2)
	v_readfirstlane_b32 s1, v7
	s_max_num_f32 s9, s0, s1
	s_wait_alu 0xfffe
	s_sub_f32 s33, s26, s9
	s_sub_f32 s35, s36, s9
	s_wait_alu 0xfffe
	s_delay_alu instid0(SALU_CYCLE_1)
	s_cmp_nlt_f32 s33, 0xc2ce8ed0
	s_cselect_b32 s0, -1, 0
	s_cmp_ngt_f32 s33, 0x42b17218
	s_cselect_b32 s1, -1, 0
	s_cmp_ge_f32 s33, 0xc1a00000
	s_cselect_b32 s2, -1, 0
	s_cmp_nlt_f32 s35, 0xc2ce8ed0
	s_cselect_b32 s3, -1, 0
	s_cmp_ngt_f32 s35, 0x42b17218
	s_cselect_b32 s4, -1, 0
	s_cmp_ge_f32 s35, 0xc1a00000
	s_cselect_b32 s5, -1, 0
	s_add_co_i32 s17, s41, s38
	s_wait_alu 0xfffe
	s_lshr_b32 s17, s17, s13
	s_wait_alu 0xfffe
	s_mul_i32 s21, s17, s14
	s_delay_alu instid0(SALU_CYCLE_1)
	s_cmp_eq_u32 s21, s38
	s_cselect_b32 s21, -1, 0
	s_cmp_lt_u32 s17, s12
	s_cselect_b32 s17, -1, 0
	s_wait_alu 0xfffe
	s_or_b32 s17, s17, s21
	s_mov_b32 s21, -1
	s_wait_alu 0xfffe
	s_and_b32 vcc_lo, exec_lo, s17
	s_mov_b32 s17, s34
	s_wait_alu 0xfffe
	s_cbranch_vccnz .LBB36_18
; %bb.17:                               ;   in Loop: Header=BB36_9 Depth=1
	s_add_co_i32 s17, s34, -1
	s_mov_b32 s21, 0
	s_mov_b32 s27, s38
.LBB36_18:                              ;   in Loop: Header=BB36_9 Depth=1
	v_mad_co_u64_u32 v[6:7], null, 0x1800, s34, v[3:4]
	s_mul_f32 s36, s35, 0x3fb8aa3b
	s_mul_f32 s38, s33, 0x3fb8aa3b
	s_wait_alu 0xfffe
	s_delay_alu instid0(SALU_CYCLE_1)
	s_xor_b32 s39, s36, 0x80000000
	s_rndne_f32 s40, s36
	v_ashrrev_i32_e32 v7, 31, v6
	s_fmamk_f32 s39, s35, 0x3fb8aa3b, s39
	s_xor_b32 s41, s38, 0x80000000
	s_sub_f32 s36, s36, s40
	s_rndne_f32 s42, s38
	v_lshlrev_b64_e32 v[6:7], 2, v[6:7]
	s_fmamk_f32 s35, s35, 0x32a5705f, s39
	s_fmamk_f32 s39, s33, 0x3fb8aa3b, s41
	s_sub_f32 s38, s38, s42
	s_wait_alu 0xfffe
	s_add_f32 s35, s36, s35
	v_add_co_u32 v6, vcc_lo, s24, v6
	s_wait_alu 0xfffd
	v_add_co_ci_u32_e64 v7, null, s25, v7, vcc_lo
	s_fmamk_f32 s33, s33, 0x32a5705f, s39
	s_wait_alu 0xfffe
	v_s_exp_f32 s35, s35
	s_cvt_i32_f32 s36, s40
	global_load_b32 v6, v[6:7], off
	s_add_f32 s33, s38, s33
	s_wait_alu 0xfffe
	s_delay_alu instid0(SALU_CYCLE_2) | instskip(SKIP_2) | instid1(VALU_DEP_1)
	v_s_exp_f32 s33, s33
	v_ldexp_f32 v7, s35, s36
	s_cvt_i32_f32 s35, s42
	v_cndmask_b32_e64 v7, 0, v7, s3
	s_wait_alu 0xf1fe
	s_delay_alu instid0(TRANS32_DEP_1) | instid1(SALU_CYCLE_1)
	v_ldexp_f32 v8, s33, s35
	s_delay_alu instid0(VALU_DEP_2) | instskip(NEXT) | instid1(VALU_DEP_2)
	v_cndmask_b32_e64 v7, 0x7f800000, v7, s4
	v_cndmask_b32_e64 v8, 0, v8, s0
	s_delay_alu instid0(VALU_DEP_2) | instskip(NEXT) | instid1(VALU_DEP_2)
	v_cndmask_b32_e64 v7, 0, v7, s5
	v_cndmask_b32_e64 v8, 0x7f800000, v8, s1
	s_delay_alu instid0(VALU_DEP_1) | instskip(SKIP_1) | instid1(VALU_DEP_3)
	v_cndmask_b32_e64 v8, 0, v8, s2
	s_wait_loadcnt 0x0
	v_mul_f32_e32 v6, v6, v7
	v_mul_f32_e32 v7, s37, v7
	s_delay_alu instid0(VALU_DEP_1) | instskip(NEXT) | instid1(VALU_DEP_3)
	v_fmac_f32_e32 v7, v4, v8
	v_fmac_f32_e32 v6, v5, v8
	s_cbranch_execnz .LBB36_15
.LBB36_19:                              ;   in Loop: Header=BB36_9 Depth=1
	s_wait_loadcnt 0x0
	v_dual_mov_b32 v7, v4 :: v_dual_mov_b32 v6, v5
	s_add_co_i32 s17, s34, -1
	s_mov_b32 s27, s20
	s_mov_b32 s9, s26
	s_cbranch_execz .LBB36_23
.LBB36_20:                              ;   in Loop: Header=BB36_9 Depth=1
	s_wait_loadcnt 0x0
	v_dual_mov_b32 v4, v7 :: v_dual_mov_b32 v5, v6
	s_wait_alu 0xfffe
	s_mov_b32 s20, s27
	s_mov_b32 s34, s17
	s_mov_b32 s26, s9
	s_branch .LBB36_9
.LBB36_21:
                                        ; implicit-def: $sgpr20_sgpr21
	s_branch .LBB36_2
.LBB36_22:
                                        ; implicit-def: $sgpr10_sgpr11
	s_load_b96 s[12:14], s[0:1], 0x44
	s_branch .LBB36_5
.LBB36_23:
	v_div_scale_f32 v0, null, v7, v7, v6
	s_delay_alu instid0(VALU_DEP_1) | instskip(NEXT) | instid1(TRANS32_DEP_1)
	v_rcp_f32_e32 v3, v0
	v_fma_f32 v4, -v0, v3, 1.0
	s_delay_alu instid0(VALU_DEP_1) | instskip(SKIP_2) | instid1(VALU_DEP_1)
	v_fmac_f32_e32 v3, v4, v3
	v_div_scale_f32 v4, vcc_lo, v6, v7, v6
	s_wait_loadcnt 0x0
	v_mul_f32_e32 v5, v4, v3
	s_delay_alu instid0(VALU_DEP_1) | instskip(NEXT) | instid1(VALU_DEP_1)
	v_fma_f32 v8, -v0, v5, v4
	v_fmac_f32_e32 v5, v8, v3
	s_delay_alu instid0(VALU_DEP_1) | instskip(SKIP_1) | instid1(VALU_DEP_1)
	v_fma_f32 v0, -v0, v5, v4
	s_wait_alu 0xfffd
	v_div_fmas_f32 v0, v0, v3, v5
	s_delay_alu instid0(VALU_DEP_1)
	v_div_fixup_f32 v0, v0, v7, v6
	global_store_b32 v[1:2], v0, off
.LBB36_24:
	s_endpgm
	.section	.rodata,"a",@progbits
	.p2align	6, 0x0
	.amdhsa_kernel _ZL33flash_attn_stream_k_fixup_generalILi96ELi32ELi2EEvPfPK15HIP_vector_typeIfLj2EEiiiiS1_IjLj3EES5_S5_S5_
		.amdhsa_group_segment_fixed_size 0
		.amdhsa_private_segment_fixed_size 0
		.amdhsa_kernarg_size 336
		.amdhsa_user_sgpr_count 2
		.amdhsa_user_sgpr_dispatch_ptr 0
		.amdhsa_user_sgpr_queue_ptr 0
		.amdhsa_user_sgpr_kernarg_segment_ptr 1
		.amdhsa_user_sgpr_dispatch_id 0
		.amdhsa_user_sgpr_private_segment_size 0
		.amdhsa_wavefront_size32 1
		.amdhsa_uses_dynamic_stack 0
		.amdhsa_enable_private_segment 0
		.amdhsa_system_sgpr_workgroup_id_x 1
		.amdhsa_system_sgpr_workgroup_id_y 1
		.amdhsa_system_sgpr_workgroup_id_z 1
		.amdhsa_system_sgpr_workgroup_info 0
		.amdhsa_system_vgpr_workitem_id 0
		.amdhsa_next_free_vgpr 9
		.amdhsa_next_free_sgpr 44
		.amdhsa_reserve_vcc 1
		.amdhsa_float_round_mode_32 0
		.amdhsa_float_round_mode_16_64 0
		.amdhsa_float_denorm_mode_32 3
		.amdhsa_float_denorm_mode_16_64 3
		.amdhsa_fp16_overflow 0
		.amdhsa_workgroup_processor_mode 1
		.amdhsa_memory_ordered 1
		.amdhsa_forward_progress 1
		.amdhsa_inst_pref_size 28
		.amdhsa_round_robin_scheduling 0
		.amdhsa_exception_fp_ieee_invalid_op 0
		.amdhsa_exception_fp_denorm_src 0
		.amdhsa_exception_fp_ieee_div_zero 0
		.amdhsa_exception_fp_ieee_overflow 0
		.amdhsa_exception_fp_ieee_underflow 0
		.amdhsa_exception_fp_ieee_inexact 0
		.amdhsa_exception_int_div_zero 0
	.end_amdhsa_kernel
	.section	.text._ZL33flash_attn_stream_k_fixup_generalILi96ELi32ELi2EEvPfPK15HIP_vector_typeIfLj2EEiiiiS1_IjLj3EES5_S5_S5_,"axG",@progbits,_ZL33flash_attn_stream_k_fixup_generalILi96ELi32ELi2EEvPfPK15HIP_vector_typeIfLj2EEiiiiS1_IjLj3EES5_S5_S5_,comdat
.Lfunc_end36:
	.size	_ZL33flash_attn_stream_k_fixup_generalILi96ELi32ELi2EEvPfPK15HIP_vector_typeIfLj2EEiiiiS1_IjLj3EES5_S5_S5_, .Lfunc_end36-_ZL33flash_attn_stream_k_fixup_generalILi96ELi32ELi2EEvPfPK15HIP_vector_typeIfLj2EEiiiiS1_IjLj3EES5_S5_S5_
                                        ; -- End function
	.set _ZL33flash_attn_stream_k_fixup_generalILi96ELi32ELi2EEvPfPK15HIP_vector_typeIfLj2EEiiiiS1_IjLj3EES5_S5_S5_.num_vgpr, 9
	.set _ZL33flash_attn_stream_k_fixup_generalILi96ELi32ELi2EEvPfPK15HIP_vector_typeIfLj2EEiiiiS1_IjLj3EES5_S5_S5_.num_agpr, 0
	.set _ZL33flash_attn_stream_k_fixup_generalILi96ELi32ELi2EEvPfPK15HIP_vector_typeIfLj2EEiiiiS1_IjLj3EES5_S5_S5_.numbered_sgpr, 44
	.set _ZL33flash_attn_stream_k_fixup_generalILi96ELi32ELi2EEvPfPK15HIP_vector_typeIfLj2EEiiiiS1_IjLj3EES5_S5_S5_.num_named_barrier, 0
	.set _ZL33flash_attn_stream_k_fixup_generalILi96ELi32ELi2EEvPfPK15HIP_vector_typeIfLj2EEiiiiS1_IjLj3EES5_S5_S5_.private_seg_size, 0
	.set _ZL33flash_attn_stream_k_fixup_generalILi96ELi32ELi2EEvPfPK15HIP_vector_typeIfLj2EEiiiiS1_IjLj3EES5_S5_S5_.uses_vcc, 1
	.set _ZL33flash_attn_stream_k_fixup_generalILi96ELi32ELi2EEvPfPK15HIP_vector_typeIfLj2EEiiiiS1_IjLj3EES5_S5_S5_.uses_flat_scratch, 0
	.set _ZL33flash_attn_stream_k_fixup_generalILi96ELi32ELi2EEvPfPK15HIP_vector_typeIfLj2EEiiiiS1_IjLj3EES5_S5_S5_.has_dyn_sized_stack, 0
	.set _ZL33flash_attn_stream_k_fixup_generalILi96ELi32ELi2EEvPfPK15HIP_vector_typeIfLj2EEiiiiS1_IjLj3EES5_S5_S5_.has_recursion, 0
	.set _ZL33flash_attn_stream_k_fixup_generalILi96ELi32ELi2EEvPfPK15HIP_vector_typeIfLj2EEiiiiS1_IjLj3EES5_S5_S5_.has_indirect_call, 0
	.section	.AMDGPU.csdata,"",@progbits
; Kernel info:
; codeLenInByte = 3540
; TotalNumSgprs: 46
; NumVgprs: 9
; ScratchSize: 0
; MemoryBound: 0
; FloatMode: 240
; IeeeMode: 1
; LDSByteSize: 0 bytes/workgroup (compile time only)
; SGPRBlocks: 0
; VGPRBlocks: 1
; NumSGPRsForWavesPerEU: 46
; NumVGPRsForWavesPerEU: 9
; Occupancy: 16
; WaveLimiterHint : 0
; COMPUTE_PGM_RSRC2:SCRATCH_EN: 0
; COMPUTE_PGM_RSRC2:USER_SGPR: 2
; COMPUTE_PGM_RSRC2:TRAP_HANDLER: 0
; COMPUTE_PGM_RSRC2:TGID_X_EN: 1
; COMPUTE_PGM_RSRC2:TGID_Y_EN: 1
; COMPUTE_PGM_RSRC2:TGID_Z_EN: 1
; COMPUTE_PGM_RSRC2:TIDIG_COMP_CNT: 0
	.section	.text._ZL15flash_attn_tileILi96ELi96ELi16ELi2ELb0EEvPKcS1_S1_S1_S1_PKiPfP15HIP_vector_typeIfLj2EEffffjfiS5_IjLj3EEiiiiiiiiiiiliiliiiiil,"axG",@progbits,_ZL15flash_attn_tileILi96ELi96ELi16ELi2ELb0EEvPKcS1_S1_S1_S1_PKiPfP15HIP_vector_typeIfLj2EEffffjfiS5_IjLj3EEiiiiiiiiiiiliiliiiiil,comdat
	.globl	_ZL15flash_attn_tileILi96ELi96ELi16ELi2ELb0EEvPKcS1_S1_S1_S1_PKiPfP15HIP_vector_typeIfLj2EEffffjfiS5_IjLj3EEiiiiiiiiiiiliiliiiiil ; -- Begin function _ZL15flash_attn_tileILi96ELi96ELi16ELi2ELb0EEvPKcS1_S1_S1_S1_PKiPfP15HIP_vector_typeIfLj2EEffffjfiS5_IjLj3EEiiiiiiiiiiiliiliiiiil
	.p2align	8
	.type	_ZL15flash_attn_tileILi96ELi96ELi16ELi2ELb0EEvPKcS1_S1_S1_S1_PKiPfP15HIP_vector_typeIfLj2EEffffjfiS5_IjLj3EEiiiiiiiiiiiliiliiiiil,@function
_ZL15flash_attn_tileILi96ELi96ELi16ELi2ELb0EEvPKcS1_S1_S1_S1_PKiPfP15HIP_vector_typeIfLj2EEffffjfiS5_IjLj3EEiiiiiiiiiiiliiliiiiil: ; @_ZL15flash_attn_tileILi96ELi96ELi16ELi2ELb0EEvPKcS1_S1_S1_S1_PKiPfP15HIP_vector_typeIfLj2EEffffjfiS5_IjLj3EEiiiiiiiiiiiliiliiiiil
; %bb.0:
	s_clause 0x1
	s_load_b128 s[24:27], s[0:1], 0x5c
	s_load_b64 s[34:35], s[0:1], 0x80
	s_lshr_b32 s5, ttmp7, 16
	s_load_b512 s[8:23], s[0:1], 0x0
	s_mov_b32 s43, 0
	s_mov_b64 s[36:37], 0
	s_wait_kmcnt 0x0
	s_lshr_b32 s2, s27, 31
	s_delay_alu instid0(SALU_CYCLE_1) | instskip(NEXT) | instid1(SALU_CYCLE_1)
	s_add_co_i32 s2, s27, s2
	s_ashr_i32 s2, s2, 1
	s_delay_alu instid0(SALU_CYCLE_1) | instskip(SKIP_1) | instid1(SALU_CYCLE_2)
	s_cvt_f32_u32 s3, s2
	s_sub_co_i32 s4, 0, s2
	v_rcp_iflag_f32_e32 v1, s3
	s_delay_alu instid0(TRANS32_DEP_1) | instskip(SKIP_2) | instid1(SALU_CYCLE_2)
	v_readfirstlane_b32 s3, v1
	s_mul_f32 s3, s3, 0x4f7ffffe
	s_wait_alu 0xfffe
	s_cvt_u32_f32 s3, s3
	s_wait_alu 0xfffe
	s_delay_alu instid0(SALU_CYCLE_2) | instskip(NEXT) | instid1(SALU_CYCLE_1)
	s_mul_i32 s4, s4, s3
	s_mul_hi_u32 s4, s3, s4
	s_delay_alu instid0(SALU_CYCLE_1)
	s_add_co_i32 s3, s3, s4
	s_wait_alu 0xfffe
	s_mul_hi_u32 s3, s5, s3
	s_wait_alu 0xfffe
	s_mul_i32 s4, s3, s2
	s_add_co_i32 s6, s3, 1
	s_sub_co_i32 s4, s5, s4
	s_delay_alu instid0(SALU_CYCLE_1)
	s_sub_co_i32 s7, s4, s2
	s_cmp_ge_u32 s4, s2
	s_cselect_b32 s3, s6, s3
	s_cselect_b32 s4, s7, s4
	s_wait_alu 0xfffe
	s_add_co_i32 s6, s3, 1
	s_cmp_ge_u32 s4, s2
	s_cselect_b32 s30, s6, s3
	s_abs_i32 s2, s35
	s_abs_i32 s7, s27
	s_wait_alu 0xfffe
	s_cvt_f32_u32 s3, s2
	s_sub_co_i32 s4, 0, s2
	s_lshl_b32 s5, s5, 1
	s_mul_i32 s6, s30, s27
	s_wait_alu 0xfffe
	v_rcp_iflag_f32_e32 v1, s3
	s_sub_co_i32 s28, s5, s6
	s_delay_alu instid0(TRANS32_DEP_1) | instskip(SKIP_2) | instid1(SALU_CYCLE_2)
	v_readfirstlane_b32 s3, v1
	s_mul_f32 s3, s3, 0x4f7ffffe
	s_wait_alu 0xfffe
	s_cvt_u32_f32 s3, s3
	s_wait_alu 0xfffe
	s_delay_alu instid0(SALU_CYCLE_2) | instskip(NEXT) | instid1(SALU_CYCLE_1)
	s_mul_i32 s4, s4, s3
	s_mul_hi_u32 s4, s3, s4
	s_delay_alu instid0(SALU_CYCLE_1)
	s_add_co_i32 s3, s3, s4
	s_xor_b32 s4, s27, s35
	s_wait_alu 0xfffe
	s_mul_hi_u32 s3, s7, s3
	s_ashr_i32 s4, s4, 31
	s_wait_alu 0xfffe
	s_mul_i32 s5, s3, s2
	s_add_co_i32 s6, s3, 1
	s_sub_co_i32 s5, s7, s5
	s_delay_alu instid0(SALU_CYCLE_1)
	s_sub_co_i32 s7, s5, s2
	s_cmp_ge_u32 s5, s2
	s_cselect_b32 s3, s6, s3
	s_cselect_b32 s5, s7, s5
	s_wait_alu 0xfffe
	s_add_co_i32 s6, s3, 1
	s_cmp_ge_u32 s5, s2
	s_cselect_b32 s2, s6, s3
	s_wait_alu 0xfffe
	s_xor_b32 s2, s2, s4
	s_wait_alu 0xfffe
	s_sub_co_i32 s33, s2, s4
	s_load_b64 s[2:3], s[0:1], 0xb8
	s_abs_i32 s29, s33
	s_cmp_eq_u64 s[14:15], 0
	s_cvt_f32_u32 s4, s29
	s_delay_alu instid0(SALU_CYCLE_3) | instskip(NEXT) | instid1(TRANS32_DEP_1)
	v_rcp_iflag_f32_e32 v1, s4
	v_readfirstlane_b32 s35, v1
	s_cbranch_scc1 .LBB37_2
; %bb.1:
	s_wait_kmcnt 0x0
	s_abs_i32 s2, s2
	s_wait_alu 0xfffe
	s_cvt_f32_u32 s4, s2
	s_wait_alu 0xfffe
	s_delay_alu instid0(SALU_CYCLE_2) | instskip(NEXT) | instid1(TRANS32_DEP_1)
	v_rcp_iflag_f32_e32 v1, s4
	v_readfirstlane_b32 s4, v1
	s_mul_f32 s4, s4, 0x4f7ffffe
	s_wait_alu 0xfffe
	s_delay_alu instid0(SALU_CYCLE_2) | instskip(SKIP_2) | instid1(SALU_CYCLE_1)
	s_cvt_u32_f32 s6, s4
	s_sub_co_i32 s4, 0, s2
	s_wait_alu 0xfffe
	s_mul_i32 s4, s4, s6
	s_wait_alu 0xfffe
	s_mul_hi_u32 s7, s6, s4
	s_load_b64 s[4:5], s[0:1], 0xc8
	s_add_co_i32 s6, s6, s7
	s_delay_alu instid0(SALU_CYCLE_1) | instskip(NEXT) | instid1(SALU_CYCLE_1)
	s_mul_hi_u32 s6, s30, s6
	s_mul_i32 s6, s6, s2
	s_delay_alu instid0(SALU_CYCLE_1) | instskip(NEXT) | instid1(SALU_CYCLE_1)
	s_sub_co_i32 s6, s30, s6
	s_sub_co_i32 s7, s6, s2
	s_cmp_ge_u32 s6, s2
	s_cselect_b32 s6, s7, s6
	s_delay_alu instid0(SALU_CYCLE_1) | instskip(SKIP_2) | instid1(SALU_CYCLE_1)
	s_sub_co_i32 s7, s6, s2
	s_cmp_ge_u32 s6, s2
	s_cselect_b32 s6, s7, s6
	s_ashr_i32 s7, s6, 31
	s_wait_kmcnt 0x0
	s_mul_u64 s[4:5], s[4:5], s[6:7]
	s_wait_alu 0xfffe
	s_add_nc_u64 s[36:37], s[14:15], s[4:5]
.LBB37_2:
	s_clause 0x1
	s_load_b96 s[40:42], s[0:1], 0x70
	s_load_b32 s14, s[0:1], 0x40
	v_and_b32_e32 v79, 0x3ff, v0
	v_bfe_u32 v80, v0, 10, 10
	s_lshl_b32 s15, ttmp9, 4
	s_delay_alu instid0(VALU_DEP_2)
	v_lshlrev_b32_e32 v68, 2, v79
	s_wait_kmcnt 0x0
	v_cmp_gt_u32_e64 s2, 24, v79
	v_lshlrev_b32_e32 v81, 3, v79
	v_lshl_add_u32 v0, v80, 1, s15
	v_lshlrev_b32_e32 v2, 2, v68
	s_mul_i32 s4, s30, s42
	s_mul_i32 s38, s28, s41
	s_wait_alu 0xfffe
	s_ashr_i32 s5, s4, 31
	s_ashr_i32 s7, s41, 31
	s_mov_b32 s6, s41
	s_ashr_i32 s41, s40, 31
	s_ashr_i32 s39, s38, 31
	s_wait_alu 0xfffe
	s_add_nc_u64 s[4:5], s[8:9], s[4:5]
	s_lshr_b64 s[6:7], s[6:7], 2
	s_wait_alu 0xfffe
	s_add_nc_u64 s[4:5], s[4:5], s[38:39]
	s_lshr_b64 s[8:9], s[40:41], 2
	s_and_saveexec_b32 s31, s2
	s_cbranch_execz .LBB37_4
; %bb.3:
	v_mul_hi_u32 v1, v0, s24
	s_lshl_b64 s[38:39], s[6:7], 2
	s_wait_alu 0xfffe
	s_add_nc_u64 s[38:39], s[4:5], s[38:39]
	s_delay_alu instid0(VALU_DEP_1) | instskip(NEXT) | instid1(VALU_DEP_1)
	v_add_nc_u32_e32 v1, v0, v1
	v_lshrrev_b32_e32 v1, s25, v1
	s_delay_alu instid0(VALU_DEP_1) | instskip(NEXT) | instid1(VALU_DEP_1)
	v_mul_lo_u32 v1, v1, s26
	v_sub_nc_u32_e32 v5, v0, v1
	s_delay_alu instid0(VALU_DEP_1) | instskip(NEXT) | instid1(VALU_DEP_1)
	v_mad_co_u64_u32 v[3:4], null, s8, v5, 0
	v_mov_b32_e32 v1, v4
	s_delay_alu instid0(VALU_DEP_1) | instskip(NEXT) | instid1(VALU_DEP_1)
	v_mad_co_u64_u32 v[4:5], null, s9, v5, v[1:2]
	v_lshlrev_b64_e32 v[3:4], 2, v[3:4]
	s_delay_alu instid0(VALU_DEP_1) | instskip(NEXT) | instid1(VALU_DEP_1)
	v_add_co_u32 v1, vcc_lo, s4, v3
	v_add_co_ci_u32_e64 v5, null, s5, v4, vcc_lo
	v_add_co_u32 v6, vcc_lo, s38, v3
	s_wait_alu 0xfffd
	v_add_co_ci_u32_e64 v8, null, s39, v4, vcc_lo
	v_add_co_u32 v3, vcc_lo, v1, v2
	s_wait_alu 0xfffd
	;; [unrolled: 3-line block ×3, first 2 shown]
	v_add_co_ci_u32_e64 v8, null, 0, v8, vcc_lo
	s_clause 0x1
	global_load_b128 v[3:6], v[3:4], off
	global_load_b128 v[7:10], v[7:8], off
	s_wait_loadcnt 0x1
	v_fma_mixlo_f16 v1, s14, v3, 0
	v_fma_mixlo_f16 v3, s14, v4, 0
	;; [unrolled: 1-line block ×4, first 2 shown]
	s_wait_loadcnt 0x0
	v_fma_mixlo_f16 v6, s14, v7, 0
	v_fma_mixlo_f16 v7, s14, v8, 0
	;; [unrolled: 1-line block ×4, first 2 shown]
	v_lshlrev_b32_e32 v3, 16, v3
	v_and_b32_e32 v1, 0xffff, v1
	v_lshlrev_b32_e32 v7, 16, v7
	v_and_b32_e32 v6, 0xffff, v6
	v_lshlrev_b32_e32 v5, 16, v5
	v_and_b32_e32 v4, 0xffff, v4
	v_lshlrev_b32_e32 v9, 16, v9
	v_and_b32_e32 v8, 0xffff, v8
	v_or_b32_e32 v1, v3, v1
	v_or_b32_e32 v7, v7, v6
	v_mad_u32_u24 v10, 0x300, v80, v81
	v_or3_b32 v4, v5, v4, 0
	v_or3_b32 v6, v9, v8, 0
	;; [unrolled: 1-line block ×4, first 2 shown]
	ds_store_2addr_b64 v10, v[3:4], v[5:6] offset1:24
.LBB37_4:
	s_or_b32 exec_lo, exec_lo, s31
	v_lshlrev_b32_e32 v1, 2, v80
	s_delay_alu instid0(VALU_DEP_1) | instskip(NEXT) | instid1(VALU_DEP_1)
	v_or_b32_e32 v3, 2, v1
	v_lshrrev_b32_e32 v78, 1, v3
	s_and_saveexec_b32 s31, s2
	s_cbranch_execz .LBB37_6
; %bb.5:
	s_delay_alu instid0(VALU_DEP_1) | instskip(SKIP_1) | instid1(VALU_DEP_2)
	v_add_nc_u32_e32 v4, s15, v78
	v_mad_u32_u24 v8, 0xc0, v3, v81
	v_mul_hi_u32 v5, v4, s24
	s_delay_alu instid0(VALU_DEP_1) | instskip(NEXT) | instid1(VALU_DEP_1)
	v_add_nc_u32_e32 v5, v4, v5
	v_lshrrev_b32_e32 v5, s25, v5
	s_delay_alu instid0(VALU_DEP_1) | instskip(NEXT) | instid1(VALU_DEP_1)
	v_mul_lo_u32 v5, v5, s26
	v_sub_nc_u32_e32 v6, v4, v5
	s_delay_alu instid0(VALU_DEP_1) | instskip(NEXT) | instid1(VALU_DEP_1)
	v_mad_co_u64_u32 v[4:5], null, s8, v6, 0
	v_mad_co_u64_u32 v[5:6], null, s9, v6, v[5:6]
	s_delay_alu instid0(VALU_DEP_1) | instskip(SKIP_1) | instid1(VALU_DEP_1)
	v_lshlrev_b64_e32 v[4:5], 2, v[4:5]
	s_wait_alu 0xfffe
	v_add_co_u32 v4, vcc_lo, s4, v4
	s_wait_alu 0xfffd
	s_delay_alu instid0(VALU_DEP_2) | instskip(NEXT) | instid1(VALU_DEP_2)
	v_add_co_ci_u32_e64 v5, null, s5, v5, vcc_lo
	v_add_co_u32 v4, vcc_lo, v4, v2
	s_wait_alu 0xfffd
	s_delay_alu instid0(VALU_DEP_2)
	v_add_co_ci_u32_e64 v5, null, 0, v5, vcc_lo
	global_load_b128 v[4:7], v[4:5], off
	s_wait_loadcnt 0x0
	v_fma_mixlo_f16 v5, s14, v5, 0
	v_fma_mixlo_f16 v4, s14, v4, 0
	;; [unrolled: 1-line block ×4, first 2 shown]
	s_delay_alu instid0(VALU_DEP_4) | instskip(NEXT) | instid1(VALU_DEP_4)
	v_lshlrev_b32_e32 v5, 16, v5
	v_and_b32_e32 v4, 0xffff, v4
	s_delay_alu instid0(VALU_DEP_4) | instskip(NEXT) | instid1(VALU_DEP_4)
	v_and_b32_e32 v6, 0xffff, v6
	v_lshlrev_b32_e32 v7, 16, v7
	s_delay_alu instid0(VALU_DEP_3) | instskip(NEXT) | instid1(VALU_DEP_2)
	v_or_b32_e32 v5, v5, v4
	v_or3_b32 v4, v7, v6, 0
	s_delay_alu instid0(VALU_DEP_2)
	v_or3_b32 v3, 0, 0, v5
	ds_store_b64 v8, v[3:4]
.LBB37_6:
	s_or_b32 exec_lo, exec_lo, s31
	v_or_b32_e32 v77, 3, v1
	s_and_saveexec_b32 s31, s2
	s_cbranch_execz .LBB37_8
; %bb.7:
	s_delay_alu instid0(VALU_DEP_1)
	v_lshrrev_b32_e32 v3, 1, v77
	s_lshl_b64 s[6:7], s[6:7], 2
	v_mad_u32_u24 v6, 0xc0, v77, v81
	s_wait_alu 0xfffe
	s_add_nc_u64 s[4:5], s[4:5], s[6:7]
	v_add_nc_u32_e32 v3, s15, v3
	s_delay_alu instid0(VALU_DEP_1) | instskip(NEXT) | instid1(VALU_DEP_1)
	v_mul_hi_u32 v4, v3, s24
	v_add_nc_u32_e32 v4, v3, v4
	s_delay_alu instid0(VALU_DEP_1) | instskip(NEXT) | instid1(VALU_DEP_1)
	v_lshrrev_b32_e32 v4, s25, v4
	v_mul_lo_u32 v4, v4, s26
	s_delay_alu instid0(VALU_DEP_1) | instskip(NEXT) | instid1(VALU_DEP_1)
	v_sub_nc_u32_e32 v5, v3, v4
	v_mad_co_u64_u32 v[3:4], null, s8, v5, 0
	s_delay_alu instid0(VALU_DEP_1) | instskip(NEXT) | instid1(VALU_DEP_1)
	v_mad_co_u64_u32 v[4:5], null, s9, v5, v[4:5]
	v_lshlrev_b64_e32 v[3:4], 2, v[3:4]
	s_wait_alu 0xfffe
	s_delay_alu instid0(VALU_DEP_1) | instskip(SKIP_1) | instid1(VALU_DEP_2)
	v_add_co_u32 v3, vcc_lo, s4, v3
	s_wait_alu 0xfffd
	v_add_co_ci_u32_e64 v4, null, s5, v4, vcc_lo
	s_delay_alu instid0(VALU_DEP_2) | instskip(SKIP_1) | instid1(VALU_DEP_2)
	v_add_co_u32 v2, vcc_lo, v3, v2
	s_wait_alu 0xfffd
	v_add_co_ci_u32_e64 v3, null, 0, v4, vcc_lo
	global_load_b128 v[2:5], v[2:3], off
	s_wait_loadcnt 0x0
	v_fma_mixlo_f16 v3, s14, v3, 0
	v_fma_mixlo_f16 v2, s14, v2, 0
	;; [unrolled: 1-line block ×4, first 2 shown]
	s_delay_alu instid0(VALU_DEP_4) | instskip(NEXT) | instid1(VALU_DEP_4)
	v_lshlrev_b32_e32 v3, 16, v3
	v_and_b32_e32 v2, 0xffff, v2
	s_delay_alu instid0(VALU_DEP_4) | instskip(NEXT) | instid1(VALU_DEP_4)
	v_and_b32_e32 v4, 0xffff, v4
	v_lshlrev_b32_e32 v5, 16, v5
	s_delay_alu instid0(VALU_DEP_3) | instskip(NEXT) | instid1(VALU_DEP_2)
	v_or_b32_e32 v2, v3, v2
	v_or3_b32 v3, v5, v4, 0
	s_delay_alu instid0(VALU_DEP_2)
	v_or3_b32 v2, 0, 0, v2
	ds_store_b64 v6, v[2:3]
.LBB37_8:
	s_or_b32 exec_lo, exec_lo, s31
	s_cmp_eq_u64 s[18:19], 0
	s_wait_dscnt 0x0
	s_barrier_signal -1
	s_barrier_wait -1
	global_inv scope:SCOPE_SE
	s_cbranch_scc1 .LBB37_10
; %bb.9:
	s_load_b32 s4, s[0:1], 0xd0
	s_mov_b32 s5, 0
	s_wait_kmcnt 0x0
	s_mul_i32 s4, s4, s30
	s_wait_alu 0xfffe
	s_add_co_i32 s4, s4, ttmp9
	s_wait_alu 0xfffe
	s_lshl_b64 s[4:5], s[4:5], 2
	s_wait_alu 0xfffe
	s_add_nc_u64 s[4:5], s[18:19], s[4:5]
	s_load_b32 s34, s[4:5], 0x0
.LBB37_10:
	s_and_b32 s18, ttmp7, 0xffff
	v_mbcnt_lo_u32_b32 v83, -1, 0
	s_lshl_b32 s38, s18, 5
	s_wait_kmcnt 0x0
	s_wait_alu 0xfffe
	s_cmp_lt_i32 s38, s34
	s_cbranch_scc1 .LBB37_13
; %bb.11:
	v_mbcnt_lo_u32_b32 v4, -1, 0
	v_mov_b32_e32 v85, 32
	s_delay_alu instid0(VALU_DEP_2)
	v_xor_b32_e32 v108, 16, v4
	v_xor_b32_e32 v109, 8, v4
	;; [unrolled: 1-line block ×5, first 2 shown]
	s_mov_b32 s31, 0
	s_cbranch_execz .LBB37_14
; %bb.12:
	v_dual_mov_b32 v102, 0 :: v_dual_mov_b32 v113, 0
	v_dual_mov_b32 v3, 0xfeffffff :: v_dual_mov_b32 v2, 0xfeffffff
	;; [unrolled: 1-line block ×7, first 2 shown]
	v_mov_b32_e32 v84, 0
	v_mov_b32_e32 v82, 0
	s_branch .LBB37_34
.LBB37_13:
                                        ; implicit-def: $vgpr4
                                        ; implicit-def: $vgpr85
                                        ; implicit-def: $vgpr108
                                        ; implicit-def: $vgpr109
                                        ; implicit-def: $vgpr110
                                        ; implicit-def: $vgpr111
                                        ; implicit-def: $vgpr112
	s_mov_b32 s31, 0
.LBB37_14:
	v_lshrrev_b32_e32 v3, 2, v79
	v_add_nc_u32_e32 v4, 1, v0
	s_clause 0x1
	s_load_b128 s[4:7], s[0:1], 0x98
	s_load_b64 s[8:9], s[0:1], 0x8c
	s_mul_f32 s14, s35, 0x4f7ffffe
	s_sub_co_i32 s19, 0, s29
	v_lshl_add_u32 v5, v80, 3, v3
	v_mul_hi_u32 v3, s24, v0
	v_mul_hi_u32 v6, s24, v4
	s_wait_alu 0xfffe
	s_cvt_u32_f32 s14, s14
	v_lshrrev_b32_e32 v2, 1, v79
	s_abs_i32 s42, s28
	s_mov_b32 s41, s43
	s_wait_alu 0xfffe
	s_mul_i32 s19, s19, s14
	v_dual_mov_b32 v82, 0 :: v_dual_add_nc_u32 v3, v0, v3
	v_dual_mov_b32 v85, 32 :: v_dual_add_nc_u32 v6, v4, v6
	s_mul_hi_u32 s19, s14, s19
	v_lshl_add_u32 v2, v80, 4, v2
	s_delay_alu instid0(VALU_DEP_3) | instskip(NEXT) | instid1(VALU_DEP_3)
	v_lshrrev_b32_e32 v3, s25, v3
	v_lshrrev_b32_e32 v6, s25, v6
	s_add_co_i32 s40, s14, s19
	v_dual_mov_b32 v87, 0 :: v_dual_and_b32 v10, 4, v68
	s_delay_alu instid0(VALU_DEP_3) | instskip(NEXT) | instid1(VALU_DEP_3)
	v_mul_lo_u32 v9, v3, s26
	v_mul_lo_u32 v12, v6, s26
	s_mul_u64 s[40:41], s[42:43], s[40:41]
	s_load_b64 s[44:45], s[0:1], 0xa8
	s_mul_i32 s19, s41, s29
	s_ashr_i32 s35, s28, 31
	s_ashr_i32 s33, s33, 31
	s_wait_kmcnt 0x0
	s_ashr_i32 s40, s6, 2
	s_sub_co_i32 s6, s42, s19
	s_ashr_i32 s14, s3, 1
	s_xor_b32 s3, s35, s33
	s_add_co_i32 s33, s41, 1
	s_ashr_i32 s42, s8, 2
	s_sub_co_i32 s8, s6, s29
	v_mul_u32_u24_e32 v7, 0x70, v2
	v_dual_mov_b32 v89, 0 :: v_dual_lshlrev_b32 v8, 2, v10
	v_dual_mov_b32 v84, 0 :: v_dual_and_b32 v11, 12, v68
	v_sub_nc_u32_e32 v0, v0, v9
	v_sub_nc_u32_e32 v4, v4, v12
	v_lshrrev_b32_e32 v9, 3, v79
	s_cmp_ge_u32 s6, s29
	v_add3_u32 v91, v7, v8, 0x1840
	s_cselect_b32 s19, s33, s41
	s_wait_alu 0xfffe
	s_cselect_b32 s6, s8, s6
	s_add_co_i32 s8, s19, 1
	v_mul_u32_u24_e32 v7, 0x70, v5
	v_mul_lo_u32 v6, s42, v5
	v_dual_mov_b32 v103, 0 :: v_dual_lshlrev_b32 v8, 2, v11
	v_mul_lo_u32 v95, v4, s14
	v_mul_u32_u24_e32 v4, 0xc0, v5
	v_dual_mov_b32 v86, 0 :: v_dual_add_nc_u32 v1, v9, v1
	s_cmp_ge_u32 s6, s29
	v_dual_mov_b32 v92, 0 :: v_dual_and_b32 v97, 28, v68
	s_wait_alu 0xfffe
	s_cselect_b32 s6, s8, s19
	v_cmp_gt_u32_e32 vcc_lo, 32, v2
	s_xor_b32 s6, s6, s3
	v_mul_lo_u32 v2, s42, v2
	v_add3_u32 v93, v7, v8, 0x1800
	v_mul_lo_u32 v94, v0, s14
	v_mul_lo_u32 v0, s40, v5
	v_or_b32_e32 v4, v4, v8
	v_mul_lo_u32 v8, s40, v1
	s_sub_co_i32 s3, s6, s3
	v_ashrrev_i32_e32 v7, 31, v6
	v_mul_u32_u24_e32 v9, 0xc0, v1
	v_lshlrev_b32_e32 v12, 2, v97
	s_mul_u64 s[4:5], s[4:5], s[30:31]
	s_wait_alu 0xfffe
	s_mul_i32 s6, s3, s9
	s_mul_u64 s[44:45], s[44:45], s[30:31]
	s_add_nc_u64 s[4:5], s[10:11], s[4:5]
	s_mul_i32 s8, s3, s7
	s_ashr_i32 s7, s6, 31
	s_add_nc_u64 s[10:11], s[12:13], s[44:45]
	s_wait_alu 0xfffe
	s_add_nc_u64 s[44:45], s[4:5], s[6:7]
	v_ashrrev_i32_e32 v3, 31, v2
	v_cmp_gt_u32_e64 s5, 16, v1
	v_ashrrev_i32_e32 v1, 31, v0
	v_lshlrev_b64_e32 v[71:72], 2, v[6:7]
	v_mov_b32_e32 v7, 0xfeffffff
	v_add3_u32 v99, v9, v12, 0x1800
	v_ashrrev_i32_e32 v9, 31, v8
	v_lshlrev_b64_e32 v[69:70], 2, v[2:3]
	v_lshlrev_b64_e32 v[73:74], 2, v[0:1]
	v_cmp_gt_u32_e64 s3, 32, v5
	v_mul_u32_u24_e32 v88, 0x70, v79
	v_lshlrev_b64_e32 v[75:76], 2, v[8:9]
	v_mul_u32_u24_e32 v90, 0x300, v80
	v_lshl_add_u32 v96, v80, 8, 0x2680
	v_cmp_gt_u32_e64 s4, 16, v5
	v_dual_mov_b32 v107, 0 :: v_dual_add_nc_u32 v98, 0x1880, v4
	v_dual_mov_b32 v5, 0xfeffffff :: v_dual_lshlrev_b32 v100, 2, v10
	v_mov_b32_e32 v105, 0
	v_dual_mov_b32 v102, 0 :: v_dual_lshlrev_b32 v101, 2, v11
	v_mov_b32_e32 v6, 0xfeffffff
	v_mov_b32_e32 v4, 0xfeffffff
	;; [unrolled: 1-line block ×4, first 2 shown]
	s_ashr_i32 s9, s8, 31
	s_ashr_i32 s43, s42, 31
	s_wait_alu 0xfffe
	s_add_nc_u64 s[46:47], s[10:11], s[8:9]
	s_ashr_i32 s41, s40, 31
	s_add_nc_u64 s[24:25], s[0:1], 0xd0
.LBB37_15:                              ; =>This Inner Loop Header: Depth=1
	s_ashr_i32 s39, s38, 31
	s_wait_alu 0xfffe
	s_mul_u64 s[6:7], s[38:39], s[42:43]
	s_wait_alu 0xfffe
	s_lshl_b64 s[6:7], s[6:7], 2
	s_wait_alu 0xfffe
	s_add_nc_u64 s[8:9], s[44:45], s[6:7]
	s_and_saveexec_b32 s7, vcc_lo
	s_cbranch_execz .LBB37_17
; %bb.16:                               ;   in Loop: Header=BB37_15 Depth=1
	s_wait_alu 0xfffe
	v_add_co_u32 v0, s6, s8, v69
	s_wait_alu 0xf1ff
	v_add_co_ci_u32_e64 v1, null, s9, v70, s6
	s_delay_alu instid0(VALU_DEP_2) | instskip(SKIP_1) | instid1(VALU_DEP_2)
	v_add_co_u32 v0, s6, v0, v100
	s_wait_alu 0xf1ff
	v_add_co_ci_u32_e64 v1, null, 0, v1, s6
	global_load_b128 v[0:3], v[0:1], off offset:64
	s_wait_loadcnt 0x0
	ds_store_b128 v91, v[0:3]
.LBB37_17:                              ;   in Loop: Header=BB37_15 Depth=1
	s_wait_alu 0xfffe
	s_or_b32 exec_lo, exec_lo, s7
	s_and_saveexec_b32 s7, s3
	s_cbranch_execz .LBB37_19
; %bb.18:                               ;   in Loop: Header=BB37_15 Depth=1
	v_add_co_u32 v0, s6, s8, v71
	s_wait_alu 0xf1ff
	v_add_co_ci_u32_e64 v1, null, s9, v72, s6
	s_delay_alu instid0(VALU_DEP_2) | instskip(SKIP_1) | instid1(VALU_DEP_2)
	v_add_co_u32 v0, s6, v0, v101
	s_wait_alu 0xf1ff
	v_add_co_ci_u32_e64 v1, null, 0, v1, s6
	global_load_b128 v[0:3], v[0:1], off
	s_wait_loadcnt 0x0
	ds_store_b128 v93, v[0:3]
.LBB37_19:                              ;   in Loop: Header=BB37_15 Depth=1
	s_wait_alu 0xfffe
	s_or_b32 exec_lo, exec_lo, s7
	s_wait_loadcnt_dscnt 0x0
	s_barrier_signal -1
	s_barrier_wait -1
	global_inv scope:SCOPE_SE
	ds_load_b128 v[8:11], v88 offset:6144
	ds_load_b128 v[12:15], v90
	ds_load_b128 v[16:19], v90 offset:192
	ds_load_b128 v[20:23], v90 offset:384
	;; [unrolled: 1-line block ×3, first 2 shown]
	v_dual_mov_b32 v0, 0 :: v_dual_mov_b32 v1, 0
	v_dual_mov_b32 v2, 0 :: v_dual_mov_b32 v3, 0
	s_wait_dscnt 0x3
	;;#ASMSTART
	v_dot2_f32_f16 v0, v8, v12, v0
	;;#ASMEND
	;;#ASMSTART
	v_dot2_f32_f16 v0, v9, v13, v0
	;;#ASMEND
	;;#ASMSTART
	v_dot2_f32_f16 v0, v10, v14, v0
	;;#ASMEND
	;;#ASMSTART
	v_dot2_f32_f16 v0, v11, v15, v0
	;;#ASMEND
	s_wait_dscnt 0x2
	;;#ASMSTART
	v_dot2_f32_f16 v1, v8, v16, v1
	;;#ASMEND
	;;#ASMSTART
	v_dot2_f32_f16 v1, v9, v17, v1
	;;#ASMEND
	;;#ASMSTART
	v_dot2_f32_f16 v1, v10, v18, v1
	;;#ASMEND
	;;#ASMSTART
	v_dot2_f32_f16 v1, v11, v19, v1
	;;#ASMEND
	s_wait_dscnt 0x1
	;;#ASMSTART
	v_dot2_f32_f16 v2, v8, v20, v2
	;;#ASMEND
	;;#ASMSTART
	v_dot2_f32_f16 v2, v9, v21, v2
	;;#ASMEND
	;;#ASMSTART
	v_dot2_f32_f16 v2, v10, v22, v2
	;;#ASMEND
	;;#ASMSTART
	v_dot2_f32_f16 v2, v11, v23, v2
	;;#ASMEND
	s_wait_dscnt 0x0
	;;#ASMSTART
	v_dot2_f32_f16 v3, v8, v24, v3
	;;#ASMEND
	;;#ASMSTART
	v_dot2_f32_f16 v3, v9, v25, v3
	;;#ASMEND
	;;#ASMSTART
	v_dot2_f32_f16 v3, v10, v26, v3
	;;#ASMEND
	;;#ASMSTART
	v_dot2_f32_f16 v3, v11, v27, v3
	;;#ASMEND
	ds_load_b128 v[8:11], v88 offset:6160
	ds_load_b128 v[12:15], v90 offset:16
	ds_load_b128 v[16:19], v90 offset:208
	ds_load_b128 v[20:23], v90 offset:400
	ds_load_b128 v[24:27], v90 offset:592
	s_wait_dscnt 0x3
	;;#ASMSTART
	v_dot2_f32_f16 v0, v8, v12, v0
	;;#ASMEND
	;;#ASMSTART
	v_dot2_f32_f16 v0, v9, v13, v0
	;;#ASMEND
	;;#ASMSTART
	v_dot2_f32_f16 v0, v10, v14, v0
	;;#ASMEND
	;;#ASMSTART
	v_dot2_f32_f16 v0, v11, v15, v0
	;;#ASMEND
	s_wait_dscnt 0x2
	;;#ASMSTART
	v_dot2_f32_f16 v1, v8, v16, v1
	;;#ASMEND
	;;#ASMSTART
	v_dot2_f32_f16 v1, v9, v17, v1
	;;#ASMEND
	;;#ASMSTART
	v_dot2_f32_f16 v1, v10, v18, v1
	;;#ASMEND
	;;#ASMSTART
	v_dot2_f32_f16 v1, v11, v19, v1
	;;#ASMEND
	s_wait_dscnt 0x1
	;;#ASMSTART
	v_dot2_f32_f16 v2, v8, v20, v2
	;;#ASMEND
	;;#ASMSTART
	v_dot2_f32_f16 v2, v9, v21, v2
	;;#ASMEND
	;;#ASMSTART
	v_dot2_f32_f16 v2, v10, v22, v2
	;;#ASMEND
	;;#ASMSTART
	v_dot2_f32_f16 v2, v11, v23, v2
	;;#ASMEND
	s_wait_dscnt 0x0
	;;#ASMSTART
	v_dot2_f32_f16 v3, v8, v24, v3
	;;#ASMEND
	;;#ASMSTART
	v_dot2_f32_f16 v3, v9, v25, v3
	;;#ASMEND
	;;#ASMSTART
	v_dot2_f32_f16 v3, v10, v26, v3
	;;#ASMEND
	;;#ASMSTART
	v_dot2_f32_f16 v3, v11, v27, v3
	;;#ASMEND
	ds_load_b128 v[8:11], v88 offset:6176
	ds_load_b128 v[12:15], v90 offset:32
	ds_load_b128 v[16:19], v90 offset:224
	ds_load_b128 v[20:23], v90 offset:416
	ds_load_b128 v[24:27], v90 offset:608
	;; [unrolled: 57-line block ×5, first 2 shown]
	s_wait_dscnt 0x3
	;;#ASMSTART
	v_dot2_f32_f16 v0, v8, v12, v0
	;;#ASMEND
	;;#ASMSTART
	v_dot2_f32_f16 v0, v9, v13, v0
	;;#ASMEND
	;;#ASMSTART
	v_dot2_f32_f16 v0, v10, v14, v0
	;;#ASMEND
	;;#ASMSTART
	v_dot2_f32_f16 v0, v11, v15, v0
	;;#ASMEND
	s_wait_dscnt 0x2
	;;#ASMSTART
	v_dot2_f32_f16 v1, v8, v16, v1
	;;#ASMEND
	;;#ASMSTART
	v_dot2_f32_f16 v1, v9, v17, v1
	;;#ASMEND
	;;#ASMSTART
	v_dot2_f32_f16 v1, v10, v18, v1
	;;#ASMEND
	;;#ASMSTART
	v_dot2_f32_f16 v1, v11, v19, v1
	;;#ASMEND
	;; [unrolled: 13-line block ×4, first 2 shown]
	s_wait_loadcnt 0x0
	s_barrier_signal -1
	s_barrier_wait -1
	global_inv scope:SCOPE_SE
	s_and_saveexec_b32 s7, vcc_lo
	s_cbranch_execz .LBB37_21
; %bb.20:                               ;   in Loop: Header=BB37_15 Depth=1
	v_add_co_u32 v8, s6, s8, v69
	s_wait_alu 0xf1ff
	v_add_co_ci_u32_e64 v9, null, s9, v70, s6
	s_delay_alu instid0(VALU_DEP_2) | instskip(SKIP_1) | instid1(VALU_DEP_2)
	v_add_co_u32 v8, s6, v8, v100
	s_wait_alu 0xf1ff
	v_add_co_ci_u32_e64 v9, null, 0, v9, s6
	global_load_b128 v[8:11], v[8:9], off offset:160
	s_wait_loadcnt 0x0
	ds_store_b128 v91, v[8:11]
.LBB37_21:                              ;   in Loop: Header=BB37_15 Depth=1
	s_wait_alu 0xfffe
	s_or_b32 exec_lo, exec_lo, s7
	s_and_saveexec_b32 s7, s3
	s_cbranch_execz .LBB37_23
; %bb.22:                               ;   in Loop: Header=BB37_15 Depth=1
	v_add_co_u32 v8, s6, s8, v71
	s_wait_alu 0xf1ff
	v_add_co_ci_u32_e64 v9, null, s9, v72, s6
	s_delay_alu instid0(VALU_DEP_2) | instskip(SKIP_1) | instid1(VALU_DEP_2)
	v_add_co_u32 v8, s6, v8, v101
	s_wait_alu 0xf1ff
	v_add_co_ci_u32_e64 v9, null, 0, v9, s6
	global_load_b128 v[8:11], v[8:9], off offset:96
	s_wait_loadcnt 0x0
	ds_store_b128 v93, v[8:11]
.LBB37_23:                              ;   in Loop: Header=BB37_15 Depth=1
	s_wait_alu 0xfffe
	s_or_b32 exec_lo, exec_lo, s7
	s_wait_loadcnt_dscnt 0x0
	s_barrier_signal -1
	s_barrier_wait -1
	global_inv scope:SCOPE_SE
	ds_load_b128 v[8:11], v88 offset:6144
	ds_load_b128 v[12:15], v90 offset:96
	;; [unrolled: 1-line block ×5, first 2 shown]
	v_add_nc_u32_e32 v29, s38, v79
	v_xor_b32_e32 v108, 16, v83
	v_xor_b32_e32 v109, 8, v83
	;; [unrolled: 1-line block ×5, first 2 shown]
	s_mul_u64 s[48:49], s[38:39], s[40:41]
	s_wait_dscnt 0x3
	;;#ASMSTART
	v_dot2_f32_f16 v0, v8, v12, v0
	;;#ASMEND
	;;#ASMSTART
	v_dot2_f32_f16 v0, v9, v13, v0
	;;#ASMEND
	;;#ASMSTART
	v_dot2_f32_f16 v0, v10, v14, v0
	;;#ASMEND
	;;#ASMSTART
	v_dot2_f32_f16 v0, v11, v15, v0
	;;#ASMEND
	s_wait_dscnt 0x2
	;;#ASMSTART
	v_dot2_f32_f16 v1, v8, v16, v1
	;;#ASMEND
	;;#ASMSTART
	v_dot2_f32_f16 v1, v9, v17, v1
	;;#ASMEND
	;;#ASMSTART
	v_dot2_f32_f16 v1, v10, v18, v1
	;;#ASMEND
	;;#ASMSTART
	v_dot2_f32_f16 v1, v11, v19, v1
	;;#ASMEND
	;; [unrolled: 13-line block ×4, first 2 shown]
	ds_load_b128 v[8:11], v88 offset:6160
	ds_load_b128 v[12:15], v90 offset:112
	;; [unrolled: 1-line block ×5, first 2 shown]
	s_wait_alu 0xfffe
	s_lshl_b64 s[48:49], s[48:49], 2
	s_wait_dscnt 0x3
	;;#ASMSTART
	v_dot2_f32_f16 v0, v8, v12, v0
	;;#ASMEND
	;;#ASMSTART
	v_dot2_f32_f16 v0, v9, v13, v0
	;;#ASMEND
	;;#ASMSTART
	v_dot2_f32_f16 v0, v10, v14, v0
	;;#ASMEND
	;;#ASMSTART
	v_dot2_f32_f16 v0, v11, v15, v0
	;;#ASMEND
	s_wait_dscnt 0x2
	;;#ASMSTART
	v_dot2_f32_f16 v1, v8, v16, v1
	;;#ASMEND
	;;#ASMSTART
	v_dot2_f32_f16 v1, v9, v17, v1
	;;#ASMEND
	;;#ASMSTART
	v_dot2_f32_f16 v1, v10, v18, v1
	;;#ASMEND
	;;#ASMSTART
	v_dot2_f32_f16 v1, v11, v19, v1
	;;#ASMEND
	;; [unrolled: 13-line block ×4, first 2 shown]
	ds_load_b128 v[8:11], v88 offset:6176
	ds_load_b128 v[12:15], v90 offset:128
	;; [unrolled: 1-line block ×5, first 2 shown]
	s_wait_alu 0xfffe
	s_add_nc_u64 s[48:49], s[46:47], s[48:49]
	s_wait_dscnt 0x3
	;;#ASMSTART
	v_dot2_f32_f16 v0, v8, v12, v0
	;;#ASMEND
	;;#ASMSTART
	v_dot2_f32_f16 v0, v9, v13, v0
	;;#ASMEND
	;;#ASMSTART
	v_dot2_f32_f16 v0, v10, v14, v0
	;;#ASMEND
	;;#ASMSTART
	v_dot2_f32_f16 v0, v11, v15, v0
	;;#ASMEND
	s_wait_dscnt 0x2
	;;#ASMSTART
	v_dot2_f32_f16 v1, v8, v16, v1
	;;#ASMEND
	;;#ASMSTART
	v_dot2_f32_f16 v1, v9, v17, v1
	;;#ASMEND
	;;#ASMSTART
	v_dot2_f32_f16 v1, v10, v18, v1
	;;#ASMEND
	;;#ASMSTART
	v_dot2_f32_f16 v1, v11, v19, v1
	;;#ASMEND
	s_wait_dscnt 0x1
	;;#ASMSTART
	v_dot2_f32_f16 v2, v8, v20, v2
	;;#ASMEND
	;;#ASMSTART
	v_dot2_f32_f16 v2, v9, v21, v2
	;;#ASMEND
	;;#ASMSTART
	v_dot2_f32_f16 v2, v10, v22, v2
	;;#ASMEND
	;;#ASMSTART
	v_dot2_f32_f16 v2, v11, v23, v2
	;;#ASMEND
	s_wait_dscnt 0x0
	;;#ASMSTART
	v_dot2_f32_f16 v3, v8, v24, v3
	;;#ASMEND
	;;#ASMSTART
	v_dot2_f32_f16 v3, v9, v25, v3
	;;#ASMEND
	;;#ASMSTART
	v_dot2_f32_f16 v3, v10, v26, v3
	;;#ASMEND
	;;#ASMSTART
	v_dot2_f32_f16 v3, v11, v27, v3
	;;#ASMEND
	ds_load_b128 v[8:11], v88 offset:6192
	ds_load_b128 v[12:15], v90 offset:144
	ds_load_b128 v[16:19], v90 offset:336
	ds_load_b128 v[20:23], v90 offset:528
	ds_load_b128 v[24:27], v90 offset:720
	s_wait_dscnt 0x3
	;;#ASMSTART
	v_dot2_f32_f16 v0, v8, v12, v0
	;;#ASMEND
	;;#ASMSTART
	v_dot2_f32_f16 v0, v9, v13, v0
	;;#ASMEND
	;;#ASMSTART
	v_dot2_f32_f16 v0, v10, v14, v0
	;;#ASMEND
	;;#ASMSTART
	v_dot2_f32_f16 v0, v11, v15, v0
	;;#ASMEND
	s_wait_dscnt 0x2
	;;#ASMSTART
	v_dot2_f32_f16 v1, v8, v16, v1
	;;#ASMEND
	;;#ASMSTART
	v_dot2_f32_f16 v1, v9, v17, v1
	;;#ASMEND
	;;#ASMSTART
	v_dot2_f32_f16 v1, v10, v18, v1
	;;#ASMEND
	;;#ASMSTART
	v_dot2_f32_f16 v1, v11, v19, v1
	;;#ASMEND
	s_wait_dscnt 0x1
	;;#ASMSTART
	v_dot2_f32_f16 v2, v8, v20, v2
	;;#ASMEND
	;;#ASMSTART
	v_dot2_f32_f16 v2, v9, v21, v2
	;;#ASMEND
	;;#ASMSTART
	v_dot2_f32_f16 v2, v10, v22, v2
	;;#ASMEND
	;;#ASMSTART
	v_dot2_f32_f16 v2, v11, v23, v2
	;;#ASMEND
	s_wait_dscnt 0x0
	;;#ASMSTART
	v_dot2_f32_f16 v3, v8, v24, v3
	;;#ASMEND
	;;#ASMSTART
	v_dot2_f32_f16 v3, v9, v25, v3
	;;#ASMEND
	;;#ASMSTART
	v_dot2_f32_f16 v3, v10, v26, v3
	;;#ASMEND
	;;#ASMSTART
	v_dot2_f32_f16 v3, v11, v27, v3
	;;#ASMEND
	ds_load_b128 v[8:11], v88 offset:6208
	ds_load_b128 v[12:15], v90 offset:160
	ds_load_b128 v[16:19], v90 offset:352
	ds_load_b128 v[20:23], v90 offset:544
	ds_load_b128 v[24:27], v90 offset:736
	;; [unrolled: 57-line block ×3, first 2 shown]
	s_wait_dscnt 0x3
	;;#ASMSTART
	v_dot2_f32_f16 v0, v8, v12, v0
	;;#ASMEND
	;;#ASMSTART
	v_dot2_f32_f16 v0, v9, v13, v0
	;;#ASMEND
	;;#ASMSTART
	v_dot2_f32_f16 v0, v10, v14, v0
	;;#ASMEND
	;;#ASMSTART
	v_dot2_f32_f16 v0, v11, v15, v0
	;;#ASMEND
	s_wait_dscnt 0x2
	;;#ASMSTART
	v_dot2_f32_f16 v1, v8, v16, v1
	;;#ASMEND
	;;#ASMSTART
	v_dot2_f32_f16 v1, v9, v17, v1
	;;#ASMEND
	;;#ASMSTART
	v_dot2_f32_f16 v1, v10, v18, v1
	;;#ASMEND
	;;#ASMSTART
	v_dot2_f32_f16 v1, v11, v19, v1
	;;#ASMEND
	;; [unrolled: 13-line block ×3, first 2 shown]
	s_wait_dscnt 0x0
	;;#ASMSTART
	v_dot2_f32_f16 v3, v8, v24, v3
	;;#ASMEND
	;;#ASMSTART
	v_dot2_f32_f16 v3, v9, v25, v3
	;;#ASMEND
	;; [unrolled: 3-line block ×3, first 2 shown]
	v_max_num_f32_e32 v10, v5, v5
	v_add_nc_u32_e32 v28, v29, v94
	v_dual_max_num_f32 v13, v4, v4 :: v_dual_add_nc_u32 v30, v29, v95
	;;#ASMSTART
	v_dot2_f32_f16 v3, v11, v27, v3
	;;#ASMEND
	v_max_num_f32_e32 v11, v7, v7
	s_delay_alu instid0(VALU_DEP_3) | instskip(NEXT) | instid1(VALU_DEP_3)
	v_ashrrev_i32_e32 v29, 31, v28
	v_ashrrev_i32_e32 v31, 31, v30
	s_delay_alu instid0(VALU_DEP_2) | instskip(NEXT) | instid1(VALU_DEP_2)
	v_lshlrev_b64_e32 v[28:29], 1, v[28:29]
	v_lshlrev_b64_e32 v[30:31], 1, v[30:31]
	s_delay_alu instid0(VALU_DEP_2) | instskip(SKIP_1) | instid1(VALU_DEP_3)
	v_add_co_u32 v28, s6, s36, v28
	s_wait_alu 0xf1ff
	v_add_co_ci_u32_e64 v29, null, s37, v29, s6
	s_delay_alu instid0(VALU_DEP_3)
	v_add_co_u32 v30, s6, s36, v30
	s_wait_alu 0xf1ff
	v_add_co_ci_u32_e64 v31, null, s37, v31, s6
	s_clause 0x1
	global_load_u16 v8, v[28:29], off
	global_load_u16 v9, v[30:31], off
	v_cmp_gt_i32_e64 s6, 32, v108
	s_wait_loadcnt 0x0
	s_barrier_signal -1
	s_barrier_wait -1
	global_inv scope:SCOPE_SE
	v_cvt_f32_f16_e32 v8, v8
	v_cvt_f32_f16_e32 v9, v9
	v_max_num_f32_e32 v12, v6, v6
	s_delay_alu instid0(VALU_DEP_2) | instskip(SKIP_3) | instid1(VALU_DEP_3)
	v_dual_add_f32 v14, v0, v8 :: v_dual_add_f32 v15, v2, v9
	s_wait_alu 0xf1ff
	v_cndmask_b32_e64 v0, v83, v108, s6
	v_dual_add_f32 v9, v3, v9 :: v_dual_add_f32 v8, v1, v8
	v_add_f32_e32 v1, 0x40051340, v14
	s_delay_alu instid0(VALU_DEP_3) | instskip(NEXT) | instid1(VALU_DEP_3)
	v_dual_add_f32 v3, 0x40051340, v15 :: v_dual_lshlrev_b32 v0, 2, v0
	v_add_f32_e32 v16, 0x40051340, v9
	s_delay_alu instid0(VALU_DEP_3) | instskip(NEXT) | instid1(VALU_DEP_3)
	v_dual_add_f32 v2, 0x40051340, v8 :: v_dual_max_num_f32 v1, v10, v1
	v_max_num_f32_e32 v3, v12, v3
	v_cmp_gt_i32_e64 s6, 32, v109
	s_delay_alu instid0(VALU_DEP_4)
	v_max_num_f32_e32 v10, v13, v16
	ds_bpermute_b32 v13, v0, v3
	v_max_num_f32_e32 v2, v11, v2
	ds_bpermute_b32 v11, v0, v1
	s_wait_alu 0xf1ff
	v_cndmask_b32_e64 v16, v83, v109, s6
	v_cmp_gt_i32_e64 s6, 32, v110
	s_wait_dscnt 0x1
	v_max_num_f32_e32 v13, v13, v13
	ds_bpermute_b32 v12, v0, v2
	s_wait_dscnt 0x1
	v_max_num_f32_e32 v11, v11, v11
	ds_bpermute_b32 v0, v0, v10
	v_dual_max_num_f32 v3, v3, v13 :: v_dual_lshlrev_b32 v16, 2, v16
	s_wait_dscnt 0x1
	v_dual_max_num_f32 v1, v1, v11 :: v_dual_max_num_f32 v12, v12, v12
	s_delay_alu instid0(VALU_DEP_1)
	v_max_num_f32_e32 v2, v2, v12
	ds_bpermute_b32 v12, v16, v3
	ds_bpermute_b32 v11, v16, v2
	s_wait_dscnt 0x2
	v_max_num_f32_e32 v0, v0, v0
	s_wait_dscnt 0x0
	v_dual_max_num_f32 v12, v12, v12 :: v_dual_max_num_f32 v11, v11, v11
	s_delay_alu instid0(VALU_DEP_2) | instskip(SKIP_3) | instid1(VALU_DEP_1)
	v_max_num_f32_e32 v0, v10, v0
	ds_bpermute_b32 v10, v16, v1
	s_wait_dscnt 0x0
	v_dual_max_num_f32 v3, v3, v12 :: v_dual_max_num_f32 v10, v10, v10
	v_max_num_f32_e32 v1, v1, v10
	ds_bpermute_b32 v13, v16, v0
	s_wait_alu 0xf1ff
	v_cndmask_b32_e64 v16, v83, v110, s6
	v_cmp_gt_i32_e64 s6, 32, v111
	s_wait_dscnt 0x0
	s_delay_alu instid0(VALU_DEP_2)
	v_dual_max_num_f32 v13, v13, v13 :: v_dual_lshlrev_b32 v16, 2, v16
	v_max_num_f32_e32 v2, v2, v11
	ds_bpermute_b32 v11, v16, v2
	s_wait_dscnt 0x0
	v_max_num_f32_e32 v11, v11, v11
	ds_bpermute_b32 v10, v16, v1
	ds_bpermute_b32 v12, v16, v3
	s_wait_dscnt 0x1
	v_max_num_f32_e32 v10, v10, v10
	s_wait_dscnt 0x0
	s_delay_alu instid0(VALU_DEP_1) | instskip(NEXT) | instid1(VALU_DEP_1)
	v_dual_max_num_f32 v1, v1, v10 :: v_dual_max_num_f32 v12, v12, v12
	v_dual_max_num_f32 v0, v0, v13 :: v_dual_max_num_f32 v3, v3, v12
	ds_bpermute_b32 v13, v16, v0
	s_wait_alu 0xf1ff
	v_cndmask_b32_e64 v16, v83, v111, s6
	v_cmp_gt_i32_e64 s6, 32, v112
	s_wait_dscnt 0x0
	s_delay_alu instid0(VALU_DEP_2) | instskip(NEXT) | instid1(VALU_DEP_1)
	v_dual_max_num_f32 v13, v13, v13 :: v_dual_lshlrev_b32 v16, 2, v16
	v_max_num_f32_e32 v0, v0, v13
	ds_bpermute_b32 v13, v16, v0
	s_wait_dscnt 0x0
	v_max_num_f32_e32 v13, v13, v13
	ds_bpermute_b32 v12, v16, v3
	ds_bpermute_b32 v10, v16, v1
	s_wait_dscnt 0x1
	v_max_num_f32_e32 v12, v12, v12
	v_max_num_f32_e32 v2, v2, v11
	s_wait_dscnt 0x0
	s_delay_alu instid0(VALU_DEP_2)
	v_dual_max_num_f32 v10, v10, v10 :: v_dual_max_num_f32 v3, v3, v12
	ds_bpermute_b32 v11, v16, v2
	s_wait_alu 0xf1ff
	v_cndmask_b32_e64 v16, v83, v112, s6
	v_max_num_f32_e32 v1, v1, v10
	s_wait_dscnt 0x0
	v_max_num_f32_e32 v11, v11, v11
	s_delay_alu instid0(VALU_DEP_1)
	v_max_num_f32_e32 v2, v2, v11
	v_lshlrev_b32_e32 v16, 2, v16
	ds_bpermute_b32 v11, v16, v2
	s_wait_dscnt 0x0
	v_dual_max_num_f32 v11, v11, v11 :: v_dual_max_num_f32 v10, v0, v13
	ds_bpermute_b32 v0, v16, v1
	s_wait_dscnt 0x0
	v_max_num_f32_e32 v0, v0, v0
	s_delay_alu instid0(VALU_DEP_1) | instskip(NEXT) | instid1(VALU_DEP_1)
	v_max_num_f32_e32 v0, v1, v0
	v_sub_f32_e32 v121, v5, v0
	v_max_num_f32_e32 v1, v2, v11
	ds_bpermute_b32 v12, v16, v3
	v_cmp_ngt_f32_e64 s6, 0xc2ce8ed0, v121
	v_sub_f32_e32 v122, v7, v1
	v_sub_f32_e32 v7, v8, v1
	;; [unrolled: 1-line block ×3, first 2 shown]
	ds_bpermute_b32 v13, v16, v10
	v_cmp_nlt_f32_e64 s7, 0x42b17218, v121
	v_cmp_ngt_f32_e64 s9, 0xc2ce8ed0, v5
	s_wait_dscnt 0x1
	v_max_num_f32_e32 v12, v12, v12
	s_wait_dscnt 0x0
	s_delay_alu instid0(VALU_DEP_1) | instskip(NEXT) | instid1(VALU_DEP_1)
	v_dual_max_num_f32 v2, v3, v12 :: v_dual_max_num_f32 v13, v13, v13
	v_max_num_f32_e32 v3, v10, v13
	s_delay_alu instid0(VALU_DEP_1) | instskip(NEXT) | instid1(VALU_DEP_3)
	v_dual_sub_f32 v9, v9, v3 :: v_dual_add_nc_u32 v16, v96, v81
	v_dual_sub_f32 v123, v4, v3 :: v_dual_sub_f32 v120, v6, v2
	v_mul_f32_e32 v6, 0x3fb8aa3b, v7
	s_delay_alu instid0(VALU_DEP_3) | instskip(NEXT) | instid1(VALU_DEP_3)
	v_mul_f32_e32 v12, 0x3fb8aa3b, v9
	v_cmp_ngt_f32_e64 s13, 0xc2ce8ed0, v123
	s_delay_alu instid0(VALU_DEP_4) | instskip(NEXT) | instid1(VALU_DEP_4)
	v_cmp_ngt_f32_e64 s11, 0xc2ce8ed0, v120
	v_rndne_f32_e32 v17, v6
	v_cmp_nlt_f32_e64 s10, 0x42b17218, v120
	v_fma_f32 v20, 0x3fb8aa3b, v9, -v12
	v_rndne_f32_e32 v21, v12
	v_cmp_nlt_f32_e64 s12, 0x42b17218, v123
	s_delay_alu instid0(VALU_DEP_3) | instskip(NEXT) | instid1(VALU_DEP_3)
	v_fmac_f32_e32 v20, 0x32a5705f, v9
	v_sub_f32_e32 v12, v12, v21
	v_sub_f32_e32 v8, v15, v2
	v_fma_f32 v15, 0x3fb8aa3b, v7, -v6
	s_delay_alu instid0(VALU_DEP_2) | instskip(NEXT) | instid1(VALU_DEP_2)
	v_dual_sub_f32 v6, v6, v17 :: v_dual_mul_f32 v11, 0x3fb8aa3b, v8
	v_fmac_f32_e32 v15, 0x32a5705f, v7
	v_cmp_ngt_f32_e64 s8, 0xc2ce8ed0, v122
	s_delay_alu instid0(VALU_DEP_3)
	v_rndne_f32_e32 v19, v11
	v_mul_f32_e32 v10, 0x3fb8aa3b, v5
	v_fma_f32 v18, 0x3fb8aa3b, v8, -v11
	v_add_f32_e32 v6, v6, v15
	v_cvt_i32_f32_e32 v15, v21
	v_sub_f32_e32 v11, v11, v19
	v_fma_f32 v13, 0x3fb8aa3b, v5, -v10
	v_rndne_f32_e32 v14, v10
	v_fmac_f32_e32 v18, 0x32a5705f, v8
	v_exp_f32_e32 v6, v6
	s_delay_alu instid0(VALU_DEP_2) | instskip(NEXT) | instid1(VALU_DEP_1)
	v_dual_fmac_f32 v13, 0x32a5705f, v5 :: v_dual_sub_f32 v10, v10, v14
	v_add_f32_e32 v4, v10, v13
	s_delay_alu instid0(VALU_DEP_3) | instskip(SKIP_2) | instid1(VALU_DEP_4)
	v_dual_add_f32 v10, v11, v18 :: v_dual_add_f32 v11, v12, v20
	v_cvt_i32_f32_e32 v12, v14
	v_cvt_i32_f32_e32 v13, v17
	v_exp_f32_e32 v4, v4
	s_delay_alu instid0(VALU_DEP_3) | instskip(SKIP_3) | instid1(TRANS32_DEP_3)
	v_exp_f32_e32 v10, v10
	v_exp_f32_e32 v11, v11
	v_cvt_i32_f32_e32 v14, v19
	v_ldexp_f32 v6, v6, v13
	v_ldexp_f32 v4, v4, v12
	s_delay_alu instid0(TRANS32_DEP_2) | instid1(VALU_DEP_3)
	v_ldexp_f32 v10, v10, v14
	s_delay_alu instid0(TRANS32_DEP_1) | instskip(SKIP_1) | instid1(VALU_DEP_3)
	v_ldexp_f32 v11, v11, v15
	s_wait_alu 0xf1ff
	v_cndmask_b32_e64 v4, 0, v4, s9
	v_cmp_ngt_f32_e64 s9, 0xc2ce8ed0, v7
	s_wait_alu 0xf1ff
	s_delay_alu instid0(VALU_DEP_1) | instskip(SKIP_2) | instid1(VALU_DEP_1)
	v_cndmask_b32_e64 v6, 0, v6, s9
	v_cmp_ngt_f32_e64 s9, 0xc2ce8ed0, v8
	s_wait_alu 0xf1ff
	v_cndmask_b32_e64 v10, 0, v10, s9
	v_cmp_ngt_f32_e64 s9, 0xc2ce8ed0, v9
	s_wait_alu 0xf1ff
	s_delay_alu instid0(VALU_DEP_1) | instskip(SKIP_2) | instid1(VALU_DEP_1)
	v_cndmask_b32_e64 v11, 0, v11, s9
	v_cmp_nlt_f32_e64 s9, 0x42b17218, v5
	s_wait_alu 0xf1ff
	v_cndmask_b32_e64 v115, 0x7f800000, v4, s9
	v_cmp_nlt_f32_e64 s9, 0x42b17218, v8
	s_delay_alu instid0(VALU_DEP_2) | instskip(SKIP_1) | instid1(VALU_DEP_2)
	v_cvt_f16_f32_e32 v4, v115
	s_wait_alu 0xf1ff
	v_cndmask_b32_e64 v114, 0x7f800000, v10, s9
	v_cmp_nlt_f32_e64 s9, 0x42b17218, v9
	s_delay_alu instid0(VALU_DEP_2) | instskip(SKIP_1) | instid1(VALU_DEP_2)
	v_cvt_f16_f32_e32 v5, v114
	s_wait_alu 0xf1ff
	v_cndmask_b32_e64 v113, 0x7f800000, v11, s9
	v_cmp_nlt_f32_e64 s9, 0x42b17218, v7
	s_wait_alu 0xf1ff
	s_delay_alu instid0(VALU_DEP_1) | instskip(NEXT) | instid1(VALU_DEP_3)
	v_cndmask_b32_e64 v116, 0x7f800000, v6, s9
	v_cvt_f16_f32_e32 v6, v113
	v_cmp_nlt_f32_e64 s9, 0x42b17218, v122
	s_delay_alu instid0(VALU_DEP_3) | instskip(NEXT) | instid1(VALU_DEP_3)
	v_cvt_f16_f32_e32 v7, v116
	v_pack_b32_f16 v5, v5, v6
	s_delay_alu instid0(VALU_DEP_2)
	v_pack_b32_f16 v4, v4, v7
	ds_store_b64 v16, v[4:5]
	s_and_saveexec_b32 s19, s4
	s_cbranch_execz .LBB37_25
; %bb.24:                               ;   in Loop: Header=BB37_15 Depth=1
	s_wait_alu 0xfffe
	v_add_co_u32 v4, s14, s48, v73
	s_wait_alu 0xf1ff
	v_add_co_ci_u32_e64 v5, null, s49, v74, s14
	s_delay_alu instid0(VALU_DEP_2) | instskip(SKIP_1) | instid1(VALU_DEP_2)
	v_add_co_u32 v4, s14, v4, v101
	s_wait_alu 0xf1ff
	v_add_co_ci_u32_e64 v5, null, 0, v5, s14
	global_load_b128 v[4:7], v[4:5], off offset:128
	s_wait_loadcnt 0x0
	ds_store_b128 v98, v[4:7]
.LBB37_25:                              ;   in Loop: Header=BB37_15 Depth=1
	s_or_b32 exec_lo, exec_lo, s19
	v_lshlrev_b32_e32 v124, 2, v97
	s_and_saveexec_b32 s19, s5
	s_cbranch_execz .LBB37_27
; %bb.26:                               ;   in Loop: Header=BB37_15 Depth=1
	s_wait_alu 0xfffe
	v_add_co_u32 v4, s14, s48, v75
	s_wait_alu 0xf1ff
	v_add_co_ci_u32_e64 v5, null, s49, v76, s14
	s_delay_alu instid0(VALU_DEP_2) | instskip(SKIP_1) | instid1(VALU_DEP_2)
	v_add_co_u32 v4, s14, v4, v124
	s_wait_alu 0xf1ff
	v_add_co_ci_u32_e64 v5, null, 0, v5, s14
	global_load_b128 v[4:7], v[4:5], off
	s_wait_loadcnt 0x0
	ds_store_b128 v99, v[4:7]
.LBB37_27:                              ;   in Loop: Header=BB37_15 Depth=1
	s_or_b32 exec_lo, exec_lo, s19
	v_add_nc_u32_e32 v119, 0x1800, v81
	v_add_nc_u32_e32 v118, 0x1c00, v81
	;; [unrolled: 1-line block ×3, first 2 shown]
	s_wait_loadcnt_dscnt 0x0
	s_barrier_signal -1
	s_barrier_wait -1
	global_inv scope:SCOPE_SE
	ds_load_2addr_b64 v[32:35], v119 offset1:24
	ds_load_b128 v[64:67], v96
	ds_load_b128 v[60:63], v96 offset:16
	ds_load_b128 v[56:59], v96 offset:32
	;; [unrolled: 1-line block ×3, first 2 shown]
	ds_load_2addr_b64 v[28:31], v119 offset0:48 offset1:72
	ds_load_2addr_b64 v[24:27], v119 offset0:96 offset1:120
	;; [unrolled: 1-line block ×5, first 2 shown]
	ds_load_b128 v[48:51], v96 offset:64
	ds_load_b128 v[44:47], v96 offset:80
	ds_load_2addr_b64 v[8:11], v117 offset0:32 offset1:56
	ds_load_2addr_b64 v[4:7], v117 offset0:80 offset1:104
	ds_load_b128 v[40:43], v96 offset:96
	ds_load_b128 v[36:39], v96 offset:112
	s_or_b32 s48, s38, 16
	s_wait_loadcnt_dscnt 0x0
	s_wait_alu 0xfffe
	s_ashr_i32 s49, s48, 31
	s_barrier_signal -1
	s_wait_alu 0xfffe
	s_mul_u64 s[48:49], s[48:49], s[40:41]
	s_barrier_wait -1
	s_wait_alu 0xfffe
	s_lshl_b64 s[48:49], s[48:49], 2
	global_inv scope:SCOPE_SE
	s_wait_alu 0xfffe
	s_add_nc_u64 s[48:49], s[46:47], s[48:49]
	s_and_saveexec_b32 s19, s4
	s_cbranch_execz .LBB37_29
; %bb.28:                               ;   in Loop: Header=BB37_15 Depth=1
	s_wait_alu 0xfffe
	v_add_co_u32 v125, s14, s48, v73
	s_wait_alu 0xf1ff
	v_add_co_ci_u32_e64 v126, null, s49, v74, s14
	s_delay_alu instid0(VALU_DEP_2) | instskip(SKIP_1) | instid1(VALU_DEP_2)
	v_add_co_u32 v125, s14, v125, v101
	s_wait_alu 0xf1ff
	v_add_co_ci_u32_e64 v126, null, 0, v126, s14
	global_load_b128 v[125:128], v[125:126], off offset:128
	s_wait_loadcnt 0x0
	ds_store_b128 v98, v[125:128]
.LBB37_29:                              ;   in Loop: Header=BB37_15 Depth=1
	s_or_b32 exec_lo, exec_lo, s19
	s_and_saveexec_b32 s19, s5
	s_cbranch_execz .LBB37_31
; %bb.30:                               ;   in Loop: Header=BB37_15 Depth=1
	s_wait_alu 0xfffe
	v_add_co_u32 v125, s14, s48, v75
	s_wait_alu 0xf1ff
	v_add_co_ci_u32_e64 v126, null, s49, v76, s14
	s_delay_alu instid0(VALU_DEP_2) | instskip(SKIP_1) | instid1(VALU_DEP_2)
	v_add_co_u32 v124, s14, v125, v124
	s_wait_alu 0xf1ff
	v_add_co_ci_u32_e64 v125, null, 0, v126, s14
	global_load_b128 v[124:127], v[124:125], off
	s_wait_loadcnt 0x0
	ds_store_b128 v99, v[124:127]
.LBB37_31:                              ;   in Loop: Header=BB37_15 Depth=1
	s_or_b32 exec_lo, exec_lo, s19
	v_dual_mul_f32 v124, 0x3fb8aa3b, v121 :: v_dual_mul_f32 v125, 0x3fb8aa3b, v122
	v_and_b32_e32 v134, 0xffff, v54
	v_lshrrev_b32_e32 v54, 16, v54
	v_and_b32_e32 v135, 0xffff, v55
	s_delay_alu instid0(VALU_DEP_4)
	v_fma_f32 v127, 0x3fb8aa3b, v121, -v124
	v_rndne_f32_e32 v128, v124
	v_fma_f32 v129, 0x3fb8aa3b, v122, -v125
	v_mul_f32_e32 v130, 0x3fb8aa3b, v123
	v_rndne_f32_e32 v131, v125
	v_mul_f32_e32 v126, 0x3fb8aa3b, v120
	v_lshrrev_b32_e32 v55, 16, v55
	v_mul_u32_u24_e32 v134, 0x10001, v134
	v_mul_u32_u24_e32 v54, 0x10001, v54
	v_sub_f32_e32 v125, v125, v131
	v_fmac_f32_e32 v129, 0x32a5705f, v122
	v_fma_f32 v122, 0x3fb8aa3b, v120, -v126
	v_fmac_f32_e32 v127, 0x32a5705f, v121
	v_sub_f32_e32 v121, v124, v128
	v_rndne_f32_e32 v124, v126
	v_fma_f32 v132, 0x3fb8aa3b, v123, -v130
	v_rndne_f32_e32 v133, v130
	v_fmac_f32_e32 v122, 0x32a5705f, v120
	v_mul_u32_u24_e32 v135, 0x10001, v135
	v_sub_f32_e32 v120, v126, v124
	s_delay_alu instid0(VALU_DEP_4) | instskip(SKIP_1) | instid1(VALU_DEP_3)
	v_dual_fmac_f32 v132, 0x32a5705f, v123 :: v_dual_sub_f32 v123, v130, v133
	v_add_f32_e32 v121, v121, v127
	v_dual_add_f32 v125, v125, v129 :: v_dual_add_f32 v120, v120, v122
	v_cvt_i32_f32_e32 v126, v131
	s_delay_alu instid0(VALU_DEP_4) | instskip(NEXT) | instid1(VALU_DEP_4)
	v_add_f32_e32 v122, v123, v132
	v_exp_f32_e32 v121, v121
	s_delay_alu instid0(VALU_DEP_3)
	v_exp_f32_e32 v123, v125
	v_exp_f32_e32 v120, v120
	v_cvt_i32_f32_e32 v125, v128
	v_exp_f32_e32 v122, v122
	v_cvt_i32_f32_e32 v124, v124
	v_cvt_i32_f32_e32 v127, v133
	v_and_b32_e32 v128, 0xffff, v56
	v_lshrrev_b32_e32 v56, 16, v56
	v_and_b32_e32 v129, 0xffff, v57
	v_ldexp_f32 v121, v121, v125
	v_ldexp_f32 v123, v123, v126
	;; [unrolled: 1-line block ×3, first 2 shown]
	v_and_b32_e32 v124, 0xffff, v60
	v_ldexp_f32 v122, v122, v127
	v_cndmask_b32_e64 v121, 0, v121, s6
	v_cndmask_b32_e64 v123, 0, v123, s8
	;; [unrolled: 1-line block ×3, first 2 shown]
	v_lshrrev_b32_e32 v60, 16, v60
	v_cndmask_b32_e64 v122, 0, v122, s13
	v_cndmask_b32_e64 v121, 0x7f800000, v121, s7
	;; [unrolled: 1-line block ×4, first 2 shown]
	v_and_b32_e32 v125, 0xffff, v61
	v_cndmask_b32_e64 v122, 0x7f800000, v122, s12
	s_delay_alu instid0(VALU_DEP_4)
	v_dual_fmac_f32 v115, v107, v121 :: v_dual_fmac_f32 v116, v106, v123
	v_cvt_f16_f32_e32 v107, v121
	v_cvt_f16_f32_e32 v121, v123
	;; [unrolled: 1-line block ×3, first 2 shown]
	v_fmac_f32_e32 v114, v105, v120
	v_cvt_f16_f32_e32 v120, v122
	v_and_b32_e32 v105, 0xffff, v107
	v_and_b32_e32 v107, 0xffff, v121
	v_fmac_f32_e32 v113, v104, v122
	v_and_b32_e32 v121, 0xffff, v65
	v_and_b32_e32 v106, 0xffff, v106
	v_mul_u32_u24_e32 v104, 0x10001, v105
	v_mul_u32_u24_e32 v105, 0x10001, v107
	v_and_b32_e32 v107, 0xffff, v120
	v_and_b32_e32 v120, 0xffff, v64
	v_lshrrev_b32_e32 v64, 16, v64
	v_lshrrev_b32_e32 v65, 16, v65
	v_mul_u32_u24_e32 v121, 0x10001, v121
	v_mul_u32_u24_e32 v107, 0x10001, v107
	;; [unrolled: 1-line block ×5, first 2 shown]
	v_and_b32_e32 v122, 0xffff, v66
	v_lshrrev_b32_e32 v66, 16, v66
	v_and_b32_e32 v123, 0xffff, v67
	v_mul_u32_u24_e32 v65, 0x10001, v65
	v_lshrrev_b32_e32 v67, 16, v67
	v_pk_mul_f16 v103, v103, v104
	v_pk_mul_f16 v92, v92, v105
	;; [unrolled: 1-line block ×6, first 2 shown]
	v_mul_u32_u24_e32 v122, 0x10001, v122
	v_mul_u32_u24_e32 v66, 0x10001, v66
	;; [unrolled: 1-line block ×4, first 2 shown]
	v_lshrrev_b32_e32 v61, 16, v61
	v_pk_mul_f16 v87, v87, v106
	v_pk_mul_f16 v82, v82, v107
	v_pk_fma_f16 v102, v102, v104, v152
	v_pk_fma_f16 v89, v89, v105, v153
	;; [unrolled: 1-line block ×6, first 2 shown]
	v_mul_u32_u24_e32 v124, 0x10001, v124
	v_mul_u32_u24_e32 v60, 0x10001, v60
	;; [unrolled: 1-line block ×3, first 2 shown]
	v_and_b32_e32 v126, 0xffff, v62
	v_lshrrev_b32_e32 v62, 16, v62
	v_and_b32_e32 v127, 0xffff, v63
	v_mul_u32_u24_e32 v61, 0x10001, v61
	v_lshrrev_b32_e32 v63, 16, v63
	v_pk_fma_f16 v87, v33, v121, v87
	v_pk_fma_f16 v33, v33, v65, v82
	;; [unrolled: 1-line block ×8, first 2 shown]
	v_mul_u32_u24_e32 v126, 0x10001, v126
	v_mul_u32_u24_e32 v62, 0x10001, v62
	;; [unrolled: 1-line block ×4, first 2 shown]
	v_lshrrev_b32_e32 v57, 16, v57
	v_pk_fma_f16 v66, v35, v123, v87
	v_pk_fma_f16 v33, v35, v67, v33
	v_pk_fma_f16 v35, v28, v124, v65
	v_pk_fma_f16 v65, v28, v60, v82
	v_pk_fma_f16 v67, v28, v125, v86
	v_pk_fma_f16 v28, v28, v61, v32
	v_pk_fma_f16 v32, v29, v124, v34
	v_pk_fma_f16 v34, v29, v60, v64
	v_mul_u32_u24_e32 v128, 0x10001, v128
	v_mul_u32_u24_e32 v56, 0x10001, v56
	;; [unrolled: 1-line block ×3, first 2 shown]
	v_and_b32_e32 v130, 0xffff, v58
	v_lshrrev_b32_e32 v58, 16, v58
	v_and_b32_e32 v131, 0xffff, v59
	v_mul_u32_u24_e32 v57, 0x10001, v57
	v_lshrrev_b32_e32 v59, 16, v59
	v_pk_fma_f16 v60, v29, v125, v66
	v_pk_fma_f16 v29, v29, v61, v33
	;; [unrolled: 1-line block ×8, first 2 shown]
	v_mul_u32_u24_e32 v130, 0x10001, v130
	v_mul_u32_u24_e32 v58, 0x10001, v58
	;; [unrolled: 1-line block ×3, first 2 shown]
	v_and_b32_e32 v132, 0xffff, v52
	v_lshrrev_b32_e32 v52, 16, v52
	v_and_b32_e32 v133, 0xffff, v53
	v_mul_u32_u24_e32 v59, 0x10001, v59
	v_lshrrev_b32_e32 v53, 16, v53
	v_pk_fma_f16 v34, v31, v127, v60
	v_pk_fma_f16 v29, v31, v63, v29
	;; [unrolled: 1-line block ×8, first 2 shown]
	v_mul_u32_u24_e32 v132, 0x10001, v132
	v_mul_u32_u24_e32 v52, 0x10001, v52
	;; [unrolled: 1-line block ×4, first 2 shown]
	v_pk_fma_f16 v32, v25, v129, v34
	v_pk_fma_f16 v25, v25, v57, v29
	;; [unrolled: 1-line block ×8, first 2 shown]
	v_and_b32_e32 v136, 0xffff, v48
	v_lshrrev_b32_e32 v48, 16, v48
	v_and_b32_e32 v137, 0xffff, v49
	v_mul_u32_u24_e32 v55, 0x10001, v55
	v_lshrrev_b32_e32 v49, 16, v49
	v_pk_fma_f16 v30, v27, v131, v32
	v_pk_fma_f16 v25, v27, v59, v25
	v_pk_fma_f16 v27, v20, v132, v29
	v_pk_fma_f16 v29, v20, v52, v31
	v_pk_fma_f16 v31, v20, v133, v33
	v_pk_fma_f16 v20, v20, v53, v24
	v_pk_fma_f16 v24, v21, v132, v26
	v_pk_fma_f16 v26, v21, v52, v28
	v_mul_u32_u24_e32 v136, 0x10001, v136
	v_mul_u32_u24_e32 v48, 0x10001, v48
	v_mul_u32_u24_e32 v137, 0x10001, v137
	v_and_b32_e32 v138, 0xffff, v50
	v_lshrrev_b32_e32 v50, 16, v50
	v_and_b32_e32 v139, 0xffff, v51
	v_mul_u32_u24_e32 v49, 0x10001, v49
	v_lshrrev_b32_e32 v51, 16, v51
	v_pk_fma_f16 v28, v21, v133, v30
	v_pk_fma_f16 v21, v21, v53, v25
	v_pk_fma_f16 v25, v22, v134, v27
	v_pk_fma_f16 v27, v22, v54, v29
	v_pk_fma_f16 v29, v22, v135, v31
	v_pk_fma_f16 v20, v22, v55, v20
	v_pk_fma_f16 v22, v23, v134, v24
	v_pk_fma_f16 v24, v23, v54, v26
	v_mul_u32_u24_e32 v138, 0x10001, v138
	v_mul_u32_u24_e32 v50, 0x10001, v50
	v_mul_u32_u24_e32 v139, 0x10001, v139
	;; [unrolled: 16-line block ×6, first 2 shown]
	v_mul_u32_u24_e32 v43, 0x10001, v43
	v_pk_fma_f16 v18, v15, v143, v20
	v_pk_fma_f16 v13, v15, v47, v13
	;; [unrolled: 1-line block ×8, first 2 shown]
	v_and_b32_e32 v148, 0xffff, v36
	v_lshrrev_b32_e32 v36, 16, v36
	v_and_b32_e32 v149, 0xffff, v37
	v_lshrrev_b32_e32 v37, 16, v37
	v_pk_fma_f16 v16, v9, v145, v18
	v_pk_fma_f16 v9, v9, v41, v13
	;; [unrolled: 1-line block ×8, first 2 shown]
	s_wait_loadcnt_dscnt 0x0
	s_barrier_signal -1
	s_barrier_wait -1
	global_inv scope:SCOPE_SE
	ds_load_b128 v[12:15], v96 offset:128
	v_mul_u32_u24_e32 v148, 0x10001, v148
	v_mul_u32_u24_e32 v36, 0x10001, v36
	;; [unrolled: 1-line block ×4, first 2 shown]
	v_pk_fma_f16 v16, v11, v147, v16
	v_pk_fma_f16 v9, v11, v43, v9
	v_and_b32_e32 v150, 0xffff, v38
	v_lshrrev_b32_e32 v38, 16, v38
	v_and_b32_e32 v151, 0xffff, v39
	v_lshrrev_b32_e32 v39, 16, v39
	v_pk_fma_f16 v18, v4, v148, v18
	v_pk_fma_f16 v17, v4, v36, v17
	;; [unrolled: 1-line block ×8, first 2 shown]
	ds_load_2addr_b64 v[8:11], v119 offset1:24
	v_mul_u32_u24_e32 v150, 0x10001, v150
	v_mul_u32_u24_e32 v38, 0x10001, v38
	;; [unrolled: 1-line block ×4, first 2 shown]
	s_delay_alu instid0(VALU_DEP_4) | instskip(NEXT) | instid1(VALU_DEP_4)
	v_pk_fma_f16 v24, v6, v150, v18
	v_pk_fma_f16 v25, v6, v38, v17
	s_delay_alu instid0(VALU_DEP_4) | instskip(NEXT) | instid1(VALU_DEP_4)
	v_pk_fma_f16 v26, v6, v151, v19
	v_pk_fma_f16 v27, v6, v39, v4
	;; [unrolled: 1-line block ×3, first 2 shown]
	ds_load_b128 v[16:19], v96 offset:144
	s_wait_dscnt 0x2
	v_and_b32_e32 v4, 0xffff, v12
	v_lshrrev_b32_e32 v6, 16, v12
	v_and_b32_e32 v12, 0xffff, v13
	v_lshrrev_b32_e32 v13, 16, v13
	v_pk_fma_f16 v28, v7, v150, v21
	v_pk_fma_f16 v29, v7, v38, v20
	v_mul_u32_u24_e32 v32, 0x10001, v4
	v_mul_u32_u24_e32 v33, 0x10001, v6
	;; [unrolled: 1-line block ×4, first 2 shown]
	v_and_b32_e32 v13, 0xffff, v14
	v_lshrrev_b32_e32 v14, 16, v14
	v_pk_fma_f16 v31, v7, v39, v5
	ds_load_b128 v[4:7], v96 offset:160
	ds_load_b128 v[20:23], v96 offset:176
	s_wait_dscnt 0x3
	v_pk_fma_f16 v24, v8, v32, v24
	v_pk_fma_f16 v25, v8, v33, v25
	;; [unrolled: 1-line block ×7, first 2 shown]
	v_and_b32_e32 v30, 0xffff, v15
	v_lshrrev_b32_e32 v32, 16, v15
	v_mul_u32_u24_e32 v33, 0x10001, v13
	v_mul_u32_u24_e32 v35, 0x10001, v14
	ds_load_2addr_b64 v[12:15], v119 offset0:48 offset1:72
	v_mul_u32_u24_e32 v30, 0x10001, v30
	v_mul_u32_u24_e32 v32, 0x10001, v32
	v_pk_fma_f16 v9, v9, v34, v31
	v_pk_fma_f16 v24, v10, v33, v24
	;; [unrolled: 1-line block ×7, first 2 shown]
	s_wait_dscnt 0x3
	v_and_b32_e32 v28, 0xffff, v16
	v_lshrrev_b32_e32 v16, 16, v16
	v_and_b32_e32 v31, 0xffff, v17
	v_lshrrev_b32_e32 v17, 16, v17
	v_pk_fma_f16 v29, v11, v30, v29
	v_mul_u32_u24_e32 v28, 0x10001, v28
	v_mul_u32_u24_e32 v16, 0x10001, v16
	;; [unrolled: 1-line block ×4, first 2 shown]
	v_pk_fma_f16 v31, v11, v32, v9
	s_wait_dscnt 0x0
	v_pk_fma_f16 v24, v12, v28, v24
	v_pk_fma_f16 v25, v12, v16, v25
	;; [unrolled: 1-line block ×4, first 2 shown]
	v_and_b32_e32 v8, 0xffff, v18
	v_lshrrev_b32_e32 v9, 16, v18
	v_pk_fma_f16 v28, v13, v28, v10
	v_pk_fma_f16 v16, v13, v16, v27
	;; [unrolled: 1-line block ×3, first 2 shown]
	v_and_b32_e32 v27, 0xffff, v19
	v_lshrrev_b32_e32 v19, 16, v19
	v_mul_u32_u24_e32 v29, 0x10001, v8
	v_mul_u32_u24_e32 v30, 0x10001, v9
	ds_load_2addr_b64 v[8:11], v119 offset0:96 offset1:120
	v_mul_u32_u24_e32 v27, 0x10001, v27
	v_mul_u32_u24_e32 v19, 0x10001, v19
	v_pk_fma_f16 v13, v13, v17, v31
	v_pk_fma_f16 v17, v14, v29, v24
	;; [unrolled: 1-line block ×6, first 2 shown]
	v_and_b32_e32 v26, 0xffff, v4
	v_lshrrev_b32_e32 v4, 16, v4
	v_and_b32_e32 v28, 0xffff, v5
	v_lshrrev_b32_e32 v5, 16, v5
	v_pk_fma_f16 v16, v15, v30, v16
	v_pk_fma_f16 v18, v15, v27, v18
	v_mul_u32_u24_e32 v26, 0x10001, v26
	v_mul_u32_u24_e32 v4, 0x10001, v4
	;; [unrolled: 1-line block ×4, first 2 shown]
	v_pk_fma_f16 v13, v15, v19, v13
	s_wait_dscnt 0x0
	v_pk_fma_f16 v15, v8, v26, v17
	v_pk_fma_f16 v17, v8, v4, v24
	;; [unrolled: 1-line block ×6, first 2 shown]
	v_and_b32_e32 v4, 0xffff, v6
	v_lshrrev_b32_e32 v5, 16, v6
	v_pk_fma_f16 v16, v9, v27, v18
	v_and_b32_e32 v18, 0xffff, v7
	v_lshrrev_b32_e32 v24, 16, v7
	v_mul_u32_u24_e32 v25, 0x10001, v4
	v_mul_u32_u24_e32 v26, 0x10001, v5
	ds_load_2addr_b64 v[4:7], v119 offset0:144 offset1:168
	v_mul_u32_u24_e32 v18, 0x10001, v18
	v_mul_u32_u24_e32 v24, 0x10001, v24
	v_pk_fma_f16 v9, v9, v28, v13
	v_pk_fma_f16 v13, v10, v25, v15
	;; [unrolled: 1-line block ×7, first 2 shown]
	v_and_b32_e32 v14, 0xffff, v20
	v_lshrrev_b32_e32 v19, 16, v20
	v_and_b32_e32 v20, 0xffff, v21
	v_lshrrev_b32_e32 v21, 16, v21
	v_pk_fma_f16 v16, v11, v18, v16
	v_mul_u32_u24_e32 v14, 0x10001, v14
	v_mul_u32_u24_e32 v18, 0x10001, v19
	;; [unrolled: 1-line block ×4, first 2 shown]
	v_pk_fma_f16 v21, v11, v24, v9
	s_wait_dscnt 0x0
	v_pk_fma_f16 v24, v4, v14, v13
	v_pk_fma_f16 v25, v4, v18, v15
	;; [unrolled: 1-line block ×5, first 2 shown]
	ds_load_b128 v[8:11], v96 offset:192
	v_pk_fma_f16 v18, v5, v18, v12
	v_and_b32_e32 v12, 0xffff, v22
	v_lshrrev_b32_e32 v13, 16, v22
	v_and_b32_e32 v14, 0xffff, v23
	v_pk_fma_f16 v22, v5, v19, v16
	v_lshrrev_b32_e32 v16, 16, v23
	v_mul_u32_u24_e32 v19, 0x10001, v12
	v_mul_u32_u24_e32 v23, 0x10001, v13
	;; [unrolled: 1-line block ×3, first 2 shown]
	ds_load_2addr_b64 v[12:15], v119 offset0:192 offset1:216
	v_mul_u32_u24_e32 v28, 0x10001, v16
	v_pk_fma_f16 v5, v5, v20, v21
	v_pk_fma_f16 v20, v6, v19, v24
	;; [unrolled: 1-line block ×7, first 2 shown]
	ds_load_b128 v[16:19], v96 offset:208
	s_wait_dscnt 0x2
	v_and_b32_e32 v25, 0xffff, v8
	v_lshrrev_b32_e32 v8, 16, v8
	v_and_b32_e32 v26, 0xffff, v9
	v_lshrrev_b32_e32 v9, 16, v9
	v_pk_fma_f16 v22, v7, v27, v22
	v_mul_u32_u24_e32 v25, 0x10001, v25
	v_mul_u32_u24_e32 v8, 0x10001, v8
	;; [unrolled: 1-line block ×4, first 2 shown]
	v_pk_fma_f16 v27, v7, v28, v5
	s_wait_dscnt 0x1
	v_pk_fma_f16 v20, v12, v25, v20
	v_pk_fma_f16 v21, v12, v8, v21
	;; [unrolled: 1-line block ×4, first 2 shown]
	v_and_b32_e32 v4, 0xffff, v10
	v_lshrrev_b32_e32 v5, 16, v10
	v_pk_fma_f16 v25, v13, v25, v6
	v_pk_fma_f16 v8, v13, v8, v23
	v_pk_fma_f16 v10, v13, v26, v22
	v_and_b32_e32 v22, 0xffff, v11
	v_lshrrev_b32_e32 v11, 16, v11
	v_mul_u32_u24_e32 v23, 0x10001, v4
	v_mul_u32_u24_e32 v26, 0x10001, v5
	ds_load_2addr_b64 v[4:7], v118 offset0:112 offset1:136
	v_mul_u32_u24_e32 v22, 0x10001, v22
	v_mul_u32_u24_e32 v11, 0x10001, v11
	v_pk_fma_f16 v9, v13, v9, v27
	v_pk_fma_f16 v13, v14, v23, v20
	;; [unrolled: 1-line block ×7, first 2 shown]
	s_wait_dscnt 0x1
	v_and_b32_e32 v8, 0xffff, v16
	v_lshrrev_b32_e32 v16, 16, v16
	v_and_b32_e32 v24, 0xffff, v17
	v_lshrrev_b32_e32 v17, 16, v17
	v_pk_fma_f16 v22, v15, v22, v10
	v_mul_u32_u24_e32 v8, 0x10001, v8
	v_mul_u32_u24_e32 v16, 0x10001, v16
	;; [unrolled: 1-line block ×4, first 2 shown]
	v_pk_fma_f16 v25, v15, v11, v9
	s_wait_dscnt 0x0
	v_pk_fma_f16 v26, v4, v8, v13
	v_pk_fma_f16 v27, v5, v8, v14
	ds_load_b128 v[8:11], v96 offset:224
	v_pk_fma_f16 v20, v4, v16, v20
	v_pk_fma_f16 v21, v4, v24, v21
	;; [unrolled: 1-line block ×3, first 2 shown]
	v_and_b32_e32 v12, 0xffff, v18
	v_lshrrev_b32_e32 v13, 16, v18
	v_and_b32_e32 v14, 0xffff, v19
	v_pk_fma_f16 v16, v5, v16, v23
	v_pk_fma_f16 v22, v5, v24, v22
	v_lshrrev_b32_e32 v18, 16, v19
	v_mul_u32_u24_e32 v19, 0x10001, v12
	v_mul_u32_u24_e32 v23, 0x10001, v13
	;; [unrolled: 1-line block ×3, first 2 shown]
	ds_load_2addr_b64 v[12:15], v117 offset0:32 offset1:56
	v_mul_u32_u24_e32 v28, 0x10001, v18
	v_pk_fma_f16 v5, v5, v17, v25
	v_pk_fma_f16 v25, v6, v19, v26
	;; [unrolled: 1-line block ×7, first 2 shown]
	ds_load_b128 v[16:19], v96 offset:240
	s_wait_dscnt 0x2
	v_and_b32_e32 v26, 0xffff, v8
	v_lshrrev_b32_e32 v8, 16, v8
	v_and_b32_e32 v27, 0xffff, v9
	v_lshrrev_b32_e32 v9, 16, v9
	v_pk_fma_f16 v22, v7, v24, v22
	v_mul_u32_u24_e32 v24, 0x10001, v26
	v_mul_u32_u24_e32 v8, 0x10001, v8
	;; [unrolled: 1-line block ×4, first 2 shown]
	v_pk_fma_f16 v27, v7, v28, v5
	s_wait_dscnt 0x1
	v_pk_fma_f16 v25, v12, v24, v25
	v_pk_fma_f16 v20, v12, v8, v20
	;; [unrolled: 1-line block ×4, first 2 shown]
	v_and_b32_e32 v4, 0xffff, v10
	v_lshrrev_b32_e32 v5, 16, v10
	v_pk_fma_f16 v24, v13, v24, v6
	v_pk_fma_f16 v8, v13, v8, v23
	;; [unrolled: 1-line block ×3, first 2 shown]
	v_and_b32_e32 v22, 0xffff, v11
	v_lshrrev_b32_e32 v11, 16, v11
	v_mul_u32_u24_e32 v23, 0x10001, v4
	v_mul_u32_u24_e32 v26, 0x10001, v5
	ds_load_2addr_b64 v[4:7], v117 offset0:80 offset1:104
	v_mul_u32_u24_e32 v22, 0x10001, v22
	v_mul_u32_u24_e32 v11, 0x10001, v11
	s_wait_loadcnt_dscnt 0x0
	s_barrier_signal -1
	s_barrier_wait -1
	global_inv scope:SCOPE_SE
	s_load_b32 s6, s[24:25], 0x4
	v_pk_fma_f16 v9, v13, v9, v27
	v_pk_fma_f16 v13, v14, v23, v25
	;; [unrolled: 1-line block ×6, first 2 shown]
	v_and_b32_e32 v23, 0xffff, v16
	v_lshrrev_b32_e32 v16, 16, v16
	v_and_b32_e32 v24, 0xffff, v17
	v_lshrrev_b32_e32 v17, 16, v17
	v_pk_fma_f16 v8, v15, v26, v8
	v_pk_fma_f16 v10, v15, v22, v10
	v_mul_u32_u24_e32 v22, 0x10001, v23
	v_mul_u32_u24_e32 v16, 0x10001, v16
	;; [unrolled: 1-line block ×4, first 2 shown]
	v_pk_fma_f16 v9, v15, v11, v9
	v_pk_fma_f16 v11, v4, v22, v13
	;; [unrolled: 1-line block ×7, first 2 shown]
	v_and_b32_e32 v14, 0xffff, v18
	v_lshrrev_b32_e32 v16, 16, v18
	v_and_b32_e32 v18, 0xffff, v19
	v_lshrrev_b32_e32 v19, 16, v19
	v_pk_fma_f16 v10, v5, v23, v10
	v_mul_u32_u24_e32 v14, 0x10001, v14
	v_mul_u32_u24_e32 v16, 0x10001, v16
	;; [unrolled: 1-line block ×4, first 2 shown]
	v_pk_fma_f16 v5, v5, v17, v9
	s_wait_kmcnt 0x0
	s_lshl_b32 s6, s6, 5
	v_pk_fma_f16 v102, v6, v14, v11
	v_pk_fma_f16 v89, v6, v16, v13
	;; [unrolled: 1-line block ×8, first 2 shown]
	s_wait_alu 0xfffe
	s_add_co_i32 s38, s6, s38
	s_wait_alu 0xfffe
	s_cmp_ge_i32 s38, s34
	s_cbranch_scc1 .LBB37_33
; %bb.32:                               ;   in Loop: Header=BB37_15 Depth=1
	v_dual_mov_b32 v5, v0 :: v_dual_mov_b32 v6, v2
	v_dual_mov_b32 v7, v1 :: v_dual_mov_b32 v4, v3
	;; [unrolled: 1-line block ×4, first 2 shown]
	s_branch .LBB37_15
.LBB37_33:
	v_mov_b32_e32 v4, v83
.LBB37_34:
	v_cmp_lt_i32_e32 vcc_lo, v108, v85
	s_cmp_lg_u64 s[16:17], 0
	s_cselect_b32 s3, -1, 0
	s_cmp_eq_u32 s18, 0
	s_wait_alu 0xfffd
	v_cndmask_b32_e32 v5, v4, v108, vcc_lo
	v_cmp_lt_i32_e32 vcc_lo, v109, v85
	s_cselect_b32 s4, -1, 0
	s_wait_alu 0xfffe
	s_and_b32 s3, s4, s3
	v_lshlrev_b32_e32 v5, 2, v5
	ds_bpermute_b32 v8, v5, v114
	s_wait_dscnt 0x0
	v_add_f32_e32 v8, v114, v8
	ds_bpermute_b32 v6, v5, v115
	ds_bpermute_b32 v7, v5, v116
	;; [unrolled: 1-line block ×3, first 2 shown]
	s_wait_dscnt 0x2
	s_wait_alu 0xfffd
	v_dual_add_f32 v6, v115, v6 :: v_dual_cndmask_b32 v9, v4, v109
	v_cmp_lt_i32_e32 vcc_lo, v110, v85
	s_delay_alu instid0(VALU_DEP_2)
	v_lshlrev_b32_e32 v9, 2, v9
	s_wait_alu 0xfffd
	v_cndmask_b32_e32 v13, v4, v110, vcc_lo
	v_cmp_lt_i32_e32 vcc_lo, v111, v85
	ds_bpermute_b32 v12, v9, v8
	s_wait_dscnt 0x0
	v_dual_add_f32 v8, v8, v12 :: v_dual_lshlrev_b32 v13, 2, v13
	ds_bpermute_b32 v10, v9, v6
	s_wait_dscnt 0x0
	v_dual_add_f32 v5, v113, v5 :: v_dual_add_f32 v6, v6, v10
	v_add_f32_e32 v7, v116, v7
	ds_bpermute_b32 v11, v9, v7
	ds_bpermute_b32 v9, v9, v5
	s_wait_dscnt 0x0
	v_add_f32_e32 v5, v5, v9
	ds_bpermute_b32 v9, v13, v6
	ds_bpermute_b32 v12, v13, v5
	s_wait_dscnt 0x1
	v_dual_add_f32 v6, v6, v9 :: v_dual_add_f32 v7, v7, v11
	ds_bpermute_b32 v11, v13, v8
	ds_bpermute_b32 v10, v13, v7
	s_wait_alu 0xfffd
	v_cndmask_b32_e32 v13, v4, v111, vcc_lo
	v_cmp_lt_i32_e32 vcc_lo, v112, v85
	s_wait_alu 0xfffd
	s_delay_alu instid0(VALU_DEP_2)
	v_dual_cndmask_b32 v4, v4, v112 :: v_dual_lshlrev_b32 v13, 2, v13
	s_wait_alu 0xfffe
	s_and_b32 vcc_lo, exec_lo, s3
	ds_bpermute_b32 v9, v13, v6
	v_lshlrev_b32_e32 v4, 2, v4
	s_wait_dscnt 0x2
	v_add_f32_e32 v8, v8, v11
	ds_bpermute_b32 v11, v13, v8
	s_wait_dscnt 0x1
	v_dual_add_f32 v6, v6, v9 :: v_dual_add_f32 v7, v7, v10
	ds_bpermute_b32 v10, v13, v7
	s_wait_dscnt 0x1
	v_dual_add_f32 v8, v8, v11 :: v_dual_add_f32 v5, v5, v12
	ds_bpermute_b32 v11, v4, v8
	ds_bpermute_b32 v12, v13, v5
	s_wait_dscnt 0x2
	v_add_f32_e32 v7, v7, v10
	ds_bpermute_b32 v10, v4, v7
	s_wait_dscnt 0x1
	v_add_f32_e32 v9, v5, v12
	ds_bpermute_b32 v5, v4, v6
	ds_bpermute_b32 v12, v4, v9
	s_wait_dscnt 0x1
	v_dual_add_f32 v4, v6, v5 :: v_dual_add_f32 v5, v7, v10
	s_wait_dscnt 0x0
	v_dual_add_f32 v6, v8, v11 :: v_dual_add_f32 v7, v9, v12
	s_wait_alu 0xfffe
	s_cbranch_vccz .LBB37_36
; %bb.35:
	s_ashr_i32 s29, s28, 31
	v_dual_mov_b32 v8, 0 :: v_dual_max_num_f32 v9, v1, v1
	s_lshl_b64 s[4:5], s[28:29], 2
	v_max_num_f32_e32 v15, v3, v3
	s_wait_alu 0xfffe
	s_add_nc_u64 s[4:5], s[16:17], s[4:5]
	global_load_b64 v[12:13], v8, s[4:5]
	s_wait_loadcnt 0x0
	v_dual_max_num_f32 v8, v0, v0 :: v_dual_max_num_f32 v11, v13, v13
	v_max_num_f32_e32 v10, v12, v12
	s_delay_alu instid0(VALU_DEP_2) | instskip(NEXT) | instid1(VALU_DEP_2)
	v_dual_max_num_f32 v14, v2, v2 :: v_dual_max_num_f32 v9, v9, v11
	v_dual_max_num_f32 v8, v8, v10 :: v_dual_max_num_f32 v11, v15, v11
	s_delay_alu instid0(VALU_DEP_2) | instskip(NEXT) | instid1(VALU_DEP_3)
	v_max_num_f32_e32 v10, v14, v10
	v_sub_f32_e32 v16, v1, v9
	s_delay_alu instid0(VALU_DEP_3) | instskip(NEXT) | instid1(VALU_DEP_3)
	v_dual_sub_f32 v14, v0, v8 :: v_dual_sub_f32 v17, v13, v9
	v_dual_sub_f32 v15, v12, v8 :: v_dual_sub_f32 v18, v2, v10
	;; [unrolled: 1-line block ×3, first 2 shown]
	v_dual_sub_f32 v19, v3, v11 :: v_dual_mov_b32 v0, v8
	v_mov_b32_e32 v3, v11
	v_dual_mov_b32 v1, v9 :: v_dual_mov_b32 v2, v10
	v_dual_mul_f32 v9, 0x3fb8aa3b, v15 :: v_dual_mul_f32 v8, 0x3fb8aa3b, v14
	v_dual_mul_f32 v11, 0x3fb8aa3b, v17 :: v_dual_mul_f32 v10, 0x3fb8aa3b, v16
	;; [unrolled: 1-line block ×3, first 2 shown]
	v_mul_f32_e32 v21, 0x3fb8aa3b, v12
	s_delay_alu instid0(VALU_DEP_4)
	v_fma_f32 v24, 0x3fb8aa3b, v14, -v8
	v_rndne_f32_e32 v25, v8
	v_fma_f32 v28, 0x3fb8aa3b, v16, -v10
	v_fma_f32 v26, 0x3fb8aa3b, v15, -v9
	;; [unrolled: 1-line block ×3, first 2 shown]
	v_rndne_f32_e32 v35, v21
	v_rndne_f32_e32 v27, v9
	v_fma_f32 v30, 0x3fb8aa3b, v17, -v11
	v_rndne_f32_e32 v31, v11
	v_fmac_f32_e32 v24, 0x32a5705f, v14
	v_sub_f32_e32 v8, v8, v25
	v_dual_fmac_f32 v28, 0x32a5705f, v16 :: v_dual_sub_f32 v21, v21, v35
	v_dual_fmac_f32 v34, 0x32a5705f, v12 :: v_dual_sub_f32 v9, v9, v27
	;; [unrolled: 1-line block ×3, first 2 shown]
	s_delay_alu instid0(VALU_DEP_2) | instskip(SKIP_2) | instid1(VALU_DEP_4)
	v_dual_add_f32 v8, v8, v24 :: v_dual_add_f32 v21, v21, v34
	v_fmac_f32_e32 v26, 0x32a5705f, v15
	v_rndne_f32_e32 v29, v10
	v_dual_add_f32 v11, v11, v30 :: v_dual_mul_f32 v22, 0x3fb8aa3b, v19
	s_delay_alu instid0(VALU_DEP_4) | instskip(NEXT) | instid1(VALU_DEP_3)
	v_exp_f32_e32 v8, v8
	v_add_f32_e32 v9, v9, v26
	v_rndne_f32_e32 v39, v23
	v_cvt_i32_f32_e32 v25, v25
	v_sub_f32_e32 v10, v10, v29
	v_fma_f32 v32, 0x3fb8aa3b, v18, -v20
	v_exp_f32_e32 v9, v9
	v_rndne_f32_e32 v33, v20
	v_fma_f32 v38, 0x3fb8aa3b, v13, -v23
	v_cvt_i32_f32_e32 v27, v27
	v_dual_sub_f32 v23, v23, v39 :: v_dual_add_f32 v10, v10, v28
	v_ldexp_f32 v8, v8, v25
	v_cmp_ngt_f32_e32 vcc_lo, 0xc2ce8ed0, v14
	v_fmac_f32_e32 v38, 0x32a5705f, v13
	v_sub_f32_e32 v20, v20, v33
	v_exp_f32_e32 v10, v10
	v_ldexp_f32 v9, v9, v27
	s_wait_alu 0xfffd
	v_cndmask_b32_e32 v8, 0, v8, vcc_lo
	v_cmp_ngt_f32_e32 vcc_lo, 0xc2ce8ed0, v15
	v_fmac_f32_e32 v32, 0x32a5705f, v18
	v_cvt_i32_f32_e32 v29, v29
	v_add_f32_e32 v23, v23, v38
	v_exp_f32_e32 v11, v11
	s_wait_alu 0xfffd
	v_dual_cndmask_b32 v9, 0, v9 :: v_dual_add_f32 v20, v20, v32
	v_cvt_i32_f32_e32 v31, v31
	v_ldexp_f32 v10, v10, v29
	v_cmp_ngt_f32_e32 vcc_lo, 0xc2ce8ed0, v16
	v_cvt_i32_f32_e32 v33, v33
	v_exp_f32_e32 v20, v20
	v_exp_f32_e32 v21, v21
	;; [unrolled: 1-line block ×3, first 2 shown]
	v_ldexp_f32 v11, v11, v31
	s_wait_alu 0xfffd
	v_cndmask_b32_e32 v10, 0, v10, vcc_lo
	v_cmp_ngt_f32_e32 vcc_lo, 0xc2ce8ed0, v17
	v_fma_f32 v36, 0x3fb8aa3b, v19, -v22
	v_rndne_f32_e32 v37, v22
	v_cvt_i32_f32_e32 v35, v35
	v_cvt_i32_f32_e32 v26, v39
	v_ldexp_f32 v20, v20, v33
	s_wait_alu 0xfffd
	v_cndmask_b32_e32 v11, 0, v11, vcc_lo
	v_cmp_ngt_f32_e32 vcc_lo, 0xc2ce8ed0, v18
	v_ldexp_f32 v21, v21, v35
	v_ldexp_f32 v23, v23, v26
	v_sub_f32_e32 v22, v22, v37
	v_cvt_i32_f32_e32 v24, v37
	s_wait_alu 0xfffd
	v_cndmask_b32_e32 v20, 0, v20, vcc_lo
	v_cmp_ngt_f32_e32 vcc_lo, 0xc2ce8ed0, v12
	s_wait_alu 0xfffd
	v_dual_fmac_f32 v36, 0x32a5705f, v19 :: v_dual_cndmask_b32 v21, 0, v21
	s_delay_alu instid0(VALU_DEP_1) | instskip(SKIP_1) | instid1(VALU_DEP_2)
	v_add_f32_e32 v22, v22, v36
	v_cmp_ngt_f32_e32 vcc_lo, 0xc2ce8ed0, v19
	v_exp_f32_e32 v22, v22
	s_delay_alu instid0(TRANS32_DEP_1) | instskip(SKIP_1) | instid1(VALU_DEP_1)
	v_ldexp_f32 v22, v22, v24
	s_wait_alu 0xfffd
	v_cndmask_b32_e32 v22, 0, v22, vcc_lo
	v_cmp_ngt_f32_e32 vcc_lo, 0xc2ce8ed0, v13
	s_wait_alu 0xfffd
	v_cndmask_b32_e32 v23, 0, v23, vcc_lo
	v_cmp_nlt_f32_e32 vcc_lo, 0x42b17218, v14
	s_wait_alu 0xfffd
	v_cndmask_b32_e32 v14, 0x7f800000, v8, vcc_lo
	v_cmp_nlt_f32_e32 vcc_lo, 0x42b17218, v15
	;; [unrolled: 3-line block ×3, first 2 shown]
	s_delay_alu instid0(VALU_DEP_2)
	v_fmac_f32_e32 v8, v4, v14
	s_wait_alu 0xfffd
	v_cndmask_b32_e32 v15, 0x7f800000, v10, vcc_lo
	v_cmp_nlt_f32_e32 vcc_lo, 0x42b17218, v17
	v_cvt_f16_f32_e32 v4, v14
	s_wait_alu 0xfffd
	v_cndmask_b32_e32 v9, 0x7f800000, v11, vcc_lo
	v_cmp_nlt_f32_e32 vcc_lo, 0x42b17218, v18
	s_wait_alu 0xfffd
	s_delay_alu instid0(VALU_DEP_2)
	v_dual_fmac_f32 v9, v5, v15 :: v_dual_cndmask_b32 v16, 0x7f800000, v20
	v_cmp_nlt_f32_e32 vcc_lo, 0x42b17218, v12
	v_cvt_f16_f32_e32 v5, v15
	s_wait_alu 0xfffd
	v_cndmask_b32_e32 v10, 0x7f800000, v21, vcc_lo
	v_cmp_nlt_f32_e32 vcc_lo, 0x42b17218, v19
	s_delay_alu instid0(VALU_DEP_2) | instskip(SKIP_4) | instid1(VALU_DEP_3)
	v_fmac_f32_e32 v10, v6, v16
	s_wait_alu 0xfffd
	v_cndmask_b32_e32 v12, 0x7f800000, v22, vcc_lo
	v_cmp_nlt_f32_e32 vcc_lo, 0x42b17218, v13
	v_cvt_f16_f32_e32 v6, v16
	v_cvt_f16_f32_e32 v13, v12
	s_wait_alu 0xfffd
	v_cndmask_b32_e32 v11, 0x7f800000, v23, vcc_lo
	s_delay_alu instid0(VALU_DEP_3) | instskip(NEXT) | instid1(VALU_DEP_3)
	v_and_b32_e32 v14, 0xffff, v6
	v_dual_mov_b32 v6, v10 :: v_dual_and_b32 v13, 0xffff, v13
	s_delay_alu instid0(VALU_DEP_3)
	v_fmac_f32_e32 v11, v7, v12
	v_and_b32_e32 v7, 0xffff, v4
	v_and_b32_e32 v12, 0xffff, v5
	v_mul_u32_u24_e32 v14, 0x10001, v14
	v_mul_u32_u24_e32 v13, 0x10001, v13
	v_mov_b32_e32 v4, v8
	v_mul_u32_u24_e32 v7, 0x10001, v7
	v_mul_u32_u24_e32 v12, 0x10001, v12
	v_mov_b32_e32 v5, v9
	v_pk_mul_f16 v86, v86, v14
	v_pk_mul_f16 v87, v87, v14
	;; [unrolled: 1-line block ×8, first 2 shown]
	v_mov_b32_e32 v7, v11
	s_branch .LBB37_37
.LBB37_36:
	s_delay_alu instid0(VALU_DEP_1)
	v_dual_mov_b32 v11, v7 :: v_dual_mov_b32 v10, v6
	v_dual_mov_b32 v9, v5 :: v_dual_mov_b32 v8, v4
.LBB37_37:
	v_lshlrev_b32_e32 v12, 1, v80
	s_mov_b32 s3, exec_lo
	s_delay_alu instid0(VALU_DEP_1) | instskip(NEXT) | instid1(VALU_DEP_1)
	v_add_nc_u32_e32 v13, s15, v12
	v_cmpx_gt_i32_e64 s26, v13
	s_cbranch_execz .LBB37_64
; %bb.38:
	s_load_b32 s1, s[0:1], 0xd4
	v_mov_b32_e32 v14, 1.0
	s_wait_kmcnt 0x0
	s_cmp_lg_u32 s1, 1
	s_cselect_b32 s4, -1, 0
	s_cmp_eq_u32 s1, 1
	s_cselect_b32 s0, -1, 0
	s_wait_alu 0xfffe
	s_and_b32 vcc_lo, exec_lo, s4
	s_wait_alu 0xfffe
	s_cbranch_vccnz .LBB37_40
; %bb.39:
	v_div_scale_f32 v13, null, v4, v4, 1.0
	s_delay_alu instid0(VALU_DEP_1) | instskip(NEXT) | instid1(TRANS32_DEP_1)
	v_rcp_f32_e32 v14, v13
	v_fma_f32 v15, -v13, v14, 1.0
	s_delay_alu instid0(VALU_DEP_1) | instskip(SKIP_1) | instid1(VALU_DEP_1)
	v_fmac_f32_e32 v14, v15, v14
	v_div_scale_f32 v15, vcc_lo, 1.0, v4, 1.0
	v_mul_f32_e32 v16, v15, v14
	s_delay_alu instid0(VALU_DEP_1) | instskip(NEXT) | instid1(VALU_DEP_1)
	v_fma_f32 v17, -v13, v16, v15
	v_fmac_f32_e32 v16, v17, v14
	s_delay_alu instid0(VALU_DEP_1) | instskip(SKIP_1) | instid1(VALU_DEP_1)
	v_fma_f32 v13, -v13, v16, v15
	s_wait_alu 0xfffd
	v_div_fmas_f32 v13, v13, v14, v16
	s_delay_alu instid0(VALU_DEP_1)
	v_div_fixup_f32 v14, v13, v4, 1.0
.LBB37_40:
	s_mul_i32 s3, s30, s26
	s_wait_alu 0xfffe
	s_add_co_i32 s3, s3, s15
	s_wait_alu 0xfffe
	v_add_nc_u32_e32 v4, s3, v12
	s_delay_alu instid0(VALU_DEP_1) | instskip(NEXT) | instid1(VALU_DEP_1)
	v_mul_lo_u32 v4, v4, s27
	v_add_nc_u32_e32 v12, s28, v4
	s_delay_alu instid0(VALU_DEP_1)
	v_mad_co_u64_u32 v[12:13], null, s1, v12, s[18:19]
	s_and_saveexec_b32 s5, s2
	s_cbranch_execz .LBB37_42
; %bb.41:
	v_lshrrev_b32_e32 v13, 16, v103
	v_mad_co_u64_u32 v[15:16], null, 0x60, v12, v[68:69]
	v_lshrrev_b32_e32 v17, 16, v102
	v_cvt_f32_f16_e32 v20, v103
	s_delay_alu instid0(VALU_DEP_4) | instskip(SKIP_3) | instid1(VALU_DEP_4)
	v_cvt_f32_f16_e32 v13, v13
	v_mov_b32_e32 v16, 0
	v_cvt_f32_f16_e32 v21, v102
	v_cvt_f32_f16_e32 v22, v17
	v_mul_f32_e32 v17, v14, v13
	s_delay_alu instid0(VALU_DEP_4) | instskip(NEXT) | instid1(VALU_DEP_1)
	v_lshlrev_b64_e32 v[15:16], 2, v[15:16]
	v_add_co_u32 v18, vcc_lo, s20, v15
	s_wait_alu 0xfffd
	s_delay_alu instid0(VALU_DEP_2)
	v_add_co_ci_u32_e64 v19, null, s21, v16, vcc_lo
	v_mul_f32_e32 v16, v14, v20
	v_mul_f32_e32 v15, v14, v22
	v_mul_f32_e32 v14, v14, v21
	global_store_b128 v[18:19], v[14:17], off
.LBB37_42:
	s_wait_alu 0xfffe
	s_or_b32 exec_lo, exec_lo, s5
	v_cmp_eq_u32_e32 vcc_lo, 0, v79
	s_and_b32 s4, vcc_lo, s4
	s_wait_alu 0xfffe
	s_and_saveexec_b32 s5, s4
	s_cbranch_execz .LBB37_44
; %bb.43:
	v_ashrrev_i32_e32 v13, 31, v12
	v_dual_mov_b32 v14, v0 :: v_dual_mov_b32 v15, v8
	s_delay_alu instid0(VALU_DEP_2) | instskip(NEXT) | instid1(VALU_DEP_1)
	v_lshlrev_b64_e32 v[12:13], 3, v[12:13]
	v_add_co_u32 v12, vcc_lo, s22, v12
	s_wait_alu 0xfffd
	s_delay_alu instid0(VALU_DEP_2)
	v_add_co_ci_u32_e64 v13, null, s23, v13, vcc_lo
	global_store_b64 v[12:13], v[14:15], off
.LBB37_44:
	s_wait_alu 0xfffe
	s_or_b32 exec_lo, exec_lo, s5
	v_cndmask_b32_e64 v12, 0, 1, s0
	v_mov_b32_e32 v0, 1.0
	s_and_not1_b32 vcc_lo, exec_lo, s0
	s_wait_alu 0xfffe
	s_cbranch_vccnz .LBB37_46
; %bb.45:
	v_div_scale_f32 v0, null, v5, v5, 1.0
	s_delay_alu instid0(VALU_DEP_1) | instskip(NEXT) | instid1(TRANS32_DEP_1)
	v_rcp_f32_e32 v8, v0
	v_fma_f32 v13, -v0, v8, 1.0
	s_delay_alu instid0(VALU_DEP_1) | instskip(SKIP_1) | instid1(VALU_DEP_1)
	v_fmac_f32_e32 v8, v13, v8
	v_div_scale_f32 v13, vcc_lo, 1.0, v5, 1.0
	v_mul_f32_e32 v14, v13, v8
	s_delay_alu instid0(VALU_DEP_1) | instskip(NEXT) | instid1(VALU_DEP_1)
	v_fma_f32 v15, -v0, v14, v13
	v_fmac_f32_e32 v14, v15, v8
	s_delay_alu instid0(VALU_DEP_1) | instskip(SKIP_1) | instid1(VALU_DEP_1)
	v_fma_f32 v0, -v0, v14, v13
	s_wait_alu 0xfffd
	v_div_fmas_f32 v0, v0, v8, v14
	s_delay_alu instid0(VALU_DEP_1)
	v_div_fixup_f32 v0, v0, v5, 1.0
.LBB37_46:
	s_add_co_i32 s0, s28, 1
	s_wait_alu 0xfffe
	v_add_nc_u32_e32 v4, s0, v4
	s_delay_alu instid0(VALU_DEP_1)
	v_mad_co_u64_u32 v[4:5], null, s1, v4, s[18:19]
	s_and_saveexec_b32 s5, s2
	s_cbranch_execz .LBB37_48
; %bb.47:
	v_mad_co_u64_u32 v[13:14], null, 0x60, v4, v[68:69]
	v_cvt_f32_f16_e32 v15, v92
	v_mov_b32_e32 v14, 0
	v_lshrrev_b32_e32 v5, 16, v92
	v_lshrrev_b32_e32 v8, 16, v89
	v_cvt_f32_f16_e32 v19, v89
	v_mul_f32_e32 v15, v0, v15
	v_lshlrev_b64_e32 v[13:14], 2, v[13:14]
	v_cvt_f32_f16_e32 v5, v5
	v_cvt_f32_f16_e32 v8, v8
	s_delay_alu instid0(VALU_DEP_2) | instskip(NEXT) | instid1(VALU_DEP_4)
	v_mul_f32_e32 v16, v0, v5
	v_add_co_u32 v17, vcc_lo, s20, v13
	s_wait_alu 0xfffd
	v_add_co_ci_u32_e64 v18, null, s21, v14, vcc_lo
	v_mul_f32_e32 v14, v0, v8
	v_mul_f32_e32 v13, v0, v19
	global_store_b128 v[17:18], v[13:16], off
.LBB37_48:
	s_wait_alu 0xfffe
	s_or_b32 exec_lo, exec_lo, s5
	s_and_saveexec_b32 s5, s4
	s_cbranch_execz .LBB37_50
; %bb.49:
	v_ashrrev_i32_e32 v5, 31, v4
	v_mov_b32_e32 v8, v1
	s_delay_alu instid0(VALU_DEP_2) | instskip(NEXT) | instid1(VALU_DEP_1)
	v_lshlrev_b64_e32 v[4:5], 3, v[4:5]
	v_add_co_u32 v4, vcc_lo, s22, v4
	s_wait_alu 0xfffd
	s_delay_alu instid0(VALU_DEP_2)
	v_add_co_ci_u32_e64 v5, null, s23, v5, vcc_lo
	global_store_b64 v[4:5], v[8:9], off
.LBB37_50:
	s_wait_alu 0xfffe
	s_or_b32 exec_lo, exec_lo, s5
	v_add_nc_u32_e32 v0, s15, v78
	s_delay_alu instid0(VALU_DEP_1)
	v_cmp_gt_i32_e32 vcc_lo, s26, v0
	s_and_b32 exec_lo, exec_lo, vcc_lo
	s_cbranch_execz .LBB37_64
; %bb.51:
	v_cmp_ne_u32_e32 vcc_lo, 1, v12
	v_mov_b32_e32 v4, 1.0
	s_cbranch_vccnz .LBB37_53
; %bb.52:
	v_div_scale_f32 v0, null, v6, v6, 1.0
	s_delay_alu instid0(VALU_DEP_1) | instskip(NEXT) | instid1(TRANS32_DEP_1)
	v_rcp_f32_e32 v1, v0
	v_fma_f32 v4, -v0, v1, 1.0
	s_delay_alu instid0(VALU_DEP_1) | instskip(SKIP_1) | instid1(VALU_DEP_1)
	v_fmac_f32_e32 v1, v4, v1
	v_div_scale_f32 v4, vcc_lo, 1.0, v6, 1.0
	v_mul_f32_e32 v5, v4, v1
	s_delay_alu instid0(VALU_DEP_1) | instskip(NEXT) | instid1(VALU_DEP_1)
	v_fma_f32 v8, -v0, v5, v4
	v_fmac_f32_e32 v5, v8, v1
	s_delay_alu instid0(VALU_DEP_1) | instskip(SKIP_1) | instid1(VALU_DEP_1)
	v_fma_f32 v0, -v0, v5, v4
	s_wait_alu 0xfffd
	v_div_fmas_f32 v0, v0, v1, v5
	s_delay_alu instid0(VALU_DEP_1)
	v_div_fixup_f32 v4, v0, v6, 1.0
.LBB37_53:
	v_add_nc_u32_e32 v0, s3, v78
	s_delay_alu instid0(VALU_DEP_1) | instskip(NEXT) | instid1(VALU_DEP_1)
	v_mad_co_u64_u32 v[0:1], null, v0, s27, s[28:29]
	v_mad_co_u64_u32 v[0:1], null, s1, v0, s[18:19]
	s_and_saveexec_b32 s5, s2
	s_cbranch_execz .LBB37_55
; %bb.54:
	v_mad_co_u64_u32 v[5:6], null, 0x60, v0, v[68:69]
	v_cvt_f32_f16_e32 v9, v87
	v_mov_b32_e32 v6, 0
	v_lshrrev_b32_e32 v1, 16, v87
	v_lshrrev_b32_e32 v8, 16, v86
	v_cvt_f32_f16_e32 v13, v86
	v_mul_f32_e32 v15, v4, v9
	v_lshlrev_b64_e32 v[5:6], 2, v[5:6]
	v_cvt_f32_f16_e32 v1, v1
	v_cvt_f32_f16_e32 v8, v8
	v_mul_f32_e32 v13, v4, v13
	s_delay_alu instid0(VALU_DEP_3)
	v_mul_f32_e32 v16, v4, v1
	v_add_co_u32 v5, vcc_lo, s20, v5
	s_wait_alu 0xfffd
	v_add_co_ci_u32_e64 v6, null, s21, v6, vcc_lo
	v_mul_f32_e32 v14, v4, v8
	global_store_b128 v[5:6], v[13:16], off
.LBB37_55:
	s_wait_alu 0xfffe
	s_or_b32 exec_lo, exec_lo, s5
	s_and_saveexec_b32 s5, s4
	s_cbranch_execz .LBB37_57
; %bb.56:
	v_ashrrev_i32_e32 v1, 31, v0
	v_mov_b32_e32 v9, v2
	s_delay_alu instid0(VALU_DEP_2) | instskip(NEXT) | instid1(VALU_DEP_1)
	v_lshlrev_b64_e32 v[0:1], 3, v[0:1]
	v_add_co_u32 v0, vcc_lo, s22, v0
	s_wait_alu 0xfffd
	s_delay_alu instid0(VALU_DEP_2)
	v_add_co_ci_u32_e64 v1, null, s23, v1, vcc_lo
	global_store_b64 v[0:1], v[9:10], off
.LBB37_57:
	s_wait_alu 0xfffe
	s_or_b32 exec_lo, exec_lo, s5
	v_lshrrev_b32_e32 v0, 1, v77
	s_delay_alu instid0(VALU_DEP_1) | instskip(NEXT) | instid1(VALU_DEP_1)
	v_add_nc_u32_e32 v1, s15, v0
	v_cmp_gt_i32_e32 vcc_lo, s26, v1
	s_and_b32 exec_lo, exec_lo, vcc_lo
	s_cbranch_execz .LBB37_64
; %bb.58:
	v_cmp_ne_u32_e32 vcc_lo, 1, v12
	v_mov_b32_e32 v2, 1.0
	s_cbranch_vccnz .LBB37_60
; %bb.59:
	v_div_scale_f32 v1, null, v7, v7, 1.0
	s_delay_alu instid0(VALU_DEP_1) | instskip(NEXT) | instid1(TRANS32_DEP_1)
	v_rcp_f32_e32 v2, v1
	v_fma_f32 v4, -v1, v2, 1.0
	s_delay_alu instid0(VALU_DEP_1) | instskip(SKIP_1) | instid1(VALU_DEP_1)
	v_fmac_f32_e32 v2, v4, v2
	v_div_scale_f32 v4, vcc_lo, 1.0, v7, 1.0
	v_mul_f32_e32 v5, v4, v2
	s_delay_alu instid0(VALU_DEP_1) | instskip(NEXT) | instid1(VALU_DEP_1)
	v_fma_f32 v6, -v1, v5, v4
	v_fmac_f32_e32 v5, v6, v2
	s_delay_alu instid0(VALU_DEP_1) | instskip(SKIP_1) | instid1(VALU_DEP_1)
	v_fma_f32 v1, -v1, v5, v4
	s_wait_alu 0xfffd
	v_div_fmas_f32 v1, v1, v2, v5
	s_delay_alu instid0(VALU_DEP_1)
	v_div_fixup_f32 v2, v1, v7, 1.0
.LBB37_60:
	v_add_nc_u32_e32 v0, s3, v0
	s_delay_alu instid0(VALU_DEP_1) | instskip(NEXT) | instid1(VALU_DEP_1)
	v_mad_co_u64_u32 v[0:1], null, v0, s27, s[0:1]
	v_mad_co_u64_u32 v[0:1], null, s1, v0, s[18:19]
	s_and_saveexec_b32 s0, s2
	s_cbranch_execz .LBB37_62
; %bb.61:
	v_mad_co_u64_u32 v[4:5], null, 0x60, v0, v[68:69]
	v_lshrrev_b32_e32 v6, 16, v84
	v_cvt_f32_f16_e32 v10, v82
	v_mov_b32_e32 v5, 0
	v_lshrrev_b32_e32 v1, 16, v82
	v_cvt_f32_f16_e32 v12, v84
	v_cvt_f32_f16_e32 v13, v6
	v_mul_f32_e32 v6, v2, v10
	v_lshlrev_b64_e32 v[4:5], 2, v[4:5]
	v_cvt_f32_f16_e32 v1, v1
	s_delay_alu instid0(VALU_DEP_1) | instskip(NEXT) | instid1(VALU_DEP_3)
	v_mul_f32_e32 v7, v2, v1
	v_add_co_u32 v8, vcc_lo, s20, v4
	s_wait_alu 0xfffd
	s_delay_alu instid0(VALU_DEP_4)
	v_add_co_ci_u32_e64 v9, null, s21, v5, vcc_lo
	v_mul_f32_e32 v5, v2, v13
	v_mul_f32_e32 v4, v2, v12
	global_store_b128 v[8:9], v[4:7], off
.LBB37_62:
	s_wait_alu 0xfffe
	s_or_b32 exec_lo, exec_lo, s0
	s_delay_alu instid0(SALU_CYCLE_1)
	s_and_b32 exec_lo, exec_lo, s4
	s_cbranch_execz .LBB37_64
; %bb.63:
	v_ashrrev_i32_e32 v1, 31, v0
	v_mov_b32_e32 v10, v3
	s_delay_alu instid0(VALU_DEP_2) | instskip(NEXT) | instid1(VALU_DEP_1)
	v_lshlrev_b64_e32 v[0:1], 3, v[0:1]
	v_add_co_u32 v0, vcc_lo, s22, v0
	s_wait_alu 0xfffd
	s_delay_alu instid0(VALU_DEP_2)
	v_add_co_ci_u32_e64 v1, null, s23, v1, vcc_lo
	global_store_b64 v[0:1], v[10:11], off
.LBB37_64:
	s_nop 0
	s_sendmsg sendmsg(MSG_DEALLOC_VGPRS)
	s_endpgm
	.section	.rodata,"a",@progbits
	.p2align	6, 0x0
	.amdhsa_kernel _ZL15flash_attn_tileILi96ELi96ELi16ELi2ELb0EEvPKcS1_S1_S1_S1_PKiPfP15HIP_vector_typeIfLj2EEffffjfiS5_IjLj3EEiiiiiiiiiiiliiliiiiil
		.amdhsa_group_segment_fixed_size 11904
		.amdhsa_private_segment_fixed_size 0
		.amdhsa_kernarg_size 464
		.amdhsa_user_sgpr_count 2
		.amdhsa_user_sgpr_dispatch_ptr 0
		.amdhsa_user_sgpr_queue_ptr 0
		.amdhsa_user_sgpr_kernarg_segment_ptr 1
		.amdhsa_user_sgpr_dispatch_id 0
		.amdhsa_user_sgpr_private_segment_size 0
		.amdhsa_wavefront_size32 1
		.amdhsa_uses_dynamic_stack 0
		.amdhsa_enable_private_segment 0
		.amdhsa_system_sgpr_workgroup_id_x 1
		.amdhsa_system_sgpr_workgroup_id_y 1
		.amdhsa_system_sgpr_workgroup_id_z 1
		.amdhsa_system_sgpr_workgroup_info 0
		.amdhsa_system_vgpr_workitem_id 1
		.amdhsa_next_free_vgpr 155
		.amdhsa_next_free_sgpr 50
		.amdhsa_reserve_vcc 1
		.amdhsa_float_round_mode_32 0
		.amdhsa_float_round_mode_16_64 0
		.amdhsa_float_denorm_mode_32 3
		.amdhsa_float_denorm_mode_16_64 3
		.amdhsa_fp16_overflow 0
		.amdhsa_workgroup_processor_mode 1
		.amdhsa_memory_ordered 1
		.amdhsa_forward_progress 1
		.amdhsa_inst_pref_size 104
		.amdhsa_round_robin_scheduling 0
		.amdhsa_exception_fp_ieee_invalid_op 0
		.amdhsa_exception_fp_denorm_src 0
		.amdhsa_exception_fp_ieee_div_zero 0
		.amdhsa_exception_fp_ieee_overflow 0
		.amdhsa_exception_fp_ieee_underflow 0
		.amdhsa_exception_fp_ieee_inexact 0
		.amdhsa_exception_int_div_zero 0
	.end_amdhsa_kernel
	.section	.text._ZL15flash_attn_tileILi96ELi96ELi16ELi2ELb0EEvPKcS1_S1_S1_S1_PKiPfP15HIP_vector_typeIfLj2EEffffjfiS5_IjLj3EEiiiiiiiiiiiliiliiiiil,"axG",@progbits,_ZL15flash_attn_tileILi96ELi96ELi16ELi2ELb0EEvPKcS1_S1_S1_S1_PKiPfP15HIP_vector_typeIfLj2EEffffjfiS5_IjLj3EEiiiiiiiiiiiliiliiiiil,comdat
.Lfunc_end37:
	.size	_ZL15flash_attn_tileILi96ELi96ELi16ELi2ELb0EEvPKcS1_S1_S1_S1_PKiPfP15HIP_vector_typeIfLj2EEffffjfiS5_IjLj3EEiiiiiiiiiiiliiliiiiil, .Lfunc_end37-_ZL15flash_attn_tileILi96ELi96ELi16ELi2ELb0EEvPKcS1_S1_S1_S1_PKiPfP15HIP_vector_typeIfLj2EEffffjfiS5_IjLj3EEiiiiiiiiiiiliiliiiiil
                                        ; -- End function
	.set _ZL15flash_attn_tileILi96ELi96ELi16ELi2ELb0EEvPKcS1_S1_S1_S1_PKiPfP15HIP_vector_typeIfLj2EEffffjfiS5_IjLj3EEiiiiiiiiiiiliiliiiiil.num_vgpr, 155
	.set _ZL15flash_attn_tileILi96ELi96ELi16ELi2ELb0EEvPKcS1_S1_S1_S1_PKiPfP15HIP_vector_typeIfLj2EEffffjfiS5_IjLj3EEiiiiiiiiiiiliiliiiiil.num_agpr, 0
	.set _ZL15flash_attn_tileILi96ELi96ELi16ELi2ELb0EEvPKcS1_S1_S1_S1_PKiPfP15HIP_vector_typeIfLj2EEffffjfiS5_IjLj3EEiiiiiiiiiiiliiliiiiil.numbered_sgpr, 50
	.set _ZL15flash_attn_tileILi96ELi96ELi16ELi2ELb0EEvPKcS1_S1_S1_S1_PKiPfP15HIP_vector_typeIfLj2EEffffjfiS5_IjLj3EEiiiiiiiiiiiliiliiiiil.num_named_barrier, 0
	.set _ZL15flash_attn_tileILi96ELi96ELi16ELi2ELb0EEvPKcS1_S1_S1_S1_PKiPfP15HIP_vector_typeIfLj2EEffffjfiS5_IjLj3EEiiiiiiiiiiiliiliiiiil.private_seg_size, 0
	.set _ZL15flash_attn_tileILi96ELi96ELi16ELi2ELb0EEvPKcS1_S1_S1_S1_PKiPfP15HIP_vector_typeIfLj2EEffffjfiS5_IjLj3EEiiiiiiiiiiiliiliiiiil.uses_vcc, 1
	.set _ZL15flash_attn_tileILi96ELi96ELi16ELi2ELb0EEvPKcS1_S1_S1_S1_PKiPfP15HIP_vector_typeIfLj2EEffffjfiS5_IjLj3EEiiiiiiiiiiiliiliiiiil.uses_flat_scratch, 0
	.set _ZL15flash_attn_tileILi96ELi96ELi16ELi2ELb0EEvPKcS1_S1_S1_S1_PKiPfP15HIP_vector_typeIfLj2EEffffjfiS5_IjLj3EEiiiiiiiiiiiliiliiiiil.has_dyn_sized_stack, 0
	.set _ZL15flash_attn_tileILi96ELi96ELi16ELi2ELb0EEvPKcS1_S1_S1_S1_PKiPfP15HIP_vector_typeIfLj2EEffffjfiS5_IjLj3EEiiiiiiiiiiiliiliiiiil.has_recursion, 0
	.set _ZL15flash_attn_tileILi96ELi96ELi16ELi2ELb0EEvPKcS1_S1_S1_S1_PKiPfP15HIP_vector_typeIfLj2EEffffjfiS5_IjLj3EEiiiiiiiiiiiliiliiiiil.has_indirect_call, 0
	.section	.AMDGPU.csdata,"",@progbits
; Kernel info:
; codeLenInByte = 13312
; TotalNumSgprs: 52
; NumVgprs: 155
; ScratchSize: 0
; MemoryBound: 0
; FloatMode: 240
; IeeeMode: 1
; LDSByteSize: 11904 bytes/workgroup (compile time only)
; SGPRBlocks: 0
; VGPRBlocks: 19
; NumSGPRsForWavesPerEU: 52
; NumVGPRsForWavesPerEU: 155
; Occupancy: 9
; WaveLimiterHint : 1
; COMPUTE_PGM_RSRC2:SCRATCH_EN: 0
; COMPUTE_PGM_RSRC2:USER_SGPR: 2
; COMPUTE_PGM_RSRC2:TRAP_HANDLER: 0
; COMPUTE_PGM_RSRC2:TGID_X_EN: 1
; COMPUTE_PGM_RSRC2:TGID_Y_EN: 1
; COMPUTE_PGM_RSRC2:TGID_Z_EN: 1
; COMPUTE_PGM_RSRC2:TIDIG_COMP_CNT: 1
	.section	.text._ZL33flash_attn_stream_k_fixup_uniformILi96ELi16ELi2EEvPfPK15HIP_vector_typeIfLj2EEiiiiiiS1_IjLj3EES5_S5_,"axG",@progbits,_ZL33flash_attn_stream_k_fixup_uniformILi96ELi16ELi2EEvPfPK15HIP_vector_typeIfLj2EEiiiiiiS1_IjLj3EES5_S5_,comdat
	.globl	_ZL33flash_attn_stream_k_fixup_uniformILi96ELi16ELi2EEvPfPK15HIP_vector_typeIfLj2EEiiiiiiS1_IjLj3EES5_S5_ ; -- Begin function _ZL33flash_attn_stream_k_fixup_uniformILi96ELi16ELi2EEvPfPK15HIP_vector_typeIfLj2EEiiiiiiS1_IjLj3EES5_S5_
	.p2align	8
	.type	_ZL33flash_attn_stream_k_fixup_uniformILi96ELi16ELi2EEvPfPK15HIP_vector_typeIfLj2EEiiiiiiS1_IjLj3EES5_S5_,@function
_ZL33flash_attn_stream_k_fixup_uniformILi96ELi16ELi2EEvPfPK15HIP_vector_typeIfLj2EEiiiiiiS1_IjLj3EES5_S5_: ; @_ZL33flash_attn_stream_k_fixup_uniformILi96ELi16ELi2EEvPfPK15HIP_vector_typeIfLj2EEiiiiiiS1_IjLj3EES5_S5_
; %bb.0:
	s_clause 0x1
	s_load_b256 s[4:11], s[0:1], 0x1c
	s_load_b128 s[12:15], s[0:1], 0x3c
	s_wait_kmcnt 0x0
	s_mul_hi_u32 s2, s7, ttmp9
	s_delay_alu instid0(SALU_CYCLE_1) | instskip(NEXT) | instid1(SALU_CYCLE_1)
	s_add_co_i32 s2, ttmp9, s2
	s_lshr_b32 s2, s2, s8
	s_delay_alu instid0(SALU_CYCLE_1) | instskip(SKIP_2) | instid1(SALU_CYCLE_1)
	s_mul_i32 s3, s2, s9
	s_load_b64 s[8:9], s[0:1], 0x10
	s_sub_co_i32 s3, ttmp9, s3
	s_mul_hi_u32 s7, s3, s10
	s_delay_alu instid0(SALU_CYCLE_1) | instskip(NEXT) | instid1(SALU_CYCLE_1)
	s_add_co_i32 s7, s3, s7
	s_lshr_b32 s7, s7, s11
	s_lshr_b32 s11, ttmp7, 16
	s_mul_i32 s10, s7, s12
	s_delay_alu instid0(SALU_CYCLE_1) | instskip(NEXT) | instid1(SALU_CYCLE_1)
	s_sub_co_i32 s3, s3, s10
	s_mul_hi_u32 s10, s3, s13
	s_delay_alu instid0(SALU_CYCLE_1) | instskip(NEXT) | instid1(SALU_CYCLE_1)
	s_add_co_i32 s10, s3, s10
	s_lshr_b32 s13, s10, s14
	s_delay_alu instid0(SALU_CYCLE_1) | instskip(SKIP_4) | instid1(SALU_CYCLE_1)
	s_mul_i32 s10, s13, s15
	s_lshl_b32 s13, s13, 1
	s_sub_co_i32 s12, s3, s10
	s_and_b32 s10, ttmp7, 0xffff
	s_lshl_b32 s3, s12, 4
	s_add_co_i32 s3, s3, s10
	s_wait_kmcnt 0x0
	s_cmp_lt_i32 s3, s8
	s_cselect_b32 s3, -1, 0
	s_add_co_i32 s13, s13, s11
	s_delay_alu instid0(SALU_CYCLE_1) | instskip(SKIP_1) | instid1(SALU_CYCLE_1)
	s_cmp_lt_i32 s13, s5
	s_cselect_b32 s14, -1, 0
	s_and_b32 s3, s3, s14
	s_delay_alu instid0(SALU_CYCLE_1)
	s_and_not1_b32 vcc_lo, exec_lo, s3
	s_cbranch_vccnz .LBB38_6
; %bb.1:
	s_mul_i32 s8, s2, s8
	s_mul_i32 s7, s7, s5
	s_add_co_i32 s8, s8, s10
	s_add_co_i32 s5, s13, s7
	s_mul_i32 s8, s8, s9
	s_load_b128 s[0:3], s[0:1], 0x0
	s_mul_i32 s7, s9, s12
	s_add_co_i32 s5, s5, s8
	s_mulk_i32 s7, 0x600
	s_mulk_i32 s5, 0x60
	s_mul_i32 s8, s6, ttmp9
	v_add3_u32 v1, s5, s7, v0
	s_lshl_b32 s5, s10, 1
	s_add_co_i32 s9, s8, s6
	s_delay_alu instid0(SALU_CYCLE_1) | instskip(NEXT) | instid1(VALU_DEP_1)
	s_add_co_i32 s7, s9, -2
	v_ashrrev_i32_e32 v2, 31, v1
	s_delay_alu instid0(VALU_DEP_1) | instskip(SKIP_1) | instid1(VALU_DEP_1)
	v_lshlrev_b64_e32 v[1:2], 2, v[1:2]
	s_wait_kmcnt 0x0
	v_add_co_u32 v1, vcc_lo, s0, v1
	s_delay_alu instid0(VALU_DEP_1)
	v_add_co_ci_u32_e64 v2, null, s1, v2, vcc_lo
	s_wait_alu 0xfffe
	s_add_co_i32 s0, s5, s11
	s_lshl_b32 s1, s9, 5
	global_load_b32 v5, v[1:2], off
	s_wait_alu 0xfffe
	s_add_co_i32 s0, s0, s1
	s_wait_alu 0xfffe
	s_sub_co_i32 s0, s0, 32
	s_wait_alu 0xfffe
	s_ashr_i32 s1, s0, 31
	s_wait_alu 0xfffe
	s_lshl_b64 s[0:1], s[0:1], 3
	s_cmp_lt_i32 s7, s8
	s_wait_alu 0xfffe
	s_add_nc_u64 s[0:1], s[2:3], s[0:1]
	s_load_b32 s12, s[0:1], 0x4
	s_cbranch_scc1 .LBB38_4
; %bb.2:
	s_load_b32 s0, s[0:1], 0x0
	s_add_co_i32 s1, ttmp9, 1
	s_mulk_i32 s10, 0xc0
	s_wait_alu 0xfffe
	s_mul_i32 s1, s6, s1
	s_lshl_b32 s14, s4, 7
	s_wait_alu 0xfffe
	s_lshl_b32 s13, s1, 5
	s_mulk_i32 s1, 0xc00
	s_add_co_i32 s13, s11, s13
	s_mulk_i32 s11, 0x60
	s_lshl_b32 s4, s4, 5
	s_add_co_i32 s10, s11, s10
	s_ashr_i32 s15, s14, 31
	s_wait_alu 0xfffe
	s_add_co_i32 s10, s10, s1
	s_add_co_i32 s1, s13, s4
	v_add3_u32 v3, s10, v0, 0xffffe800
	s_wait_kmcnt 0x0
	v_mov_b32_e32 v6, s12
	s_lshl_b64 s[6:7], s[14:15], 2
	s_wait_alu 0xfffe
	s_add_co_i32 s4, s1, s5
	s_add_nc_u64 s[6:7], s[2:3], s[6:7]
	s_add_co_i32 s1, s9, -1
	s_wait_alu 0xfffe
	s_sub_co_i32 s4, s4, 64
.LBB38_3:                               ; =>This Inner Loop Header: Depth=1
	v_ashrrev_i32_e32 v4, 31, v3
	s_wait_alu 0xfffe
	s_ashr_i32 s5, s4, 31
	v_mov_b32_e32 v10, v6
	s_wait_alu 0xfffe
	s_lshl_b64 s[10:11], s[4:5], 3
	s_wait_loadcnt 0x0
	v_mov_b32_e32 v9, v5
	v_lshlrev_b64_e32 v[7:8], 2, v[3:4]
	s_wait_alu 0xfffe
	s_add_nc_u64 s[10:11], s[2:3], s[10:11]
	v_max_num_f32_e64 v4, s0, s0
	s_load_b64 s[10:11], s[10:11], 0x0
	v_add_nc_u32_e32 v3, 0xfffff400, v3
	v_add_co_u32 v7, vcc_lo, s6, v7
	s_wait_alu 0xfffd
	v_add_co_ci_u32_e64 v8, null, s7, v8, vcc_lo
	v_readfirstlane_b32 s5, v4
	global_load_b32 v0, v[7:8], off
	s_wait_kmcnt 0x0
	v_max_num_f32_e64 v4, s10, s10
	s_delay_alu instid0(VALU_DEP_1) | instskip(SKIP_2) | instid1(SALU_CYCLE_2)
	v_readfirstlane_b32 s9, v4
	s_max_num_f32 s5, s5, s9
	s_wait_alu 0xfffe
	s_sub_f32 s0, s0, s5
	s_sub_f32 s9, s10, s5
	s_wait_alu 0xfffe
	s_delay_alu instid0(SALU_CYCLE_1) | instskip(NEXT) | instid1(SALU_CYCLE_1)
	s_mul_f32 s10, s0, 0x3fb8aa3b
	s_mul_f32 s12, s9, 0x3fb8aa3b
	s_wait_alu 0xfffe
	s_delay_alu instid0(SALU_CYCLE_1)
	s_xor_b32 s13, s10, 0x80000000
	s_rndne_f32 s14, s10
	s_wait_alu 0xfffe
	s_fmamk_f32 s13, s0, 0x3fb8aa3b, s13
	s_cmp_nlt_f32 s0, 0xc2ce8ed0
	s_rndne_f32 s15, s12
	s_sub_f32 s10, s10, s14
	s_wait_alu 0xfffe
	s_fmamk_f32 s13, s0, 0x32a5705f, s13
	s_cvt_i32_f32 s14, s14
	s_cselect_b32 vcc_lo, -1, 0
	s_cmp_ngt_f32 s0, 0x42b17218
	s_wait_alu 0xfffe
	s_add_f32 s10, s10, s13
	s_sub_f32 s13, s12, s15
	s_wait_alu 0xfffe
	s_delay_alu instid0(SALU_CYCLE_1) | instskip(SKIP_1) | instid1(TRANS32_DEP_1)
	v_s_exp_f32 s10, s10
	s_wait_alu 0xf1ff
	v_ldexp_f32 v4, s10, s14
	s_cvt_i32_f32 s10, s15
	s_delay_alu instid0(VALU_DEP_1) | instskip(SKIP_3) | instid1(VALU_DEP_1)
	v_cndmask_b32_e32 v4, 0, v4, vcc_lo
	s_cselect_b32 vcc_lo, -1, 0
	s_cmp_ge_f32 s0, 0xc1a00000
	s_wait_alu 0xfffe
	v_cndmask_b32_e32 v4, 0x7f800000, v4, vcc_lo
	s_cselect_b32 vcc_lo, -1, 0
	s_xor_b32 s0, s12, 0x80000000
	s_cmp_nlt_f32 s9, 0xc2ce8ed0
	s_wait_alu 0xfffe
	s_fmamk_f32 s0, s9, 0x3fb8aa3b, s0
	s_wait_alu 0xfffe
	s_delay_alu instid0(SALU_CYCLE_2) | instskip(SKIP_1) | instid1(SALU_CYCLE_2)
	s_fmamk_f32 s0, s9, 0x32a5705f, s0
	s_wait_alu 0xfffe
	s_add_f32 s0, s13, s0
	s_wait_alu 0xfffe
	s_delay_alu instid0(SALU_CYCLE_2) | instskip(SKIP_1) | instid1(TRANS32_DEP_1)
	v_s_exp_f32 s0, s0
	s_wait_alu 0xf1ff
	v_ldexp_f32 v7, s0, s10
	s_cselect_b32 s0, -1, 0
	s_cmp_ngt_f32 s9, 0x42b17218
	s_wait_alu 0xfffe
	s_delay_alu instid0(VALU_DEP_1) | instskip(SKIP_3) | instid1(VALU_DEP_1)
	v_cndmask_b32_e64 v7, 0, v7, s0
	s_cselect_b32 s0, -1, 0
	s_cmp_ge_f32 s9, 0xc1a00000
	s_wait_alu 0xfffe
	v_cndmask_b32_e64 v7, 0x7f800000, v7, s0
	s_cselect_b32 s0, -1, 0
	s_add_co_i32 s1, s1, -1
	s_sub_co_i32 s4, s4, 32
	s_wait_alu 0xfffe
	s_cmp_le_i32 s1, s8
	v_cndmask_b32_e64 v7, 0, v7, s0
	s_mov_b32 s0, s5
	s_wait_loadcnt 0x0
	s_delay_alu instid0(VALU_DEP_1) | instskip(NEXT) | instid1(VALU_DEP_1)
	v_dual_mul_f32 v5, v0, v7 :: v_dual_cndmask_b32 v4, 0, v4
	v_dual_mul_f32 v8, s11, v7 :: v_dual_fmac_f32 v5, v9, v4
	s_delay_alu instid0(VALU_DEP_1) | instskip(NEXT) | instid1(VALU_DEP_1)
	v_mov_b32_e32 v6, v8
	v_fmac_f32_e32 v6, v10, v4
	s_cbranch_scc0 .LBB38_3
	s_branch .LBB38_5
.LBB38_4:
	s_wait_kmcnt 0x0
	v_mov_b32_e32 v6, s12
.LBB38_5:
	s_wait_loadcnt 0x0
	s_delay_alu instid0(VALU_DEP_1) | instskip(NEXT) | instid1(VALU_DEP_1)
	v_div_scale_f32 v0, null, v6, v6, v5
	v_rcp_f32_e32 v3, v0
	s_delay_alu instid0(TRANS32_DEP_1) | instskip(NEXT) | instid1(VALU_DEP_1)
	v_fma_f32 v4, -v0, v3, 1.0
	v_fmac_f32_e32 v3, v4, v3
	v_div_scale_f32 v4, vcc_lo, v5, v6, v5
	s_delay_alu instid0(VALU_DEP_1) | instskip(NEXT) | instid1(VALU_DEP_1)
	v_mul_f32_e32 v7, v4, v3
	v_fma_f32 v8, -v0, v7, v4
	s_delay_alu instid0(VALU_DEP_1) | instskip(NEXT) | instid1(VALU_DEP_1)
	v_fmac_f32_e32 v7, v8, v3
	v_fma_f32 v0, -v0, v7, v4
	s_wait_alu 0xfffd
	s_delay_alu instid0(VALU_DEP_1) | instskip(NEXT) | instid1(VALU_DEP_1)
	v_div_fmas_f32 v0, v0, v3, v7
	v_div_fixup_f32 v0, v0, v6, v5
	global_store_b32 v[1:2], v0, off
.LBB38_6:
	s_endpgm
	.section	.rodata,"a",@progbits
	.p2align	6, 0x0
	.amdhsa_kernel _ZL33flash_attn_stream_k_fixup_uniformILi96ELi16ELi2EEvPfPK15HIP_vector_typeIfLj2EEiiiiiiS1_IjLj3EES5_S5_
		.amdhsa_group_segment_fixed_size 0
		.amdhsa_private_segment_fixed_size 0
		.amdhsa_kernarg_size 76
		.amdhsa_user_sgpr_count 2
		.amdhsa_user_sgpr_dispatch_ptr 0
		.amdhsa_user_sgpr_queue_ptr 0
		.amdhsa_user_sgpr_kernarg_segment_ptr 1
		.amdhsa_user_sgpr_dispatch_id 0
		.amdhsa_user_sgpr_private_segment_size 0
		.amdhsa_wavefront_size32 1
		.amdhsa_uses_dynamic_stack 0
		.amdhsa_enable_private_segment 0
		.amdhsa_system_sgpr_workgroup_id_x 1
		.amdhsa_system_sgpr_workgroup_id_y 1
		.amdhsa_system_sgpr_workgroup_id_z 1
		.amdhsa_system_sgpr_workgroup_info 0
		.amdhsa_system_vgpr_workitem_id 0
		.amdhsa_next_free_vgpr 11
		.amdhsa_next_free_sgpr 16
		.amdhsa_reserve_vcc 1
		.amdhsa_float_round_mode_32 0
		.amdhsa_float_round_mode_16_64 0
		.amdhsa_float_denorm_mode_32 3
		.amdhsa_float_denorm_mode_16_64 3
		.amdhsa_fp16_overflow 0
		.amdhsa_workgroup_processor_mode 1
		.amdhsa_memory_ordered 1
		.amdhsa_forward_progress 1
		.amdhsa_inst_pref_size 9
		.amdhsa_round_robin_scheduling 0
		.amdhsa_exception_fp_ieee_invalid_op 0
		.amdhsa_exception_fp_denorm_src 0
		.amdhsa_exception_fp_ieee_div_zero 0
		.amdhsa_exception_fp_ieee_overflow 0
		.amdhsa_exception_fp_ieee_underflow 0
		.amdhsa_exception_fp_ieee_inexact 0
		.amdhsa_exception_int_div_zero 0
	.end_amdhsa_kernel
	.section	.text._ZL33flash_attn_stream_k_fixup_uniformILi96ELi16ELi2EEvPfPK15HIP_vector_typeIfLj2EEiiiiiiS1_IjLj3EES5_S5_,"axG",@progbits,_ZL33flash_attn_stream_k_fixup_uniformILi96ELi16ELi2EEvPfPK15HIP_vector_typeIfLj2EEiiiiiiS1_IjLj3EES5_S5_,comdat
.Lfunc_end38:
	.size	_ZL33flash_attn_stream_k_fixup_uniformILi96ELi16ELi2EEvPfPK15HIP_vector_typeIfLj2EEiiiiiiS1_IjLj3EES5_S5_, .Lfunc_end38-_ZL33flash_attn_stream_k_fixup_uniformILi96ELi16ELi2EEvPfPK15HIP_vector_typeIfLj2EEiiiiiiS1_IjLj3EES5_S5_
                                        ; -- End function
	.set _ZL33flash_attn_stream_k_fixup_uniformILi96ELi16ELi2EEvPfPK15HIP_vector_typeIfLj2EEiiiiiiS1_IjLj3EES5_S5_.num_vgpr, 11
	.set _ZL33flash_attn_stream_k_fixup_uniformILi96ELi16ELi2EEvPfPK15HIP_vector_typeIfLj2EEiiiiiiS1_IjLj3EES5_S5_.num_agpr, 0
	.set _ZL33flash_attn_stream_k_fixup_uniformILi96ELi16ELi2EEvPfPK15HIP_vector_typeIfLj2EEiiiiiiS1_IjLj3EES5_S5_.numbered_sgpr, 16
	.set _ZL33flash_attn_stream_k_fixup_uniformILi96ELi16ELi2EEvPfPK15HIP_vector_typeIfLj2EEiiiiiiS1_IjLj3EES5_S5_.num_named_barrier, 0
	.set _ZL33flash_attn_stream_k_fixup_uniformILi96ELi16ELi2EEvPfPK15HIP_vector_typeIfLj2EEiiiiiiS1_IjLj3EES5_S5_.private_seg_size, 0
	.set _ZL33flash_attn_stream_k_fixup_uniformILi96ELi16ELi2EEvPfPK15HIP_vector_typeIfLj2EEiiiiiiS1_IjLj3EES5_S5_.uses_vcc, 1
	.set _ZL33flash_attn_stream_k_fixup_uniformILi96ELi16ELi2EEvPfPK15HIP_vector_typeIfLj2EEiiiiiiS1_IjLj3EES5_S5_.uses_flat_scratch, 0
	.set _ZL33flash_attn_stream_k_fixup_uniformILi96ELi16ELi2EEvPfPK15HIP_vector_typeIfLj2EEiiiiiiS1_IjLj3EES5_S5_.has_dyn_sized_stack, 0
	.set _ZL33flash_attn_stream_k_fixup_uniformILi96ELi16ELi2EEvPfPK15HIP_vector_typeIfLj2EEiiiiiiS1_IjLj3EES5_S5_.has_recursion, 0
	.set _ZL33flash_attn_stream_k_fixup_uniformILi96ELi16ELi2EEvPfPK15HIP_vector_typeIfLj2EEiiiiiiS1_IjLj3EES5_S5_.has_indirect_call, 0
	.section	.AMDGPU.csdata,"",@progbits
; Kernel info:
; codeLenInByte = 1148
; TotalNumSgprs: 18
; NumVgprs: 11
; ScratchSize: 0
; MemoryBound: 0
; FloatMode: 240
; IeeeMode: 1
; LDSByteSize: 0 bytes/workgroup (compile time only)
; SGPRBlocks: 0
; VGPRBlocks: 1
; NumSGPRsForWavesPerEU: 18
; NumVGPRsForWavesPerEU: 11
; Occupancy: 16
; WaveLimiterHint : 0
; COMPUTE_PGM_RSRC2:SCRATCH_EN: 0
; COMPUTE_PGM_RSRC2:USER_SGPR: 2
; COMPUTE_PGM_RSRC2:TRAP_HANDLER: 0
; COMPUTE_PGM_RSRC2:TGID_X_EN: 1
; COMPUTE_PGM_RSRC2:TGID_Y_EN: 1
; COMPUTE_PGM_RSRC2:TGID_Z_EN: 1
; COMPUTE_PGM_RSRC2:TIDIG_COMP_CNT: 0
	.section	.text._ZL33flash_attn_stream_k_fixup_generalILi96ELi16ELi2EEvPfPK15HIP_vector_typeIfLj2EEiiiiS1_IjLj3EES5_S5_S5_,"axG",@progbits,_ZL33flash_attn_stream_k_fixup_generalILi96ELi16ELi2EEvPfPK15HIP_vector_typeIfLj2EEiiiiS1_IjLj3EES5_S5_S5_,comdat
	.globl	_ZL33flash_attn_stream_k_fixup_generalILi96ELi16ELi2EEvPfPK15HIP_vector_typeIfLj2EEiiiiS1_IjLj3EES5_S5_S5_ ; -- Begin function _ZL33flash_attn_stream_k_fixup_generalILi96ELi16ELi2EEvPfPK15HIP_vector_typeIfLj2EEiiiiS1_IjLj3EES5_S5_S5_
	.p2align	8
	.type	_ZL33flash_attn_stream_k_fixup_generalILi96ELi16ELi2EEvPfPK15HIP_vector_typeIfLj2EEiiiiS1_IjLj3EES5_S5_S5_,@function
_ZL33flash_attn_stream_k_fixup_generalILi96ELi16ELi2EEvPfPK15HIP_vector_typeIfLj2EEiiiiS1_IjLj3EES5_S5_S5_: ; @_ZL33flash_attn_stream_k_fixup_generalILi96ELi16ELi2EEvPfPK15HIP_vector_typeIfLj2EEiiiiS1_IjLj3EES5_S5_S5_
; %bb.0:
	s_clause 0x1
	s_load_b128 s[4:7], s[0:1], 0x10
	s_load_b32 s16, s[0:1], 0x50
	s_mov_b32 s2, ttmp9
	s_ashr_i32 s3, ttmp9, 31
	s_mov_b32 s17, 0
	s_delay_alu instid0(SALU_CYCLE_1) | instskip(SKIP_3) | instid1(SALU_CYCLE_1)
	s_mov_b32 s8, s17
	s_wait_kmcnt 0x0
	s_ashr_i32 s19, s7, 31
	s_mov_b32 s18, s7
	s_mul_u64 s[2:3], s[18:19], s[2:3]
	s_delay_alu instid0(SALU_CYCLE_1) | instskip(NEXT) | instid1(SALU_CYCLE_1)
	s_mov_b32 s9, s3
	s_cmp_lg_u64 s[8:9], 0
	s_cbranch_scc0 .LBB39_21
; %bb.1:
	s_add_nc_u64 s[8:9], s[16:17], 0
	s_mov_b32 s15, s17
	s_xor_b64 s[8:9], s[8:9], 0
	s_mov_b32 s23, s17
	s_cvt_f32_u32 s7, s8
	s_cvt_f32_u32 s10, s9
	s_sub_nc_u64 s[12:13], 0, s[8:9]
	s_delay_alu instid0(SALU_CYCLE_2) | instskip(NEXT) | instid1(SALU_CYCLE_3)
	s_fmamk_f32 s7, s10, 0x4f800000, s7
	v_s_rcp_f32 s7, s7
	s_delay_alu instid0(TRANS32_DEP_1) | instskip(SKIP_1) | instid1(SALU_CYCLE_2)
	s_mul_f32 s7, s7, 0x5f7ffffc
	s_wait_alu 0xfffe
	s_mul_f32 s10, s7, 0x2f800000
	s_delay_alu instid0(SALU_CYCLE_3) | instskip(NEXT) | instid1(SALU_CYCLE_3)
	s_trunc_f32 s10, s10
	s_fmamk_f32 s7, s10, 0xcf800000, s7
	s_cvt_u32_f32 s11, s10
	s_wait_alu 0xfffe
	s_delay_alu instid0(SALU_CYCLE_1) | instskip(NEXT) | instid1(SALU_CYCLE_3)
	s_cvt_u32_f32 s10, s7
	s_mul_u64 s[20:21], s[12:13], s[10:11]
	s_delay_alu instid0(SALU_CYCLE_1)
	s_mul_hi_u32 s25, s10, s21
	s_mul_i32 s24, s10, s21
	s_mul_hi_u32 s14, s10, s20
	s_mul_i32 s22, s11, s20
	s_add_nc_u64 s[14:15], s[14:15], s[24:25]
	s_mul_hi_u32 s7, s11, s20
	s_mul_hi_u32 s26, s11, s21
	s_add_co_u32 s14, s14, s22
	s_wait_alu 0xfffe
	s_add_co_ci_u32 s22, s15, s7
	s_mul_i32 s20, s11, s21
	s_add_co_ci_u32 s21, s26, 0
	s_delay_alu instid0(SALU_CYCLE_1)
	s_add_nc_u64 s[14:15], s[22:23], s[20:21]
	s_mov_b32 s21, s17
	s_add_co_u32 s10, s10, s14
	s_cselect_b32 s7, -1, 0
	s_wait_alu 0xfffe
	s_cmp_lg_u32 s7, 0
	s_add_co_ci_u32 s11, s11, s15
	s_mov_b32 s15, s17
	s_mul_u64 s[12:13], s[12:13], s[10:11]
	s_delay_alu instid0(SALU_CYCLE_1)
	s_mul_hi_u32 s23, s10, s13
	s_mul_i32 s22, s10, s13
	s_mul_hi_u32 s14, s10, s12
	s_mul_i32 s20, s11, s12
	s_add_nc_u64 s[14:15], s[14:15], s[22:23]
	s_mul_hi_u32 s7, s11, s12
	s_mul_hi_u32 s24, s11, s13
	s_mul_i32 s12, s11, s13
	s_add_co_u32 s13, s14, s20
	s_wait_alu 0xfffe
	s_add_co_ci_u32 s20, s15, s7
	s_add_co_ci_u32 s13, s24, 0
	s_mov_b32 s15, s17
	s_add_nc_u64 s[12:13], s[20:21], s[12:13]
	s_delay_alu instid0(SALU_CYCLE_1) | instskip(SKIP_1) | instid1(SALU_CYCLE_1)
	s_add_co_u32 s7, s10, s12
	s_cselect_b32 s10, -1, 0
	s_cmp_lg_u32 s10, 0
	s_add_co_ci_u32 s20, s11, s13
	s_ashr_i32 s10, s3, 31
	s_delay_alu instid0(SALU_CYCLE_1) | instskip(NEXT) | instid1(SALU_CYCLE_1)
	s_mov_b32 s11, s10
	s_add_nc_u64 s[12:13], s[2:3], s[10:11]
	s_delay_alu instid0(SALU_CYCLE_1) | instskip(NEXT) | instid1(SALU_CYCLE_1)
	s_xor_b64 s[12:13], s[12:13], s[10:11]
	s_mul_hi_u32 s23, s12, s20
	s_mul_i32 s22, s12, s20
	s_wait_alu 0xfffe
	s_mul_hi_u32 s14, s12, s7
	s_mul_hi_u32 s24, s13, s7
	s_mul_i32 s7, s13, s7
	s_add_nc_u64 s[14:15], s[14:15], s[22:23]
	s_mul_hi_u32 s3, s13, s20
	s_wait_alu 0xfffe
	s_add_co_u32 s7, s14, s7
	s_mul_i32 s22, s13, s20
	s_add_co_ci_u32 s20, s15, s24
	s_add_co_ci_u32 s23, s3, 0
	s_delay_alu instid0(SALU_CYCLE_1) | instskip(NEXT) | instid1(SALU_CYCLE_1)
	s_add_nc_u64 s[14:15], s[20:21], s[22:23]
	s_mul_u64 s[20:21], s[8:9], s[14:15]
	s_delay_alu instid0(SALU_CYCLE_1)
	s_sub_co_u32 s3, s12, s20
	s_cselect_b32 s7, -1, 0
	s_sub_co_i32 s12, s13, s21
	s_wait_alu 0xfffe
	s_cmp_lg_u32 s7, 0
	s_sub_co_ci_u32 s12, s12, s9
	s_sub_co_u32 s20, s3, s8
	s_cselect_b32 s22, -1, 0
	s_delay_alu instid0(SALU_CYCLE_1) | instskip(SKIP_2) | instid1(SALU_CYCLE_1)
	s_cmp_lg_u32 s22, 0
	s_add_nc_u64 s[22:23], s[14:15], 1
	s_sub_co_ci_u32 s12, s12, 0
	s_cmp_ge_u32 s12, s9
	s_cselect_b32 s24, -1, 0
	s_cmp_ge_u32 s20, s8
	s_cselect_b32 s20, -1, 0
	s_cmp_eq_u32 s12, s9
	s_cselect_b32 s12, s20, s24
	s_add_nc_u64 s[24:25], s[14:15], 2
	s_cmp_lg_u32 s12, 0
	s_cselect_b32 s12, s24, s22
	s_cselect_b32 s20, s25, s23
	s_cmp_lg_u32 s7, 0
	s_sub_co_ci_u32 s7, s13, s21
	s_wait_alu 0xfffe
	s_cmp_ge_u32 s7, s9
	s_cselect_b32 s13, -1, 0
	s_cmp_ge_u32 s3, s8
	s_cselect_b32 s3, -1, 0
	s_cmp_eq_u32 s7, s9
	s_cselect_b32 s3, s3, s13
	s_delay_alu instid0(SALU_CYCLE_1) | instskip(SKIP_4) | instid1(SALU_CYCLE_1)
	s_cmp_lg_u32 s3, 0
	s_mov_b32 s3, s17
	s_cselect_b32 s9, s20, s15
	s_cselect_b32 s8, s12, s14
	s_xor_b64 s[10:11], s[10:11], 0
	s_xor_b64 s[8:9], s[8:9], s[10:11]
	s_delay_alu instid0(SALU_CYCLE_1)
	s_sub_nc_u64 s[20:21], s[8:9], s[10:11]
	s_and_not1_b32 vcc_lo, exec_lo, s3
	s_cbranch_vccnz .LBB39_3
.LBB39_2:
	v_cvt_f32_u32_e32 v1, s16
	s_sub_co_i32 s7, 0, s16
	s_delay_alu instid0(VALU_DEP_1) | instskip(NEXT) | instid1(TRANS32_DEP_1)
	v_rcp_iflag_f32_e32 v1, v1
	v_mul_f32_e32 v1, 0x4f7ffffe, v1
	s_delay_alu instid0(VALU_DEP_1) | instskip(NEXT) | instid1(VALU_DEP_1)
	v_cvt_u32_f32_e32 v1, v1
	v_readfirstlane_b32 s3, v1
	s_wait_alu 0xfffe
	s_mul_i32 s7, s7, s3
	s_wait_alu 0xfffe
	s_mul_hi_u32 s7, s3, s7
	s_wait_alu 0xfffe
	s_add_co_i32 s3, s3, s7
	s_delay_alu instid0(SALU_CYCLE_1) | instskip(NEXT) | instid1(SALU_CYCLE_1)
	s_mul_hi_u32 s3, s2, s3
	s_mul_i32 s7, s3, s16
	s_wait_alu 0xfffe
	s_sub_co_i32 s2, s2, s7
	s_add_co_i32 s7, s3, 1
	s_sub_co_i32 s8, s2, s16
	s_cmp_ge_u32 s2, s16
	s_wait_alu 0xfffe
	s_cselect_b32 s3, s7, s3
	s_cselect_b32 s2, s8, s2
	s_add_co_i32 s7, s3, 1
	s_cmp_ge_u32 s2, s16
	s_wait_alu 0xfffe
	s_cselect_b32 s20, s7, s3
.LBB39_3:
	s_add_co_i32 s2, ttmp9, 1
	s_mov_b32 s8, 0
	s_ashr_i32 s3, s2, 31
	s_delay_alu instid0(SALU_CYCLE_1) | instskip(NEXT) | instid1(SALU_CYCLE_1)
	s_mul_u64 s[2:3], s[18:19], s[2:3]
	s_mov_b32 s9, s3
	s_delay_alu instid0(SALU_CYCLE_1)
	s_cmp_lg_u64 s[8:9], 0
	s_cbranch_scc0 .LBB39_22
; %bb.4:
	s_add_nc_u64 s[10:11], s[16:17], 0
	s_mov_b32 s23, s8
	s_xor_b64 s[10:11], s[10:11], 0
	s_mov_b32 s27, s8
	s_cvt_f32_u32 s7, s10
	s_cvt_f32_u32 s9, s11
	s_sub_nc_u64 s[14:15], 0, s[10:11]
	s_wait_alu 0xfffe
	s_delay_alu instid0(SALU_CYCLE_1) | instskip(SKIP_1) | instid1(SALU_CYCLE_2)
	s_fmamk_f32 s7, s9, 0x4f800000, s7
	s_wait_alu 0xfffe
	v_s_rcp_f32 s7, s7
	s_delay_alu instid0(TRANS32_DEP_1) | instskip(SKIP_1) | instid1(SALU_CYCLE_2)
	s_mul_f32 s7, s7, 0x5f7ffffc
	s_wait_alu 0xfffe
	s_mul_f32 s9, s7, 0x2f800000
	s_delay_alu instid0(SALU_CYCLE_3) | instskip(NEXT) | instid1(SALU_CYCLE_3)
	s_trunc_f32 s9, s9
	s_fmamk_f32 s7, s9, 0xcf800000, s7
	s_cvt_u32_f32 s13, s9
	s_wait_alu 0xfffe
	s_delay_alu instid0(SALU_CYCLE_1) | instskip(NEXT) | instid1(SALU_CYCLE_3)
	s_cvt_u32_f32 s12, s7
	s_mul_u64 s[24:25], s[14:15], s[12:13]
	s_delay_alu instid0(SALU_CYCLE_1)
	s_mul_hi_u32 s29, s12, s25
	s_mul_i32 s28, s12, s25
	s_mul_hi_u32 s22, s12, s24
	s_mul_i32 s9, s13, s24
	s_add_nc_u64 s[22:23], s[22:23], s[28:29]
	s_mul_hi_u32 s7, s13, s24
	s_mul_hi_u32 s21, s13, s25
	s_add_co_u32 s9, s22, s9
	s_wait_alu 0xfffe
	s_add_co_ci_u32 s26, s23, s7
	s_mul_i32 s24, s13, s25
	s_add_co_ci_u32 s25, s21, 0
	s_delay_alu instid0(SALU_CYCLE_1)
	s_add_nc_u64 s[22:23], s[26:27], s[24:25]
	s_mov_b32 s25, s8
	s_add_co_u32 s12, s12, s22
	s_cselect_b32 s7, -1, 0
	s_wait_alu 0xfffe
	s_cmp_lg_u32 s7, 0
	s_add_co_ci_u32 s13, s13, s23
	s_mov_b32 s23, s8
	s_mul_u64 s[14:15], s[14:15], s[12:13]
	s_delay_alu instid0(SALU_CYCLE_1)
	s_mul_hi_u32 s27, s12, s15
	s_mul_i32 s26, s12, s15
	s_mul_hi_u32 s22, s12, s14
	s_mul_i32 s9, s13, s14
	s_add_nc_u64 s[22:23], s[22:23], s[26:27]
	s_mul_hi_u32 s7, s13, s14
	s_mul_hi_u32 s21, s13, s15
	s_add_co_u32 s9, s22, s9
	s_wait_alu 0xfffe
	s_add_co_ci_u32 s24, s23, s7
	s_mul_i32 s14, s13, s15
	s_add_co_ci_u32 s15, s21, 0
	s_mov_b32 s23, s8
	s_add_nc_u64 s[14:15], s[24:25], s[14:15]
	s_delay_alu instid0(SALU_CYCLE_1) | instskip(SKIP_1) | instid1(SALU_CYCLE_1)
	s_add_co_u32 s7, s12, s14
	s_cselect_b32 s9, -1, 0
	s_cmp_lg_u32 s9, 0
	s_add_co_ci_u32 s9, s13, s15
	s_ashr_i32 s12, s3, 31
	s_delay_alu instid0(SALU_CYCLE_1) | instskip(NEXT) | instid1(SALU_CYCLE_1)
	s_mov_b32 s13, s12
	s_add_nc_u64 s[14:15], s[2:3], s[12:13]
	s_delay_alu instid0(SALU_CYCLE_1) | instskip(NEXT) | instid1(SALU_CYCLE_1)
	s_xor_b64 s[14:15], s[14:15], s[12:13]
	s_mul_hi_u32 s27, s14, s9
	s_mul_i32 s26, s14, s9
	s_wait_alu 0xfffe
	s_mul_hi_u32 s22, s14, s7
	s_mul_hi_u32 s21, s15, s7
	s_mul_i32 s7, s15, s7
	s_add_nc_u64 s[22:23], s[22:23], s[26:27]
	s_mul_hi_u32 s3, s15, s9
	s_wait_alu 0xfffe
	s_add_co_u32 s7, s22, s7
	s_add_co_ci_u32 s24, s23, s21
	s_mul_i32 s26, s15, s9
	s_add_co_ci_u32 s27, s3, 0
	s_delay_alu instid0(SALU_CYCLE_1) | instskip(NEXT) | instid1(SALU_CYCLE_1)
	s_add_nc_u64 s[22:23], s[24:25], s[26:27]
	s_mul_u64 s[24:25], s[10:11], s[22:23]
	s_add_nc_u64 s[26:27], s[22:23], 1
	s_sub_co_u32 s3, s14, s24
	s_cselect_b32 s7, -1, 0
	s_sub_co_i32 s9, s15, s25
	s_wait_alu 0xfffe
	s_cmp_lg_u32 s7, 0
	s_add_nc_u64 s[28:29], s[22:23], 2
	s_sub_co_ci_u32 s9, s9, s11
	s_sub_co_u32 s14, s3, s10
	s_cselect_b32 s21, -1, 0
	s_delay_alu instid0(SALU_CYCLE_1) | instskip(SKIP_1) | instid1(SALU_CYCLE_1)
	s_cmp_lg_u32 s21, 0
	s_sub_co_ci_u32 s9, s9, 0
	s_cmp_ge_u32 s9, s11
	s_cselect_b32 s21, -1, 0
	s_cmp_ge_u32 s14, s10
	s_cselect_b32 s14, -1, 0
	s_cmp_eq_u32 s9, s11
	s_cselect_b32 s9, s14, s21
	s_delay_alu instid0(SALU_CYCLE_1)
	s_cmp_lg_u32 s9, 0
	s_cselect_b32 s9, s28, s26
	s_cselect_b32 s14, s29, s27
	s_cmp_lg_u32 s7, 0
	s_sub_co_ci_u32 s7, s15, s25
	s_wait_alu 0xfffe
	s_cmp_ge_u32 s7, s11
	s_cselect_b32 s15, -1, 0
	s_cmp_ge_u32 s3, s10
	s_cselect_b32 s3, -1, 0
	s_cmp_eq_u32 s7, s11
	s_cselect_b32 s3, s3, s15
	s_delay_alu instid0(SALU_CYCLE_1) | instskip(SKIP_3) | instid1(SALU_CYCLE_1)
	s_cmp_lg_u32 s3, 0
	s_cselect_b32 s11, s14, s23
	s_cselect_b32 s10, s9, s22
	s_xor_b64 s[12:13], s[12:13], 0
	s_xor_b64 s[10:11], s[10:11], s[12:13]
	s_delay_alu instid0(SALU_CYCLE_1)
	s_sub_nc_u64 s[10:11], s[10:11], s[12:13]
	s_load_b96 s[12:14], s[0:1], 0x44
	s_and_not1_b32 vcc_lo, exec_lo, s8
	s_cbranch_vccnz .LBB39_6
.LBB39_5:
	v_cvt_f32_u32_e32 v1, s16
	s_sub_co_i32 s7, 0, s16
	s_delay_alu instid0(VALU_DEP_1) | instskip(NEXT) | instid1(TRANS32_DEP_1)
	v_rcp_iflag_f32_e32 v1, v1
	v_mul_f32_e32 v1, 0x4f7ffffe, v1
	s_delay_alu instid0(VALU_DEP_1) | instskip(NEXT) | instid1(VALU_DEP_1)
	v_cvt_u32_f32_e32 v1, v1
	v_readfirstlane_b32 s3, v1
	s_wait_alu 0xfffe
	s_mul_i32 s7, s7, s3
	s_wait_alu 0xfffe
	s_mul_hi_u32 s7, s3, s7
	s_wait_alu 0xfffe
	s_add_co_i32 s3, s3, s7
	s_delay_alu instid0(SALU_CYCLE_1) | instskip(NEXT) | instid1(SALU_CYCLE_1)
	s_mul_hi_u32 s3, s2, s3
	s_mul_i32 s7, s3, s16
	s_wait_alu 0xfffe
	s_sub_co_i32 s2, s2, s7
	s_add_co_i32 s7, s3, 1
	s_sub_co_i32 s8, s2, s16
	s_cmp_ge_u32 s2, s16
	s_wait_alu 0xfffe
	s_cselect_b32 s3, s7, s3
	s_cselect_b32 s2, s8, s2
	s_add_co_i32 s7, s3, 1
	s_cmp_ge_u32 s2, s16
	s_wait_alu 0xfffe
	s_cselect_b32 s10, s7, s3
.LBB39_6:
	s_mov_b32 s21, 0
	s_wait_kmcnt 0x0
	s_mov_b32 s22, s12
	s_mov_b32 s23, s21
	s_cmp_eq_u32 s20, s10
	s_mul_u64 s[2:3], s[20:21], s[22:23]
	s_cselect_b32 s7, -1, 0
	s_add_co_i32 s2, s3, s20
	s_mov_b32 s11, s21
	s_lshr_b32 s12, s2, s13
	s_mul_u64 s[2:3], s[10:11], s[22:23]
	s_mul_i32 s2, s12, s14
	s_delay_alu instid0(SALU_CYCLE_1) | instskip(SKIP_2) | instid1(SALU_CYCLE_1)
	s_cmp_eq_u32 s2, s20
	s_cselect_b32 s2, -1, 0
	s_add_co_i32 s3, s3, s10
	s_lshr_b32 s3, s3, s13
	s_delay_alu instid0(SALU_CYCLE_1)
	s_cmp_eq_u32 s12, s3
	s_mul_i32 s3, s3, s14
	s_cselect_b32 s8, -1, 0
	s_cmp_lg_u32 s3, s10
	s_cselect_b32 s3, -1, 0
	s_wait_alu 0xfffe
	s_or_b32 s2, s7, s2
	s_and_b32 s3, s8, s3
	s_delay_alu instid0(SALU_CYCLE_1) | instskip(NEXT) | instid1(SALU_CYCLE_1)
	s_or_b32 s2, s2, s3
	s_and_b32 vcc_lo, exec_lo, s2
	s_cbranch_vccnz .LBB39_24
; %bb.7:
	s_load_b256 s[24:31], s[0:1], 0x20
	s_mov_b32 s3, s21
	s_wait_kmcnt 0x0
	s_mov_b32 s2, s24
	s_delay_alu instid0(SALU_CYCLE_1) | instskip(NEXT) | instid1(SALU_CYCLE_1)
	s_mul_u64 s[2:3], s[20:21], s[2:3]
	s_add_co_i32 s2, s3, s20
	s_delay_alu instid0(SALU_CYCLE_1) | instskip(SKIP_2) | instid1(SALU_CYCLE_1)
	s_lshr_b32 s7, s2, s25
	s_load_b32 s2, s[0:1], 0x40
	s_mul_i32 s3, s7, s26
	s_sub_co_i32 s3, s20, s3
	s_delay_alu instid0(SALU_CYCLE_1) | instskip(NEXT) | instid1(SALU_CYCLE_1)
	s_mul_hi_u32 s8, s3, s27
	s_add_co_i32 s8, s3, s8
	s_delay_alu instid0(SALU_CYCLE_1) | instskip(NEXT) | instid1(SALU_CYCLE_1)
	s_lshr_b32 s15, s8, s28
	s_mul_i32 s8, s15, s29
	s_delay_alu instid0(SALU_CYCLE_1) | instskip(NEXT) | instid1(SALU_CYCLE_1)
	s_sub_co_i32 s8, s3, s8
	s_mul_hi_u32 s3, s8, s30
	s_delay_alu instid0(SALU_CYCLE_1) | instskip(NEXT) | instid1(SALU_CYCLE_1)
	s_add_co_i32 s3, s8, s3
	s_lshr_b32 s10, s3, s31
	s_mov_b32 s3, s21
	s_wait_kmcnt 0x0
	s_mul_i32 s2, s10, s2
	s_lshl_b32 s24, s10, 1
	s_sub_co_i32 s2, s8, s2
	s_delay_alu instid0(SALU_CYCLE_1) | instskip(SKIP_2) | instid1(SALU_CYCLE_1)
	s_mul_u64 s[8:9], s[2:3], s[22:23]
	s_lshr_b32 s3, ttmp7, 16
	s_add_co_i32 s2, s2, s9
	s_lshr_b32 s21, s2, s13
	s_and_b32 s2, ttmp7, 0xffff
	s_lshl_b32 s8, s21, 4
	s_delay_alu instid0(SALU_CYCLE_1) | instskip(NEXT) | instid1(SALU_CYCLE_1)
	s_add_co_i32 s8, s8, s2
	s_cmp_lt_i32 s8, s4
	s_cselect_b32 s8, -1, 0
	s_add_co_i32 s24, s24, s3
	s_delay_alu instid0(SALU_CYCLE_1) | instskip(SKIP_1) | instid1(SALU_CYCLE_1)
	s_cmp_lt_i32 s24, s6
	s_cselect_b32 s9, -1, 0
	s_and_b32 s8, s8, s9
	s_delay_alu instid0(SALU_CYCLE_1)
	s_and_not1_b32 vcc_lo, exec_lo, s8
	s_cbranch_vccnz .LBB39_24
; %bb.8:
	s_mul_i32 s4, s7, s4
	s_load_b128 s[8:11], s[0:1], 0x0
	s_add_co_i32 s0, s4, s2
	s_mul_i32 s15, s15, s6
	s_mul_i32 s0, s0, s5
	s_add_co_i32 s1, s24, s15
	s_mul_i32 s4, s5, s21
	s_add_co_i32 s0, s1, s0
	s_mulk_i32 s4, 0x600
	s_mulk_i32 s0, 0x60
	s_lshl_b32 s15, s2, 1
	v_add3_u32 v1, s4, s0, v0
	s_add_nc_u64 s[0:1], s[16:17], 0
	s_add_co_i32 s15, s15, s3
	s_wait_alu 0xfffe
	s_xor_b64 s[6:7], s[0:1], 0
	s_lshl_b32 s0, ttmp9, 5
	v_ashrrev_i32_e32 v2, 31, v1
	s_wait_alu 0xfffe
	s_cvt_f32_u32 s1, s6
	s_cvt_f32_u32 s2, s7
	s_add_co_i32 s0, s15, s0
	v_cvt_f32_u32_e32 v3, s16
	v_lshlrev_b64_e32 v[1:2], 2, v[1:2]
	s_wait_alu 0xfffe
	s_fmamk_f32 s2, s2, 0x4f800000, s1
	s_ashr_i32 s1, s0, 31
	s_add_co_i32 s34, ttmp9, -1
	s_wait_alu 0xfffe
	s_lshl_b64 s[0:1], s[0:1], 3
	v_s_rcp_f32 s2, s2
	s_wait_kmcnt 0x0
	v_add_co_u32 v1, vcc_lo, s8, v1
	s_delay_alu instid0(VALU_DEP_1)
	v_add_co_ci_u32_e64 v2, null, s9, v2, vcc_lo
	s_wait_alu 0xfffe
	s_add_nc_u64 s[0:1], s[10:11], s[0:1]
	v_rcp_iflag_f32_e32 v3, v3
	s_load_b64 s[26:27], s[0:1], 0x0
	global_load_b32 v5, v[1:2], off
	s_mul_f32 s2, s2, 0x5f7ffffc
	s_mov_b32 s8, 0
	s_lshl_b32 s0, s16, 7
	s_wait_alu 0xfffe
	s_mov_b32 s1, s8
	s_mul_f32 s3, s2, 0x2f800000
	s_wait_alu 0xfffe
	s_lshl_b64 s[0:1], s[0:1], 2
	s_sub_nc_u64 s[30:31], 0, s[6:7]
	v_mul_f32_e32 v6, 0x4f7ffffe, v3
	s_trunc_f32 s3, s3
	s_wait_alu 0xfffe
	s_add_nc_u64 s[24:25], s[10:11], s[0:1]
	v_mad_co_u64_u32 v[3:4], null, 0x60, s15, v[0:1]
	s_fmamk_f32 s0, s3, 0xcf800000, s2
	v_cvt_u32_f32_e32 v0, v6
	s_cvt_u32_f32 s29, s3
	s_wait_alu 0xfffe
	s_cvt_u32_f32 s28, s0
	s_wait_kmcnt 0x0
	v_mov_b32_e32 v4, s27
.LBB39_9:                               ; =>This Inner Loop Header: Depth=1
	s_wait_alu 0xfffe
	s_ashr_i32 s35, s34, 31
	s_mov_b32 s2, -1
	s_wait_alu 0xfffe
	s_mul_u64 s[0:1], s[34:35], s[18:19]
                                        ; implicit-def: $sgpr38_sgpr39
	s_wait_alu 0xfffe
	s_mov_b32 s9, s1
	s_wait_alu 0xfffe
	s_cmp_lg_u64 s[8:9], 0
	s_cbranch_scc0 .LBB39_11
; %bb.10:                               ;   in Loop: Header=BB39_9 Depth=1
	s_mul_u64 s[2:3], s[30:31], s[28:29]
	s_mov_b32 s37, s8
	s_wait_alu 0xfffe
	s_mul_hi_u32 s5, s28, s3
	s_mul_i32 s4, s28, s3
	s_mul_hi_u32 s36, s28, s2
	s_mul_hi_u32 s9, s29, s2
	s_wait_alu 0xfffe
	s_add_nc_u64 s[4:5], s[36:37], s[4:5]
	s_mul_i32 s2, s29, s2
	s_mul_hi_u32 s17, s29, s3
	s_wait_alu 0xfffe
	s_add_co_u32 s2, s4, s2
	s_add_co_ci_u32 s2, s5, s9
	s_add_co_ci_u32 s5, s17, 0
	s_mul_i32 s4, s29, s3
	s_mov_b32 s3, s8
	s_mov_b32 s39, s8
	s_wait_alu 0xfffe
	s_add_nc_u64 s[2:3], s[2:3], s[4:5]
	s_wait_alu 0xfffe
	s_add_co_u32 s2, s28, s2
	s_cselect_b32 s4, -1, 0
	s_wait_alu 0xfffe
	s_cmp_lg_u32 s4, 0
	s_add_co_ci_u32 s3, s29, s3
	s_wait_alu 0xfffe
	s_mul_u64 s[4:5], s[30:31], s[2:3]
	s_wait_alu 0xfffe
	s_mul_hi_u32 s37, s2, s5
	s_mul_i32 s36, s2, s5
	s_mul_hi_u32 s38, s2, s4
	s_mul_hi_u32 s9, s3, s4
	s_mul_i32 s4, s3, s4
	s_wait_alu 0xfffe
	s_add_nc_u64 s[36:37], s[38:39], s[36:37]
	s_mul_hi_u32 s17, s3, s5
	s_wait_alu 0xfffe
	s_add_co_u32 s4, s36, s4
	s_add_co_ci_u32 s4, s37, s9
	s_add_co_ci_u32 s37, s17, 0
	s_mul_i32 s36, s3, s5
	s_mov_b32 s5, s8
	s_wait_alu 0xfffe
	s_add_nc_u64 s[4:5], s[4:5], s[36:37]
	s_mov_b32 s37, s8
	s_wait_alu 0xfffe
	s_add_co_u32 s9, s2, s4
	s_cselect_b32 s2, -1, 0
	s_wait_alu 0xfffe
	s_cmp_lg_u32 s2, 0
	s_add_co_ci_u32 s17, s3, s5
	s_ashr_i32 s2, s1, 31
	s_wait_alu 0xfffe
	s_mov_b32 s3, s2
	s_wait_alu 0xfffe
	s_add_nc_u64 s[4:5], s[0:1], s[2:3]
	s_wait_alu 0xfffe
	s_xor_b64 s[4:5], s[4:5], s[2:3]
	s_wait_alu 0xfffe
	s_mul_hi_u32 s39, s4, s17
	s_mul_i32 s38, s4, s17
	s_mul_hi_u32 s36, s4, s9
	s_mul_i32 s21, s5, s9
	s_wait_alu 0xfffe
	s_add_nc_u64 s[36:37], s[36:37], s[38:39]
	s_mul_hi_u32 s9, s5, s9
	s_mul_hi_u32 s1, s5, s17
	s_wait_alu 0xfffe
	s_add_co_u32 s21, s36, s21
	s_add_co_ci_u32 s36, s37, s9
	s_add_co_ci_u32 s39, s1, 0
	s_mul_i32 s38, s5, s17
	s_mov_b32 s37, s8
	s_wait_alu 0xfffe
	s_add_nc_u64 s[36:37], s[36:37], s[38:39]
	s_wait_alu 0xfffe
	s_mul_u64 s[38:39], s[6:7], s[36:37]
	s_add_nc_u64 s[40:41], s[36:37], 1
	s_sub_co_u32 s1, s4, s38
	s_cselect_b32 s4, -1, 0
	s_sub_co_i32 s9, s5, s39
	s_wait_alu 0xfffe
	s_cmp_lg_u32 s4, 0
	s_add_nc_u64 s[42:43], s[36:37], 2
	s_sub_co_ci_u32 s9, s9, s7
	s_sub_co_u32 s17, s1, s6
	s_cselect_b32 s21, -1, 0
	s_delay_alu instid0(SALU_CYCLE_1)
	s_cmp_lg_u32 s21, 0
	s_wait_alu 0xfffe
	s_sub_co_ci_u32 s9, s9, 0
	s_wait_alu 0xfffe
	s_cmp_ge_u32 s9, s7
	s_cselect_b32 s21, -1, 0
	s_cmp_ge_u32 s17, s6
	s_cselect_b32 s17, -1, 0
	s_cmp_eq_u32 s9, s7
	s_wait_alu 0xfffe
	s_cselect_b32 s9, s17, s21
	s_wait_alu 0xfffe
	s_cmp_lg_u32 s9, 0
	s_cselect_b32 s9, s42, s40
	s_cselect_b32 s17, s43, s41
	s_cmp_lg_u32 s4, 0
	s_sub_co_ci_u32 s4, s5, s39
	s_wait_alu 0xfffe
	s_cmp_ge_u32 s4, s7
	s_cselect_b32 s5, -1, 0
	s_cmp_ge_u32 s1, s6
	s_cselect_b32 s1, -1, 0
	s_cmp_eq_u32 s4, s7
	s_wait_alu 0xfffe
	s_cselect_b32 s1, s1, s5
	s_wait_alu 0xfffe
	s_cmp_lg_u32 s1, 0
	s_cselect_b32 s5, s17, s37
	s_cselect_b32 s4, s9, s36
	s_xor_b64 s[2:3], s[2:3], 0
	s_wait_alu 0xfffe
	s_xor_b64 s[4:5], s[4:5], s[2:3]
	s_wait_alu 0xfffe
	s_sub_nc_u64 s[38:39], s[4:5], s[2:3]
	s_mov_b32 s2, 0
.LBB39_11:                              ;   in Loop: Header=BB39_9 Depth=1
	s_wait_alu 0xfffe
	s_and_not1_b32 vcc_lo, exec_lo, s2
	s_wait_alu 0xfffe
	s_cbranch_vccnz .LBB39_13
; %bb.12:                               ;   in Loop: Header=BB39_9 Depth=1
	v_readfirstlane_b32 s1, v0
	s_sub_co_i32 s2, 0, s16
	s_wait_alu 0xfffe
	s_mul_i32 s2, s2, s1
	s_wait_alu 0xfffe
	s_mul_hi_u32 s2, s1, s2
	s_wait_alu 0xfffe
	s_add_co_i32 s1, s1, s2
	s_wait_alu 0xfffe
	s_mul_hi_u32 s1, s0, s1
	s_wait_alu 0xfffe
	s_mul_i32 s2, s1, s16
	s_wait_alu 0xfffe
	s_sub_co_i32 s0, s0, s2
	s_add_co_i32 s2, s1, 1
	s_wait_alu 0xfffe
	s_sub_co_i32 s3, s0, s16
	s_cmp_ge_u32 s0, s16
	s_cselect_b32 s1, s2, s1
	s_wait_alu 0xfffe
	s_cselect_b32 s0, s3, s0
	s_add_co_i32 s2, s1, 1
	s_wait_alu 0xfffe
	s_cmp_ge_u32 s0, s16
	s_cselect_b32 s38, s2, s1
.LBB39_13:                              ;   in Loop: Header=BB39_9 Depth=1
	v_readfirstlane_b32 s9, v0
	s_cmp_lg_u32 s20, s38
	s_mov_b32 s0, -1
                                        ; implicit-def: $sgpr21
                                        ; implicit-def: $vgpr6
                                        ; implicit-def: $vgpr7
                                        ; implicit-def: $sgpr17
                                        ; implicit-def: $sgpr27
	s_cbranch_scc1 .LBB39_16
; %bb.14:                               ;   in Loop: Header=BB39_9 Depth=1
	s_wait_alu 0xfffe
	s_and_not1_b32 vcc_lo, exec_lo, s0
	s_wait_alu 0xfffe
	s_cbranch_vccz .LBB39_19
.LBB39_15:                              ;   in Loop: Header=BB39_9 Depth=1
	s_and_not1_b32 vcc_lo, exec_lo, s21
	s_wait_alu 0xfffe
	s_cbranch_vccnz .LBB39_20
	s_branch .LBB39_23
.LBB39_16:                              ;   in Loop: Header=BB39_9 Depth=1
	s_add_co_i32 s0, s34, s16
	s_mov_b32 s1, s8
	s_wait_alu 0xfffe
	s_lshl_b32 s0, s0, 5
	v_max_num_f32_e64 v6, s26, s26
	s_wait_alu 0xfffe
	s_add_co_i32 s0, s0, s15
	s_mov_b32 s39, s8
	s_wait_alu 0xfffe
	s_lshl_b64 s[0:1], s[0:1], 3
	s_mul_u64 s[40:41], s[38:39], s[22:23]
	s_wait_alu 0xfffe
	s_add_nc_u64 s[0:1], s[10:11], s[0:1]
	s_mov_b32 s27, s20
	s_load_b64 s[36:37], s[0:1], 0x0
	v_readfirstlane_b32 s0, v6
	s_wait_kmcnt 0x0
	v_max_num_f32_e64 v7, s36, s36
	s_delay_alu instid0(VALU_DEP_1) | instskip(SKIP_2) | instid1(SALU_CYCLE_2)
	v_readfirstlane_b32 s1, v7
	s_max_num_f32 s9, s0, s1
	s_wait_alu 0xfffe
	s_sub_f32 s33, s26, s9
	s_sub_f32 s35, s36, s9
	s_wait_alu 0xfffe
	s_delay_alu instid0(SALU_CYCLE_1)
	s_cmp_nlt_f32 s33, 0xc2ce8ed0
	s_cselect_b32 s0, -1, 0
	s_cmp_ngt_f32 s33, 0x42b17218
	s_cselect_b32 s1, -1, 0
	s_cmp_ge_f32 s33, 0xc1a00000
	s_cselect_b32 s2, -1, 0
	s_cmp_nlt_f32 s35, 0xc2ce8ed0
	s_cselect_b32 s3, -1, 0
	s_cmp_ngt_f32 s35, 0x42b17218
	s_cselect_b32 s4, -1, 0
	s_cmp_ge_f32 s35, 0xc1a00000
	s_cselect_b32 s5, -1, 0
	s_add_co_i32 s17, s41, s38
	s_wait_alu 0xfffe
	s_lshr_b32 s17, s17, s13
	s_wait_alu 0xfffe
	s_mul_i32 s21, s17, s14
	s_delay_alu instid0(SALU_CYCLE_1)
	s_cmp_eq_u32 s21, s38
	s_cselect_b32 s21, -1, 0
	s_cmp_lt_u32 s17, s12
	s_cselect_b32 s17, -1, 0
	s_wait_alu 0xfffe
	s_or_b32 s17, s17, s21
	s_mov_b32 s21, -1
	s_wait_alu 0xfffe
	s_and_b32 vcc_lo, exec_lo, s17
	s_mov_b32 s17, s34
	s_wait_alu 0xfffe
	s_cbranch_vccnz .LBB39_18
; %bb.17:                               ;   in Loop: Header=BB39_9 Depth=1
	s_add_co_i32 s17, s34, -1
	s_mov_b32 s21, 0
	s_mov_b32 s27, s38
.LBB39_18:                              ;   in Loop: Header=BB39_9 Depth=1
	v_mad_co_u64_u32 v[6:7], null, 0xc00, s34, v[3:4]
	s_mul_f32 s36, s35, 0x3fb8aa3b
	s_mul_f32 s38, s33, 0x3fb8aa3b
	s_wait_alu 0xfffe
	s_delay_alu instid0(SALU_CYCLE_1)
	s_xor_b32 s39, s36, 0x80000000
	s_rndne_f32 s40, s36
	v_ashrrev_i32_e32 v7, 31, v6
	s_fmamk_f32 s39, s35, 0x3fb8aa3b, s39
	s_xor_b32 s41, s38, 0x80000000
	s_sub_f32 s36, s36, s40
	s_rndne_f32 s42, s38
	v_lshlrev_b64_e32 v[6:7], 2, v[6:7]
	s_fmamk_f32 s35, s35, 0x32a5705f, s39
	s_fmamk_f32 s39, s33, 0x3fb8aa3b, s41
	s_sub_f32 s38, s38, s42
	s_wait_alu 0xfffe
	s_add_f32 s35, s36, s35
	v_add_co_u32 v6, vcc_lo, s24, v6
	s_wait_alu 0xfffd
	v_add_co_ci_u32_e64 v7, null, s25, v7, vcc_lo
	s_fmamk_f32 s33, s33, 0x32a5705f, s39
	s_wait_alu 0xfffe
	v_s_exp_f32 s35, s35
	s_cvt_i32_f32 s36, s40
	global_load_b32 v6, v[6:7], off
	s_add_f32 s33, s38, s33
	s_wait_alu 0xfffe
	s_delay_alu instid0(SALU_CYCLE_2) | instskip(SKIP_2) | instid1(VALU_DEP_1)
	v_s_exp_f32 s33, s33
	v_ldexp_f32 v7, s35, s36
	s_cvt_i32_f32 s35, s42
	v_cndmask_b32_e64 v7, 0, v7, s3
	s_wait_alu 0xf1fe
	s_delay_alu instid0(TRANS32_DEP_1) | instid1(SALU_CYCLE_1)
	v_ldexp_f32 v8, s33, s35
	s_delay_alu instid0(VALU_DEP_2) | instskip(NEXT) | instid1(VALU_DEP_2)
	v_cndmask_b32_e64 v7, 0x7f800000, v7, s4
	v_cndmask_b32_e64 v8, 0, v8, s0
	s_delay_alu instid0(VALU_DEP_2) | instskip(NEXT) | instid1(VALU_DEP_2)
	v_cndmask_b32_e64 v7, 0, v7, s5
	v_cndmask_b32_e64 v8, 0x7f800000, v8, s1
	s_delay_alu instid0(VALU_DEP_1) | instskip(SKIP_1) | instid1(VALU_DEP_3)
	v_cndmask_b32_e64 v8, 0, v8, s2
	s_wait_loadcnt 0x0
	v_mul_f32_e32 v6, v6, v7
	v_mul_f32_e32 v7, s37, v7
	s_delay_alu instid0(VALU_DEP_1) | instskip(NEXT) | instid1(VALU_DEP_3)
	v_fmac_f32_e32 v7, v4, v8
	v_fmac_f32_e32 v6, v5, v8
	s_cbranch_execnz .LBB39_15
.LBB39_19:                              ;   in Loop: Header=BB39_9 Depth=1
	s_wait_loadcnt 0x0
	v_dual_mov_b32 v7, v4 :: v_dual_mov_b32 v6, v5
	s_add_co_i32 s17, s34, -1
	s_mov_b32 s27, s20
	s_mov_b32 s9, s26
	s_cbranch_execz .LBB39_23
.LBB39_20:                              ;   in Loop: Header=BB39_9 Depth=1
	s_wait_loadcnt 0x0
	v_dual_mov_b32 v4, v7 :: v_dual_mov_b32 v5, v6
	s_wait_alu 0xfffe
	s_mov_b32 s20, s27
	s_mov_b32 s34, s17
	;; [unrolled: 1-line block ×3, first 2 shown]
	s_branch .LBB39_9
.LBB39_21:
                                        ; implicit-def: $sgpr20_sgpr21
	s_branch .LBB39_2
.LBB39_22:
                                        ; implicit-def: $sgpr10_sgpr11
	s_load_b96 s[12:14], s[0:1], 0x44
	s_branch .LBB39_5
.LBB39_23:
	v_div_scale_f32 v0, null, v7, v7, v6
	s_delay_alu instid0(VALU_DEP_1) | instskip(NEXT) | instid1(TRANS32_DEP_1)
	v_rcp_f32_e32 v3, v0
	v_fma_f32 v4, -v0, v3, 1.0
	s_delay_alu instid0(VALU_DEP_1) | instskip(SKIP_2) | instid1(VALU_DEP_1)
	v_fmac_f32_e32 v3, v4, v3
	v_div_scale_f32 v4, vcc_lo, v6, v7, v6
	s_wait_loadcnt 0x0
	v_mul_f32_e32 v5, v4, v3
	s_delay_alu instid0(VALU_DEP_1) | instskip(NEXT) | instid1(VALU_DEP_1)
	v_fma_f32 v8, -v0, v5, v4
	v_fmac_f32_e32 v5, v8, v3
	s_delay_alu instid0(VALU_DEP_1) | instskip(SKIP_1) | instid1(VALU_DEP_1)
	v_fma_f32 v0, -v0, v5, v4
	s_wait_alu 0xfffd
	v_div_fmas_f32 v0, v0, v3, v5
	s_delay_alu instid0(VALU_DEP_1)
	v_div_fixup_f32 v0, v0, v7, v6
	global_store_b32 v[1:2], v0, off
.LBB39_24:
	s_endpgm
	.section	.rodata,"a",@progbits
	.p2align	6, 0x0
	.amdhsa_kernel _ZL33flash_attn_stream_k_fixup_generalILi96ELi16ELi2EEvPfPK15HIP_vector_typeIfLj2EEiiiiS1_IjLj3EES5_S5_S5_
		.amdhsa_group_segment_fixed_size 0
		.amdhsa_private_segment_fixed_size 0
		.amdhsa_kernarg_size 336
		.amdhsa_user_sgpr_count 2
		.amdhsa_user_sgpr_dispatch_ptr 0
		.amdhsa_user_sgpr_queue_ptr 0
		.amdhsa_user_sgpr_kernarg_segment_ptr 1
		.amdhsa_user_sgpr_dispatch_id 0
		.amdhsa_user_sgpr_private_segment_size 0
		.amdhsa_wavefront_size32 1
		.amdhsa_uses_dynamic_stack 0
		.amdhsa_enable_private_segment 0
		.amdhsa_system_sgpr_workgroup_id_x 1
		.amdhsa_system_sgpr_workgroup_id_y 1
		.amdhsa_system_sgpr_workgroup_id_z 1
		.amdhsa_system_sgpr_workgroup_info 0
		.amdhsa_system_vgpr_workitem_id 0
		.amdhsa_next_free_vgpr 9
		.amdhsa_next_free_sgpr 44
		.amdhsa_reserve_vcc 1
		.amdhsa_float_round_mode_32 0
		.amdhsa_float_round_mode_16_64 0
		.amdhsa_float_denorm_mode_32 3
		.amdhsa_float_denorm_mode_16_64 3
		.amdhsa_fp16_overflow 0
		.amdhsa_workgroup_processor_mode 1
		.amdhsa_memory_ordered 1
		.amdhsa_forward_progress 1
		.amdhsa_inst_pref_size 28
		.amdhsa_round_robin_scheduling 0
		.amdhsa_exception_fp_ieee_invalid_op 0
		.amdhsa_exception_fp_denorm_src 0
		.amdhsa_exception_fp_ieee_div_zero 0
		.amdhsa_exception_fp_ieee_overflow 0
		.amdhsa_exception_fp_ieee_underflow 0
		.amdhsa_exception_fp_ieee_inexact 0
		.amdhsa_exception_int_div_zero 0
	.end_amdhsa_kernel
	.section	.text._ZL33flash_attn_stream_k_fixup_generalILi96ELi16ELi2EEvPfPK15HIP_vector_typeIfLj2EEiiiiS1_IjLj3EES5_S5_S5_,"axG",@progbits,_ZL33flash_attn_stream_k_fixup_generalILi96ELi16ELi2EEvPfPK15HIP_vector_typeIfLj2EEiiiiS1_IjLj3EES5_S5_S5_,comdat
.Lfunc_end39:
	.size	_ZL33flash_attn_stream_k_fixup_generalILi96ELi16ELi2EEvPfPK15HIP_vector_typeIfLj2EEiiiiS1_IjLj3EES5_S5_S5_, .Lfunc_end39-_ZL33flash_attn_stream_k_fixup_generalILi96ELi16ELi2EEvPfPK15HIP_vector_typeIfLj2EEiiiiS1_IjLj3EES5_S5_S5_
                                        ; -- End function
	.set _ZL33flash_attn_stream_k_fixup_generalILi96ELi16ELi2EEvPfPK15HIP_vector_typeIfLj2EEiiiiS1_IjLj3EES5_S5_S5_.num_vgpr, 9
	.set _ZL33flash_attn_stream_k_fixup_generalILi96ELi16ELi2EEvPfPK15HIP_vector_typeIfLj2EEiiiiS1_IjLj3EES5_S5_S5_.num_agpr, 0
	.set _ZL33flash_attn_stream_k_fixup_generalILi96ELi16ELi2EEvPfPK15HIP_vector_typeIfLj2EEiiiiS1_IjLj3EES5_S5_S5_.numbered_sgpr, 44
	.set _ZL33flash_attn_stream_k_fixup_generalILi96ELi16ELi2EEvPfPK15HIP_vector_typeIfLj2EEiiiiS1_IjLj3EES5_S5_S5_.num_named_barrier, 0
	.set _ZL33flash_attn_stream_k_fixup_generalILi96ELi16ELi2EEvPfPK15HIP_vector_typeIfLj2EEiiiiS1_IjLj3EES5_S5_S5_.private_seg_size, 0
	.set _ZL33flash_attn_stream_k_fixup_generalILi96ELi16ELi2EEvPfPK15HIP_vector_typeIfLj2EEiiiiS1_IjLj3EES5_S5_S5_.uses_vcc, 1
	.set _ZL33flash_attn_stream_k_fixup_generalILi96ELi16ELi2EEvPfPK15HIP_vector_typeIfLj2EEiiiiS1_IjLj3EES5_S5_S5_.uses_flat_scratch, 0
	.set _ZL33flash_attn_stream_k_fixup_generalILi96ELi16ELi2EEvPfPK15HIP_vector_typeIfLj2EEiiiiS1_IjLj3EES5_S5_S5_.has_dyn_sized_stack, 0
	.set _ZL33flash_attn_stream_k_fixup_generalILi96ELi16ELi2EEvPfPK15HIP_vector_typeIfLj2EEiiiiS1_IjLj3EES5_S5_S5_.has_recursion, 0
	.set _ZL33flash_attn_stream_k_fixup_generalILi96ELi16ELi2EEvPfPK15HIP_vector_typeIfLj2EEiiiiS1_IjLj3EES5_S5_S5_.has_indirect_call, 0
	.section	.AMDGPU.csdata,"",@progbits
; Kernel info:
; codeLenInByte = 3540
; TotalNumSgprs: 46
; NumVgprs: 9
; ScratchSize: 0
; MemoryBound: 0
; FloatMode: 240
; IeeeMode: 1
; LDSByteSize: 0 bytes/workgroup (compile time only)
; SGPRBlocks: 0
; VGPRBlocks: 1
; NumSGPRsForWavesPerEU: 46
; NumVGPRsForWavesPerEU: 9
; Occupancy: 16
; WaveLimiterHint : 0
; COMPUTE_PGM_RSRC2:SCRATCH_EN: 0
; COMPUTE_PGM_RSRC2:USER_SGPR: 2
; COMPUTE_PGM_RSRC2:TRAP_HANDLER: 0
; COMPUTE_PGM_RSRC2:TGID_X_EN: 1
; COMPUTE_PGM_RSRC2:TGID_Y_EN: 1
; COMPUTE_PGM_RSRC2:TGID_Z_EN: 1
; COMPUTE_PGM_RSRC2:TIDIG_COMP_CNT: 0
	.section	.text._ZL15flash_attn_tileILi96ELi96ELi8ELi2ELb0EEvPKcS1_S1_S1_S1_PKiPfP15HIP_vector_typeIfLj2EEffffjfiS5_IjLj3EEiiiiiiiiiiiliiliiiiil,"axG",@progbits,_ZL15flash_attn_tileILi96ELi96ELi8ELi2ELb0EEvPKcS1_S1_S1_S1_PKiPfP15HIP_vector_typeIfLj2EEffffjfiS5_IjLj3EEiiiiiiiiiiiliiliiiiil,comdat
	.globl	_ZL15flash_attn_tileILi96ELi96ELi8ELi2ELb0EEvPKcS1_S1_S1_S1_PKiPfP15HIP_vector_typeIfLj2EEffffjfiS5_IjLj3EEiiiiiiiiiiiliiliiiiil ; -- Begin function _ZL15flash_attn_tileILi96ELi96ELi8ELi2ELb0EEvPKcS1_S1_S1_S1_PKiPfP15HIP_vector_typeIfLj2EEffffjfiS5_IjLj3EEiiiiiiiiiiiliiliiiiil
	.p2align	8
	.type	_ZL15flash_attn_tileILi96ELi96ELi8ELi2ELb0EEvPKcS1_S1_S1_S1_PKiPfP15HIP_vector_typeIfLj2EEffffjfiS5_IjLj3EEiiiiiiiiiiiliiliiiiil,@function
_ZL15flash_attn_tileILi96ELi96ELi8ELi2ELb0EEvPKcS1_S1_S1_S1_PKiPfP15HIP_vector_typeIfLj2EEffffjfiS5_IjLj3EEiiiiiiiiiiiliiliiiiil: ; @_ZL15flash_attn_tileILi96ELi96ELi8ELi2ELb0EEvPKcS1_S1_S1_S1_PKiPfP15HIP_vector_typeIfLj2EEffffjfiS5_IjLj3EEiiiiiiiiiiiliiliiiiil
; %bb.0:
	s_clause 0x1
	s_load_b128 s[20:23], s[0:1], 0x5c
	s_load_b64 s[30:31], s[0:1], 0x80
	s_lshr_b32 s5, ttmp7, 16
	s_mov_b32 s39, 0
	s_mov_b64 s[34:35], 0
	s_wait_kmcnt 0x0
	s_lshr_b32 s2, s23, 31
	s_delay_alu instid0(SALU_CYCLE_1) | instskip(NEXT) | instid1(SALU_CYCLE_1)
	s_add_co_i32 s2, s23, s2
	s_ashr_i32 s2, s2, 1
	s_delay_alu instid0(SALU_CYCLE_1) | instskip(SKIP_1) | instid1(SALU_CYCLE_2)
	s_cvt_f32_u32 s3, s2
	s_sub_co_i32 s4, 0, s2
	v_rcp_iflag_f32_e32 v1, s3
	s_delay_alu instid0(TRANS32_DEP_1) | instskip(SKIP_2) | instid1(SALU_CYCLE_2)
	v_readfirstlane_b32 s3, v1
	s_mul_f32 s3, s3, 0x4f7ffffe
	s_wait_alu 0xfffe
	s_cvt_u32_f32 s3, s3
	s_wait_alu 0xfffe
	s_delay_alu instid0(SALU_CYCLE_2) | instskip(NEXT) | instid1(SALU_CYCLE_1)
	s_mul_i32 s4, s4, s3
	s_mul_hi_u32 s4, s3, s4
	s_delay_alu instid0(SALU_CYCLE_1)
	s_add_co_i32 s3, s3, s4
	s_wait_alu 0xfffe
	s_mul_hi_u32 s3, s5, s3
	s_wait_alu 0xfffe
	s_mul_i32 s4, s3, s2
	s_add_co_i32 s6, s3, 1
	s_sub_co_i32 s4, s5, s4
	s_delay_alu instid0(SALU_CYCLE_1)
	s_sub_co_i32 s7, s4, s2
	s_cmp_ge_u32 s4, s2
	s_cselect_b32 s3, s6, s3
	s_cselect_b32 s4, s7, s4
	s_wait_alu 0xfffe
	s_add_co_i32 s6, s3, 1
	s_cmp_ge_u32 s4, s2
	s_cselect_b32 s28, s6, s3
	s_abs_i32 s2, s31
	s_abs_i32 s6, s23
	s_wait_alu 0xfffe
	s_cvt_f32_u32 s3, s2
	s_sub_co_i32 s4, 0, s2
	s_lshl_b32 s24, s5, 1
	s_wait_alu 0xfffe
	v_rcp_iflag_f32_e32 v1, s3
	s_delay_alu instid0(TRANS32_DEP_1) | instskip(SKIP_2) | instid1(SALU_CYCLE_2)
	v_readfirstlane_b32 s3, v1
	s_mul_f32 s3, s3, 0x4f7ffffe
	s_wait_alu 0xfffe
	s_cvt_u32_f32 s3, s3
	s_wait_alu 0xfffe
	s_delay_alu instid0(SALU_CYCLE_2) | instskip(NEXT) | instid1(SALU_CYCLE_1)
	s_mul_i32 s4, s4, s3
	s_mul_hi_u32 s4, s3, s4
	s_delay_alu instid0(SALU_CYCLE_1)
	s_add_co_i32 s3, s3, s4
	s_xor_b32 s4, s23, s31
	s_wait_alu 0xfffe
	s_mul_hi_u32 s3, s6, s3
	s_ashr_i32 s25, s4, 31
	s_wait_alu 0xfffe
	s_mul_i32 s5, s3, s2
	s_delay_alu instid0(SALU_CYCLE_1)
	s_sub_co_i32 s4, s6, s5
	s_add_co_i32 s5, s3, 1
	s_sub_co_i32 s6, s4, s2
	s_cmp_ge_u32 s4, s2
	s_cselect_b32 s3, s5, s3
	s_cselect_b32 s4, s6, s4
	s_wait_alu 0xfffe
	s_add_co_i32 s5, s3, 1
	s_cmp_ge_u32 s4, s2
	s_cselect_b32 s2, s5, s3
	s_load_b512 s[4:19], s[0:1], 0x0
	s_xor_b32 s2, s2, s25
	s_wait_alu 0xfffe
	s_sub_co_i32 s33, s2, s25
	s_load_b64 s[2:3], s[0:1], 0xb8
	s_abs_i32 s31, s33
	s_delay_alu instid0(SALU_CYCLE_1) | instskip(NEXT) | instid1(SALU_CYCLE_3)
	s_cvt_f32_u32 s25, s31
	v_rcp_iflag_f32_e32 v1, s25
	s_mul_i32 s25, s28, s23
	s_wait_kmcnt 0x0
	s_cmp_eq_u64 s[10:11], 0
	s_delay_alu instid0(TRANS32_DEP_1)
	v_readfirstlane_b32 s27, v1
	s_cbranch_scc1 .LBB40_2
; %bb.1:
	s_abs_i32 s2, s2
	s_load_b64 s[34:35], s[0:1], 0xc8
	s_cvt_f32_u32 s26, s2
	s_sub_co_i32 s29, 0, s2
	s_delay_alu instid0(SALU_CYCLE_2) | instskip(NEXT) | instid1(TRANS32_DEP_1)
	v_rcp_iflag_f32_e32 v1, s26
	v_readfirstlane_b32 s26, v1
	s_mul_f32 s26, s26, 0x4f7ffffe
	s_wait_alu 0xfffe
	s_delay_alu instid0(SALU_CYCLE_2) | instskip(SKIP_1) | instid1(SALU_CYCLE_2)
	s_cvt_u32_f32 s26, s26
	s_wait_alu 0xfffe
	s_mul_i32 s29, s29, s26
	s_delay_alu instid0(SALU_CYCLE_1) | instskip(NEXT) | instid1(SALU_CYCLE_1)
	s_mul_hi_u32 s29, s26, s29
	s_add_co_i32 s26, s26, s29
	s_wait_alu 0xfffe
	s_mul_hi_u32 s26, s28, s26
	s_wait_alu 0xfffe
	s_mul_i32 s26, s26, s2
	s_wait_alu 0xfffe
	s_sub_co_i32 s26, s28, s26
	s_wait_alu 0xfffe
	s_sub_co_i32 s29, s26, s2
	s_cmp_ge_u32 s26, s2
	s_cselect_b32 s26, s29, s26
	s_wait_alu 0xfffe
	s_sub_co_i32 s29, s26, s2
	s_cmp_ge_u32 s26, s2
	s_cselect_b32 s36, s29, s26
	s_delay_alu instid0(SALU_CYCLE_1) | instskip(SKIP_2) | instid1(SALU_CYCLE_1)
	s_ashr_i32 s37, s36, 31
	s_wait_kmcnt 0x0
	s_mul_u64 s[34:35], s[34:35], s[36:37]
	s_add_nc_u64 s[34:35], s[10:11], s[34:35]
.LBB40_2:
	v_bfe_u32 v1, v0, 10, 10
	v_and_b32_e32 v49, 0x3ff, v0
	s_delay_alu instid0(VALU_DEP_2) | instskip(NEXT) | instid1(VALU_DEP_2)
	v_lshl_add_u32 v50, ttmp9, 3, v1
	v_cmp_gt_u32_e64 s2, 24, v49
	v_lshlrev_b32_e32 v48, 2, v49
	v_lshlrev_b32_e32 v62, 3, v49
	s_delay_alu instid0(VALU_DEP_4) | instskip(SKIP_2) | instid1(VALU_DEP_1)
	v_mul_hi_u32 v2, s20, v50
	s_wait_alu 0xfffe
	s_sub_co_i32 s20, s24, s25
	v_add_nc_u32_e32 v2, v50, v2
	s_delay_alu instid0(VALU_DEP_1) | instskip(NEXT) | instid1(VALU_DEP_1)
	v_lshrrev_b32_e32 v2, s21, v2
	v_mul_lo_u32 v2, v2, s22
	s_delay_alu instid0(VALU_DEP_1)
	v_sub_nc_u32_e32 v0, v50, v2
	s_and_saveexec_b32 s10, s2
	s_cbranch_execz .LBB40_4
; %bb.3:
	s_load_b96 s[24:26], s[0:1], 0x70
	s_wait_kmcnt 0x0
	s_ashr_i32 s37, s24, 31
	s_mov_b32 s36, s24
	s_lshr_b32 s11, s37, 2
	s_lshr_b64 s[40:41], s[36:37], 2
	s_mul_i32 s36, s28, s26
	v_mad_co_u64_u32 v[2:3], null, s40, v0, 0
	s_mul_i32 s40, s20, s25
	s_ashr_i32 s37, s36, 31
	s_wait_alu 0xfffe
	s_ashr_i32 s41, s40, 31
	s_add_nc_u64 s[4:5], s[4:5], s[36:37]
	s_wait_alu 0xfffe
	s_add_nc_u64 s[4:5], s[4:5], s[40:41]
	v_mad_co_u64_u32 v[3:4], null, s11, v0, v[3:4]
	v_lshlrev_b32_e32 v4, 2, v48
	s_delay_alu instid0(VALU_DEP_2) | instskip(NEXT) | instid1(VALU_DEP_1)
	v_lshlrev_b64_e32 v[2:3], 2, v[2:3]
	v_add_co_u32 v2, vcc_lo, s4, v2
	s_delay_alu instid0(VALU_DEP_1)
	v_add_co_ci_u32_e64 v3, null, s5, v3, vcc_lo
	s_and_b32 s5, s25, -4
	v_add_co_u32 v6, vcc_lo, v2, v4
	s_wait_alu 0xfffd
	v_add_co_ci_u32_e64 v7, null, 0, v3, vcc_lo
	s_ashr_i32 s4, s25, 31
	global_load_b128 v[2:5], v[6:7], off
	s_wait_alu 0xfffe
	v_add_co_u32 v6, vcc_lo, v6, s5
	s_wait_alu 0xfffd
	v_add_co_ci_u32_e64 v7, null, s4, v7, vcc_lo
	s_load_b32 s4, s[0:1], 0x40
	global_load_b128 v[6:9], v[6:7], off
	s_wait_loadcnt 0x1
	s_wait_kmcnt 0x0
	v_fma_mixlo_f16 v3, s4, v3, 0
	v_fma_mixlo_f16 v2, s4, v2, 0
	;; [unrolled: 1-line block ×4, first 2 shown]
	s_delay_alu instid0(VALU_DEP_4) | instskip(NEXT) | instid1(VALU_DEP_4)
	v_lshlrev_b32_e32 v3, 16, v3
	v_and_b32_e32 v2, 0xffff, v2
	s_delay_alu instid0(VALU_DEP_4)
	v_and_b32_e32 v4, 0xffff, v4
	s_wait_loadcnt 0x0
	v_fma_mixlo_f16 v7, s4, v7, 0
	v_fma_mixlo_f16 v6, s4, v6, 0
	;; [unrolled: 1-line block ×4, first 2 shown]
	v_lshlrev_b32_e32 v5, 16, v5
	v_lshlrev_b32_e32 v7, 16, v7
	v_and_b32_e32 v6, 0xffff, v6
	v_or_b32_e32 v2, v3, v2
	v_lshlrev_b32_e32 v9, 16, v9
	v_and_b32_e32 v8, 0xffff, v8
	v_or3_b32 v3, v5, v4, 0
	v_or_b32_e32 v6, v7, v6
	v_mad_u32_u24 v7, 0x180, v1, v62
	v_or3_b32 v2, 0, 0, v2
	v_or3_b32 v5, v9, v8, 0
	s_delay_alu instid0(VALU_DEP_4) | instskip(NEXT) | instid1(VALU_DEP_4)
	v_or3_b32 v4, 0, 0, v6
	v_add_nc_u32_e32 v6, 0x800, v7
	ds_store_2addr_b64 v6, v[2:3], v[4:5] offset0:208 offset1:232
.LBB40_4:
	s_or_b32 exec_lo, exec_lo, s10
	s_cmp_eq_u64 s[14:15], 0
	s_wait_dscnt 0x0
	s_barrier_signal -1
	s_barrier_wait -1
	global_inv scope:SCOPE_SE
	s_cbranch_scc1 .LBB40_6
; %bb.5:
	s_load_b32 s4, s[0:1], 0xd0
	s_mov_b32 s5, 0
	s_wait_kmcnt 0x0
	s_mul_i32 s4, s4, s28
	s_wait_alu 0xfffe
	s_add_co_i32 s4, s4, ttmp9
	s_wait_alu 0xfffe
	s_lshl_b64 s[4:5], s[4:5], 2
	s_wait_alu 0xfffe
	s_add_nc_u64 s[4:5], s[14:15], s[4:5]
	s_load_b32 s30, s[4:5], 0x0
.LBB40_6:
	s_and_b32 s14, ttmp7, 0xffff
	v_mbcnt_lo_u32_b32 v63, -1, 0
	s_lshl_b32 s36, s14, 5
	s_wait_kmcnt 0x0
	s_cmp_lt_i32 s36, s30
	s_cbranch_scc1 .LBB40_9
; %bb.7:
	v_mbcnt_lo_u32_b32 v2, -1, 0
	v_mov_b32_e32 v65, 32
	s_delay_alu instid0(VALU_DEP_2)
	v_xor_b32_e32 v70, 16, v2
	v_xor_b32_e32 v69, 8, v2
	;; [unrolled: 1-line block ×5, first 2 shown]
	s_mov_b32 s29, 0
	s_cbranch_execz .LBB40_10
; %bb.8:
	v_dual_mov_b32 v80, 0 :: v_dual_mov_b32 v87, 0
	v_dual_mov_b32 v61, 0xfeffffff :: v_dual_mov_b32 v60, 0xfeffffff
	;; [unrolled: 1-line block ×3, first 2 shown]
	v_mov_b32_e32 v84, 0
	v_mov_b32_e32 v64, 0
	s_branch .LBB40_30
.LBB40_9:
                                        ; implicit-def: $vgpr2
                                        ; implicit-def: $vgpr65
                                        ; implicit-def: $vgpr70
                                        ; implicit-def: $vgpr69
                                        ; implicit-def: $vgpr68
                                        ; implicit-def: $vgpr67
                                        ; implicit-def: $vgpr66
	s_mov_b32 s29, 0
.LBB40_10:
	s_mul_f32 s10, s27, 0x4f7ffffe
	s_clause 0x1
	s_load_b128 s[24:27], s[0:1], 0x98
	s_load_b64 s[4:5], s[0:1], 0x8c
	s_sub_co_i32 s15, 0, s31
	s_abs_i32 s38, s20
	s_cvt_u32_f32 s10, s10
	s_mov_b32 s11, s39
	s_load_b64 s[40:41], s[0:1], 0xa8
	s_ashr_i32 s21, s20, 31
	s_mul_i32 s15, s15, s10
	s_ashr_i32 s33, s33, 31
	s_mul_hi_u32 s15, s10, s15
	v_lshrrev_b32_e32 v3, 2, v49
	s_add_co_i32 s10, s10, s15
	s_ashr_i32 s15, s3, 1
	s_wait_alu 0xfffe
	s_mul_u64 s[10:11], s[38:39], s[10:11]
	s_xor_b32 s3, s21, s33
	s_wait_alu 0xfffe
	s_mul_i32 s10, s11, s31
	s_add_co_i32 s21, s11, 1
	s_wait_alu 0xfffe
	s_sub_co_i32 s10, s38, s10
	v_lshrrev_b32_e32 v2, 1, v49
	s_wait_kmcnt 0x0
	s_ashr_i32 s26, s26, 2
	s_ashr_i32 s38, s4, 2
	s_wait_alu 0xfffe
	s_sub_co_i32 s4, s10, s31
	s_cmp_ge_u32 s10, s31
	v_lshl_add_u32 v7, v1, 3, v3
	s_cselect_b32 s21, s21, s11
	s_wait_alu 0xfffe
	s_cselect_b32 s4, s4, s10
	s_add_co_i32 s33, s21, 1
	s_wait_alu 0xfffe
	s_cmp_ge_u32 s4, s31
	v_dual_mov_b32 v64, 0 :: v_dual_and_b32 v11, 12, v48
	v_lshrrev_b32_e32 v6, 3, v49
	s_cselect_b32 s4, s33, s21
	v_lshl_add_u32 v2, v1, 4, v2
	s_wait_alu 0xfffe
	s_xor_b32 s4, s4, s3
	v_dual_mov_b32 v71, 0 :: v_dual_lshlrev_b32 v8, 2, v11
	s_wait_alu 0xfffe
	s_sub_co_i32 s3, s4, s3
	v_lshl_add_u32 v9, v1, 2, v6
	v_mul_u32_u24_e32 v12, 0xc0, v7
	s_mul_u64 s[10:11], s[24:25], s[28:29]
	s_wait_alu 0xfffe
	s_mul_i32 s4, s3, s5
	v_dual_mov_b32 v65, 32 :: v_dual_and_b32 v10, 4, v48
	v_and_b32_e32 v76, 28, v48
	s_mul_u64 s[24:25], s[40:41], s[28:29]
	s_add_nc_u64 s[6:7], s[6:7], s[10:11]
	s_wait_alu 0xfffe
	s_ashr_i32 s5, s4, 31
	v_cmp_gt_u32_e32 vcc_lo, 32, v2
	v_mul_u32_u24_e32 v3, 0x70, v2
	v_mul_lo_u32 v2, s38, v2
	v_mul_lo_u32 v4, s38, v7
	v_mad_u32_u24 v74, 0x70, v7, v8
	v_mad_co_u64_u32 v[51:52], null, v0, s15, v[49:50]
	v_mul_lo_u32 v6, s26, v7
	v_or_b32_e32 v0, v12, v8
	v_mul_lo_u32 v8, s26, v9
	s_add_nc_u64 s[8:9], s[8:9], s[24:25]
	s_wait_alu 0xfffe
	s_add_nc_u64 s[24:25], s[6:7], s[4:5]
	s_movk_i32 s4, 0x180
	v_lshlrev_b32_e32 v5, 2, v10
	s_wait_alu 0xfffe
	v_mad_u32_u24 v75, v1, s4, 0xe80
	v_lshl_add_u32 v77, v1, 7, 0x1a80
	v_dual_mov_b32 v84, 0 :: v_dual_lshlrev_b32 v1, 2, v76
	s_mul_i32 s10, s3, s27
	v_cmp_gt_u32_e64 s3, 32, v7
	v_cmp_gt_u32_e64 s4, 16, v7
	;; [unrolled: 1-line block ×3, first 2 shown]
	v_dual_mov_b32 v85, 0 :: v_dual_add_nc_u32 v78, 0x80, v0
	v_ashrrev_i32_e32 v7, 31, v6
	v_mad_u32_u24 v79, 0xc0, v9, v1
	v_ashrrev_i32_e32 v9, 31, v8
	v_mov_b32_e32 v0, 0xfeffffff
	v_add3_u32 v73, v3, v5, 64
	v_ashrrev_i32_e32 v3, 31, v2
	v_ashrrev_i32_e32 v5, 31, v4
	v_lshlrev_b64_e32 v[56:57], 2, v[6:7]
	v_lshlrev_b64_e32 v[58:59], 2, v[8:9]
	v_mul_u32_u24_e32 v72, 0x70, v49
	v_lshlrev_b64_e32 v[52:53], 2, v[2:3]
	v_lshlrev_b64_e32 v[54:55], 2, v[4:5]
	v_dual_mov_b32 v80, 0 :: v_dual_lshlrev_b32 v81, 2, v10
	v_lshlrev_b32_e32 v82, 2, v11
	v_xor_b32_e32 v70, 16, v63
	v_xor_b32_e32 v69, 8, v63
	;; [unrolled: 1-line block ×5, first 2 shown]
	v_dual_mov_b32 v86, 0 :: v_dual_add_nc_u32 v83, v77, v48
	v_mov_b32_e32 v1, 0xfeffffff
	s_wait_alu 0xfffe
	s_ashr_i32 s11, s10, 31
	s_ashr_i32 s39, s38, 31
	s_wait_alu 0xfffe
	s_add_nc_u64 s[40:41], s[8:9], s[10:11]
	s_ashr_i32 s27, s26, 31
	s_add_nc_u64 s[42:43], s[0:1], 0xd0
.LBB40_11:                              ; =>This Inner Loop Header: Depth=1
	s_ashr_i32 s37, s36, 31
	s_wait_alu 0xfffe
	s_mul_u64 s[6:7], s[36:37], s[38:39]
	s_wait_alu 0xfffe
	s_lshl_b64 s[6:7], s[6:7], 2
	s_wait_alu 0xfffe
	s_add_nc_u64 s[8:9], s[24:25], s[6:7]
	s_and_saveexec_b32 s7, vcc_lo
	s_cbranch_execz .LBB40_13
; %bb.12:                               ;   in Loop: Header=BB40_11 Depth=1
	s_wait_alu 0xfffe
	v_add_co_u32 v2, s6, s8, v52
	s_wait_alu 0xf1ff
	v_add_co_ci_u32_e64 v3, null, s9, v53, s6
	s_delay_alu instid0(VALU_DEP_2) | instskip(SKIP_1) | instid1(VALU_DEP_2)
	v_add_co_u32 v2, s6, v2, v81
	s_wait_alu 0xf1ff
	v_add_co_ci_u32_e64 v3, null, 0, v3, s6
	global_load_b128 v[2:5], v[2:3], off offset:64
	s_wait_loadcnt 0x0
	ds_store_b128 v73, v[2:5]
.LBB40_13:                              ;   in Loop: Header=BB40_11 Depth=1
	s_wait_alu 0xfffe
	s_or_b32 exec_lo, exec_lo, s7
	s_and_saveexec_b32 s7, s3
	s_cbranch_execz .LBB40_15
; %bb.14:                               ;   in Loop: Header=BB40_11 Depth=1
	v_add_co_u32 v2, s6, s8, v54
	s_wait_alu 0xf1ff
	v_add_co_ci_u32_e64 v3, null, s9, v55, s6
	s_delay_alu instid0(VALU_DEP_2) | instskip(SKIP_1) | instid1(VALU_DEP_2)
	v_add_co_u32 v2, s6, v2, v82
	s_wait_alu 0xf1ff
	v_add_co_ci_u32_e64 v3, null, 0, v3, s6
	global_load_b128 v[2:5], v[2:3], off
	s_wait_loadcnt 0x0
	ds_store_b128 v74, v[2:5]
.LBB40_15:                              ;   in Loop: Header=BB40_11 Depth=1
	s_wait_alu 0xfffe
	s_or_b32 exec_lo, exec_lo, s7
	s_wait_loadcnt_dscnt 0x0
	s_barrier_signal -1
	s_barrier_wait -1
	global_inv scope:SCOPE_SE
	ds_load_b128 v[4:7], v72
	ds_load_b128 v[8:11], v75
	ds_load_b128 v[12:15], v75 offset:192
	v_dual_mov_b32 v3, 0 :: v_dual_mov_b32 v2, 0
	s_wait_dscnt 0x1
	;;#ASMSTART
	v_dot2_f32_f16 v3, v4, v8, v3
	;;#ASMEND
	;;#ASMSTART
	v_dot2_f32_f16 v3, v5, v9, v3
	;;#ASMEND
	;;#ASMSTART
	v_dot2_f32_f16 v3, v6, v10, v3
	;;#ASMEND
	;;#ASMSTART
	v_dot2_f32_f16 v3, v7, v11, v3
	;;#ASMEND
	s_wait_dscnt 0x0
	;;#ASMSTART
	v_dot2_f32_f16 v2, v4, v12, v2
	;;#ASMEND
	;;#ASMSTART
	v_dot2_f32_f16 v2, v5, v13, v2
	;;#ASMEND
	;;#ASMSTART
	v_dot2_f32_f16 v2, v6, v14, v2
	;;#ASMEND
	;;#ASMSTART
	v_dot2_f32_f16 v2, v7, v15, v2
	;;#ASMEND
	ds_load_b128 v[4:7], v72 offset:16
	ds_load_b128 v[8:11], v75 offset:16
	ds_load_b128 v[12:15], v75 offset:208
	s_wait_dscnt 0x1
	;;#ASMSTART
	v_dot2_f32_f16 v3, v4, v8, v3
	;;#ASMEND
	;;#ASMSTART
	v_dot2_f32_f16 v3, v5, v9, v3
	;;#ASMEND
	;;#ASMSTART
	v_dot2_f32_f16 v3, v6, v10, v3
	;;#ASMEND
	;;#ASMSTART
	v_dot2_f32_f16 v3, v7, v11, v3
	;;#ASMEND
	s_wait_dscnt 0x0
	;;#ASMSTART
	v_dot2_f32_f16 v2, v4, v12, v2
	;;#ASMEND
	;;#ASMSTART
	v_dot2_f32_f16 v2, v5, v13, v2
	;;#ASMEND
	;;#ASMSTART
	v_dot2_f32_f16 v2, v6, v14, v2
	;;#ASMEND
	;;#ASMSTART
	v_dot2_f32_f16 v2, v7, v15, v2
	;;#ASMEND
	ds_load_b128 v[4:7], v72 offset:32
	ds_load_b128 v[8:11], v75 offset:32
	ds_load_b128 v[12:15], v75 offset:224
	;; [unrolled: 29-line block ×5, first 2 shown]
	s_wait_dscnt 0x1
	;;#ASMSTART
	v_dot2_f32_f16 v3, v4, v8, v3
	;;#ASMEND
	;;#ASMSTART
	v_dot2_f32_f16 v3, v5, v9, v3
	;;#ASMEND
	;; [unrolled: 3-line block ×4, first 2 shown]
	s_wait_dscnt 0x0
	;;#ASMSTART
	v_dot2_f32_f16 v2, v4, v12, v2
	;;#ASMEND
	;;#ASMSTART
	v_dot2_f32_f16 v2, v5, v13, v2
	;;#ASMEND
	;;#ASMSTART
	v_dot2_f32_f16 v2, v6, v14, v2
	;;#ASMEND
	;;#ASMSTART
	v_dot2_f32_f16 v2, v7, v15, v2
	;;#ASMEND
	s_wait_loadcnt 0x0
	s_barrier_signal -1
	s_barrier_wait -1
	global_inv scope:SCOPE_SE
	s_and_saveexec_b32 s7, vcc_lo
	s_cbranch_execz .LBB40_17
; %bb.16:                               ;   in Loop: Header=BB40_11 Depth=1
	v_add_co_u32 v4, s6, s8, v52
	s_wait_alu 0xf1ff
	v_add_co_ci_u32_e64 v5, null, s9, v53, s6
	s_delay_alu instid0(VALU_DEP_2) | instskip(SKIP_1) | instid1(VALU_DEP_2)
	v_add_co_u32 v4, s6, v4, v81
	s_wait_alu 0xf1ff
	v_add_co_ci_u32_e64 v5, null, 0, v5, s6
	global_load_b128 v[4:7], v[4:5], off offset:160
	s_wait_loadcnt 0x0
	ds_store_b128 v73, v[4:7]
.LBB40_17:                              ;   in Loop: Header=BB40_11 Depth=1
	s_wait_alu 0xfffe
	s_or_b32 exec_lo, exec_lo, s7
	s_and_saveexec_b32 s7, s3
	s_cbranch_execz .LBB40_19
; %bb.18:                               ;   in Loop: Header=BB40_11 Depth=1
	v_add_co_u32 v4, s6, s8, v54
	s_wait_alu 0xf1ff
	v_add_co_ci_u32_e64 v5, null, s9, v55, s6
	s_delay_alu instid0(VALU_DEP_2) | instskip(SKIP_1) | instid1(VALU_DEP_2)
	v_add_co_u32 v4, s6, v4, v82
	s_wait_alu 0xf1ff
	v_add_co_ci_u32_e64 v5, null, 0, v5, s6
	global_load_b128 v[4:7], v[4:5], off offset:96
	s_wait_loadcnt 0x0
	ds_store_b128 v74, v[4:7]
.LBB40_19:                              ;   in Loop: Header=BB40_11 Depth=1
	s_wait_alu 0xfffe
	s_or_b32 exec_lo, exec_lo, s7
	s_wait_loadcnt_dscnt 0x0
	s_barrier_signal -1
	s_barrier_wait -1
	global_inv scope:SCOPE_SE
	ds_load_b128 v[4:7], v72
	ds_load_b128 v[8:11], v75 offset:96
	ds_load_b128 v[12:15], v75 offset:288
	s_mul_u64 s[10:11], s[36:37], s[26:27]
	s_wait_dscnt 0x1
	;;#ASMSTART
	v_dot2_f32_f16 v3, v4, v8, v3
	;;#ASMEND
	;;#ASMSTART
	v_dot2_f32_f16 v3, v5, v9, v3
	;;#ASMEND
	;; [unrolled: 3-line block ×4, first 2 shown]
	s_wait_dscnt 0x0
	;;#ASMSTART
	v_dot2_f32_f16 v2, v4, v12, v2
	;;#ASMEND
	;;#ASMSTART
	v_dot2_f32_f16 v2, v5, v13, v2
	;;#ASMEND
	;; [unrolled: 3-line block ×4, first 2 shown]
	ds_load_b128 v[4:7], v72 offset:16
	ds_load_b128 v[8:11], v75 offset:112
	;; [unrolled: 1-line block ×3, first 2 shown]
	s_wait_alu 0xfffe
	s_lshl_b64 s[10:11], s[10:11], 2
	s_wait_dscnt 0x1
	;;#ASMSTART
	v_dot2_f32_f16 v3, v4, v8, v3
	;;#ASMEND
	;;#ASMSTART
	v_dot2_f32_f16 v3, v5, v9, v3
	;;#ASMEND
	;; [unrolled: 3-line block ×4, first 2 shown]
	s_wait_dscnt 0x0
	;;#ASMSTART
	v_dot2_f32_f16 v2, v4, v12, v2
	;;#ASMEND
	;;#ASMSTART
	v_dot2_f32_f16 v2, v5, v13, v2
	;;#ASMEND
	;; [unrolled: 3-line block ×4, first 2 shown]
	ds_load_b128 v[4:7], v72 offset:32
	ds_load_b128 v[8:11], v75 offset:128
	;; [unrolled: 1-line block ×3, first 2 shown]
	s_wait_alu 0xfffe
	s_add_nc_u64 s[44:45], s[40:41], s[10:11]
	s_wait_dscnt 0x1
	;;#ASMSTART
	v_dot2_f32_f16 v3, v4, v8, v3
	;;#ASMEND
	;;#ASMSTART
	v_dot2_f32_f16 v3, v5, v9, v3
	;;#ASMEND
	;;#ASMSTART
	v_dot2_f32_f16 v3, v6, v10, v3
	;;#ASMEND
	;;#ASMSTART
	v_dot2_f32_f16 v3, v7, v11, v3
	;;#ASMEND
	s_wait_dscnt 0x0
	;;#ASMSTART
	v_dot2_f32_f16 v2, v4, v12, v2
	;;#ASMEND
	;;#ASMSTART
	v_dot2_f32_f16 v2, v5, v13, v2
	;;#ASMEND
	;;#ASMSTART
	v_dot2_f32_f16 v2, v6, v14, v2
	;;#ASMEND
	;;#ASMSTART
	v_dot2_f32_f16 v2, v7, v15, v2
	;;#ASMEND
	ds_load_b128 v[4:7], v72 offset:48
	ds_load_b128 v[8:11], v75 offset:144
	ds_load_b128 v[12:15], v75 offset:336
	s_wait_dscnt 0x1
	;;#ASMSTART
	v_dot2_f32_f16 v3, v4, v8, v3
	;;#ASMEND
	;;#ASMSTART
	v_dot2_f32_f16 v3, v5, v9, v3
	;;#ASMEND
	;;#ASMSTART
	v_dot2_f32_f16 v3, v6, v10, v3
	;;#ASMEND
	;;#ASMSTART
	v_dot2_f32_f16 v3, v7, v11, v3
	;;#ASMEND
	s_wait_dscnt 0x0
	;;#ASMSTART
	v_dot2_f32_f16 v2, v4, v12, v2
	;;#ASMEND
	;;#ASMSTART
	v_dot2_f32_f16 v2, v5, v13, v2
	;;#ASMEND
	;;#ASMSTART
	v_dot2_f32_f16 v2, v6, v14, v2
	;;#ASMEND
	;;#ASMSTART
	v_dot2_f32_f16 v2, v7, v15, v2
	;;#ASMEND
	ds_load_b128 v[4:7], v72 offset:64
	ds_load_b128 v[8:11], v75 offset:160
	ds_load_b128 v[12:15], v75 offset:352
	;; [unrolled: 29-line block ×3, first 2 shown]
	s_wait_dscnt 0x1
	;;#ASMSTART
	v_dot2_f32_f16 v3, v4, v8, v3
	;;#ASMEND
	;;#ASMSTART
	v_dot2_f32_f16 v3, v5, v9, v3
	;;#ASMEND
	;; [unrolled: 3-line block ×4, first 2 shown]
	v_add_nc_u32_e32 v16, s36, v51
	s_wait_dscnt 0x0
	;;#ASMSTART
	v_dot2_f32_f16 v2, v4, v12, v2
	;;#ASMEND
	;;#ASMSTART
	v_dot2_f32_f16 v2, v5, v13, v2
	;;#ASMEND
	;; [unrolled: 3-line block ×4, first 2 shown]
	v_ashrrev_i32_e32 v17, 31, v16
	v_max_num_f32_e32 v7, v1, v1
	s_delay_alu instid0(VALU_DEP_2) | instskip(NEXT) | instid1(VALU_DEP_1)
	v_lshlrev_b64_e32 v[16:17], 1, v[16:17]
	v_add_co_u32 v16, s6, s34, v16
	s_wait_alu 0xf1ff
	s_delay_alu instid0(VALU_DEP_2)
	v_add_co_ci_u32_e64 v17, null, s35, v17, s6
	v_cmp_gt_i32_e64 s6, 32, v70
	global_load_u16 v4, v[16:17], off
	s_wait_loadcnt 0x0
	s_barrier_signal -1
	s_barrier_wait -1
	global_inv scope:SCOPE_SE
	v_cvt_f32_f16_e32 v4, v4
	s_delay_alu instid0(VALU_DEP_1)
	v_add_f32_e32 v3, v3, v4
	v_add_f32_e32 v2, v2, v4
	s_wait_alu 0xf1ff
	v_cndmask_b32_e64 v4, v63, v70, s6
	v_max_num_f32_e32 v5, v0, v0
	v_cmp_gt_i32_e64 s6, 32, v69
	v_add_f32_e32 v6, 0x40051340, v3
	v_add_f32_e32 v8, 0x40051340, v2
	s_delay_alu instid0(VALU_DEP_2) | instskip(NEXT) | instid1(VALU_DEP_2)
	v_dual_max_num_f32 v5, v5, v6 :: v_dual_lshlrev_b32 v4, 2, v4
	v_max_num_f32_e32 v6, v7, v8
	s_wait_alu 0xf1ff
	v_cndmask_b32_e64 v8, v63, v69, s6
	v_cmp_gt_i32_e64 s6, 32, v68
	ds_bpermute_b32 v7, v4, v5
	s_wait_dscnt 0x0
	v_max_num_f32_e32 v7, v7, v7
	s_delay_alu instid0(VALU_DEP_1) | instskip(SKIP_4) | instid1(VALU_DEP_1)
	v_max_num_f32_e32 v5, v5, v7
	ds_bpermute_b32 v4, v4, v6
	v_lshlrev_b32_e32 v8, 2, v8
	s_wait_dscnt 0x0
	v_max_num_f32_e32 v4, v4, v4
	v_max_num_f32_e32 v4, v6, v4
	ds_bpermute_b32 v6, v8, v5
	s_wait_dscnt 0x0
	v_max_num_f32_e32 v6, v6, v6
	s_delay_alu instid0(VALU_DEP_1) | instskip(SKIP_4) | instid1(VALU_DEP_2)
	v_max_num_f32_e32 v5, v5, v6
	ds_bpermute_b32 v7, v8, v4
	s_wait_alu 0xf1ff
	v_cndmask_b32_e64 v8, v63, v68, s6
	v_cmp_gt_i32_e64 s6, 32, v67
	v_lshlrev_b32_e32 v8, 2, v8
	ds_bpermute_b32 v6, v8, v5
	s_wait_dscnt 0x0
	v_dual_max_num_f32 v7, v7, v7 :: v_dual_max_num_f32 v6, v6, v6
	s_delay_alu instid0(VALU_DEP_1) | instskip(SKIP_4) | instid1(VALU_DEP_2)
	v_dual_max_num_f32 v5, v5, v6 :: v_dual_max_num_f32 v4, v4, v7
	ds_bpermute_b32 v7, v8, v4
	s_wait_alu 0xf1ff
	v_cndmask_b32_e64 v8, v63, v67, s6
	v_cmp_gt_i32_e64 s6, 32, v66
	v_lshlrev_b32_e32 v8, 2, v8
	ds_bpermute_b32 v6, v8, v5
	s_wait_dscnt 0x0
	v_dual_max_num_f32 v7, v7, v7 :: v_dual_max_num_f32 v6, v6, v6
	s_delay_alu instid0(VALU_DEP_1) | instskip(SKIP_3) | instid1(VALU_DEP_1)
	v_dual_max_num_f32 v5, v5, v6 :: v_dual_max_num_f32 v4, v4, v7
	ds_bpermute_b32 v7, v8, v4
	s_wait_alu 0xf1ff
	v_cndmask_b32_e64 v8, v63, v66, s6
	v_lshlrev_b32_e32 v8, 2, v8
	ds_bpermute_b32 v6, v8, v5
	s_wait_dscnt 0x0
	v_dual_max_num_f32 v7, v7, v7 :: v_dual_max_num_f32 v6, v6, v6
	s_delay_alu instid0(VALU_DEP_1) | instskip(NEXT) | instid1(VALU_DEP_1)
	v_max_num_f32_e32 v60, v5, v6
	v_dual_sub_f32 v3, v3, v60 :: v_dual_max_num_f32 v4, v4, v7
	v_sub_f32_e32 v91, v0, v60
	s_delay_alu instid0(VALU_DEP_2) | instskip(SKIP_4) | instid1(VALU_DEP_1)
	v_cmp_ngt_f32_e64 s6, 0xc2ce8ed0, v3
	ds_bpermute_b32 v7, v8, v4
	v_cmp_ngt_f32_e64 s7, 0xc2ce8ed0, v91
	s_wait_dscnt 0x0
	v_max_num_f32_e32 v7, v7, v7
	v_max_num_f32_e32 v61, v4, v7
	v_mul_f32_e32 v4, 0x3fb8aa3b, v3
	s_delay_alu instid0(VALU_DEP_2) | instskip(NEXT) | instid1(VALU_DEP_2)
	v_sub_f32_e32 v2, v2, v61
	v_fma_f32 v6, 0x3fb8aa3b, v3, -v4
	v_rndne_f32_e32 v7, v4
	s_delay_alu instid0(VALU_DEP_3) | instskip(NEXT) | instid1(VALU_DEP_3)
	v_dual_sub_f32 v92, v1, v61 :: v_dual_mul_f32 v5, 0x3fb8aa3b, v2
	v_fmac_f32_e32 v6, 0x32a5705f, v3
	s_delay_alu instid0(VALU_DEP_3) | instskip(NEXT) | instid1(VALU_DEP_3)
	v_sub_f32_e32 v4, v4, v7
	v_cmp_ngt_f32_e64 s9, 0xc2ce8ed0, v92
	v_cmp_nlt_f32_e64 s8, 0x42b17218, v92
	v_fma_f32 v8, 0x3fb8aa3b, v2, -v5
	v_rndne_f32_e32 v9, v5
	v_add_f32_e32 v4, v4, v6
	v_cvt_i32_f32_e32 v6, v7
	s_delay_alu instid0(VALU_DEP_3) | instskip(NEXT) | instid1(VALU_DEP_3)
	v_dual_fmac_f32 v8, 0x32a5705f, v2 :: v_dual_sub_f32 v5, v5, v9
	v_exp_f32_e32 v4, v4
	v_cvt_i32_f32_e32 v7, v9
	s_delay_alu instid0(VALU_DEP_2) | instskip(NEXT) | instid1(VALU_DEP_1)
	v_add_f32_e32 v5, v5, v8
	v_exp_f32_e32 v5, v5
	s_delay_alu instid0(TRANS32_DEP_2) | instskip(SKIP_1) | instid1(VALU_DEP_1)
	v_ldexp_f32 v4, v4, v6
	s_wait_alu 0xf1ff
	v_cndmask_b32_e64 v4, 0, v4, s6
	v_cmp_ngt_f32_e64 s6, 0xc2ce8ed0, v2
	s_delay_alu instid0(TRANS32_DEP_1) | instskip(SKIP_1) | instid1(VALU_DEP_1)
	v_ldexp_f32 v5, v5, v7
	s_wait_alu 0xf1ff
	v_cndmask_b32_e64 v5, 0, v5, s6
	v_cmp_nlt_f32_e64 s6, 0x42b17218, v3
	s_wait_alu 0xf1ff
	s_delay_alu instid0(VALU_DEP_1) | instskip(SKIP_1) | instid1(VALU_DEP_2)
	v_cndmask_b32_e64 v88, 0x7f800000, v4, s6
	v_cmp_nlt_f32_e64 s6, 0x42b17218, v2
	v_cvt_f16_f32_e32 v0, v88
	s_wait_alu 0xf1ff
	s_delay_alu instid0(VALU_DEP_2) | instskip(SKIP_1) | instid1(VALU_DEP_2)
	v_cndmask_b32_e64 v87, 0x7f800000, v5, s6
	v_cmp_nlt_f32_e64 s6, 0x42b17218, v91
	v_cvt_f16_f32_e32 v1, v87
	s_delay_alu instid0(VALU_DEP_1)
	v_pack_b32_f16 v0, v0, v1
	ds_store_b32 v83, v0
	s_and_saveexec_b32 s11, s4
	s_cbranch_execz .LBB40_21
; %bb.20:                               ;   in Loop: Header=BB40_11 Depth=1
	s_wait_alu 0xfffe
	v_add_co_u32 v0, s10, s44, v56
	s_wait_alu 0xf1ff
	v_add_co_ci_u32_e64 v1, null, s45, v57, s10
	s_delay_alu instid0(VALU_DEP_2) | instskip(SKIP_1) | instid1(VALU_DEP_2)
	v_add_co_u32 v0, s10, v0, v82
	s_wait_alu 0xf1ff
	v_add_co_ci_u32_e64 v1, null, 0, v1, s10
	global_load_b128 v[0:3], v[0:1], off offset:128
	s_wait_loadcnt 0x0
	ds_store_b128 v78, v[0:3]
.LBB40_21:                              ;   in Loop: Header=BB40_11 Depth=1
	s_wait_alu 0xfffe
	s_or_b32 exec_lo, exec_lo, s11
	v_lshlrev_b32_e32 v93, 2, v76
	s_and_saveexec_b32 s11, s5
	s_cbranch_execz .LBB40_23
; %bb.22:                               ;   in Loop: Header=BB40_11 Depth=1
	v_add_co_u32 v0, s10, s44, v58
	s_wait_alu 0xf1ff
	v_add_co_ci_u32_e64 v1, null, s45, v59, s10
	s_delay_alu instid0(VALU_DEP_2) | instskip(SKIP_1) | instid1(VALU_DEP_2)
	v_add_co_u32 v0, s10, v0, v93
	s_wait_alu 0xf1ff
	v_add_co_ci_u32_e64 v1, null, 0, v1, s10
	global_load_b128 v[0:3], v[0:1], off
	s_wait_loadcnt 0x0
	ds_store_b128 v79, v[0:3]
.LBB40_23:                              ;   in Loop: Header=BB40_11 Depth=1
	s_wait_alu 0xfffe
	s_or_b32 exec_lo, exec_lo, s11
	v_add_nc_u32_e32 v90, 0x400, v62
	v_add_nc_u32_e32 v89, 0x800, v62
	s_wait_loadcnt_dscnt 0x0
	s_barrier_signal -1
	s_barrier_wait -1
	global_inv scope:SCOPE_SE
	ds_load_2addr_b64 v[28:31], v62 offset1:24
	ds_load_b128 v[44:47], v77
	ds_load_b128 v[40:43], v77 offset:16
	ds_load_b128 v[36:39], v77 offset:32
	;; [unrolled: 1-line block ×3, first 2 shown]
	ds_load_2addr_b64 v[24:27], v62 offset0:48 offset1:72
	ds_load_2addr_b64 v[32:35], v62 offset0:96 offset1:120
	;; [unrolled: 1-line block ×7, first 2 shown]
	s_or_b32 s10, s36, 16
	s_wait_loadcnt_dscnt 0x0
	s_wait_alu 0xfffe
	s_ashr_i32 s11, s10, 31
	s_barrier_signal -1
	s_wait_alu 0xfffe
	s_mul_u64 s[10:11], s[10:11], s[26:27]
	s_barrier_wait -1
	s_wait_alu 0xfffe
	s_lshl_b64 s[10:11], s[10:11], 2
	global_inv scope:SCOPE_SE
	s_wait_alu 0xfffe
	s_add_nc_u64 s[44:45], s[40:41], s[10:11]
	s_and_saveexec_b32 s11, s4
	s_cbranch_execz .LBB40_25
; %bb.24:                               ;   in Loop: Header=BB40_11 Depth=1
	s_wait_alu 0xfffe
	v_add_co_u32 v94, s10, s44, v56
	s_wait_alu 0xf1ff
	v_add_co_ci_u32_e64 v95, null, s45, v57, s10
	s_delay_alu instid0(VALU_DEP_2) | instskip(SKIP_1) | instid1(VALU_DEP_2)
	v_add_co_u32 v94, s10, v94, v82
	s_wait_alu 0xf1ff
	v_add_co_ci_u32_e64 v95, null, 0, v95, s10
	global_load_b128 v[94:97], v[94:95], off offset:128
	s_wait_loadcnt 0x0
	ds_store_b128 v78, v[94:97]
.LBB40_25:                              ;   in Loop: Header=BB40_11 Depth=1
	s_wait_alu 0xfffe
	s_or_b32 exec_lo, exec_lo, s11
	s_and_saveexec_b32 s11, s5
	s_cbranch_execz .LBB40_27
; %bb.26:                               ;   in Loop: Header=BB40_11 Depth=1
	v_add_co_u32 v94, s10, s44, v58
	s_wait_alu 0xf1ff
	v_add_co_ci_u32_e64 v95, null, s45, v59, s10
	s_delay_alu instid0(VALU_DEP_2) | instskip(SKIP_1) | instid1(VALU_DEP_2)
	v_add_co_u32 v93, s10, v94, v93
	s_wait_alu 0xf1ff
	v_add_co_ci_u32_e64 v94, null, 0, v95, s10
	global_load_b128 v[93:96], v[93:94], off
	s_wait_loadcnt 0x0
	ds_store_b128 v79, v[93:96]
.LBB40_27:                              ;   in Loop: Header=BB40_11 Depth=1
	s_wait_alu 0xfffe
	s_or_b32 exec_lo, exec_lo, s11
	v_dual_mul_f32 v93, 0x3fb8aa3b, v91 :: v_dual_mul_f32 v94, 0x3fb8aa3b, v92
	v_lshrrev_b32_e32 v99, 16, v44
	v_lshrrev_b32_e32 v100, 16, v41
	v_and_b32_e32 v41, 0xffff, v41
	s_delay_alu instid0(VALU_DEP_4)
	v_fma_f32 v95, 0x3fb8aa3b, v91, -v93
	v_rndne_f32_e32 v96, v93
	v_fma_f32 v97, 0x3fb8aa3b, v92, -v94
	v_rndne_f32_e32 v98, v94
	v_lshrrev_b32_e32 v101, 16, v42
	v_fmac_f32_e32 v95, 0x32a5705f, v91
	v_and_b32_e32 v42, 0xffff, v42
	s_delay_alu instid0(VALU_DEP_4)
	v_dual_fmac_f32 v97, 0x32a5705f, v92 :: v_dual_sub_f32 v92, v94, v98
	v_sub_f32_e32 v91, v93, v96
	v_cvt_i32_f32_e32 v96, v96
	v_cvt_i32_f32_e32 v98, v98
	v_lshrrev_b32_e32 v93, 16, v45
	v_add_f32_e32 v92, v92, v97
	v_dual_add_f32 v91, v91, v95 :: v_dual_and_b32 v44, 0xffff, v44
	v_and_b32_e32 v45, 0xffff, v45
	v_lshrrev_b32_e32 v94, 16, v46
	s_delay_alu instid0(VALU_DEP_4) | instskip(NEXT) | instid1(VALU_DEP_3)
	v_exp_f32_e32 v92, v92
	v_mul_u32_u24_e32 v44, 0x10001, v44
	v_exp_f32_e32 v91, v91
	v_mul_u32_u24_e32 v45, 0x10001, v45
	v_mul_u32_u24_e32 v93, 0x10001, v93
	v_lshrrev_b32_e32 v95, 16, v47
	v_pk_mul_f16 v108, v28, v44
	v_and_b32_e32 v47, 0xffff, v47
	v_mul_u32_u24_e32 v94, 0x10001, v94
	v_lshrrev_b32_e32 v97, 16, v40
	v_ldexp_f32 v92, v92, v98
	v_mul_u32_u24_e32 v98, 0x10001, v99
	v_ldexp_f32 v91, v91, v96
	v_and_b32_e32 v40, 0xffff, v40
	v_mul_u32_u24_e32 v47, 0x10001, v47
	v_cndmask_b32_e64 v92, 0, v92, s9
	v_pk_mul_f16 v28, v28, v98
	v_cndmask_b32_e64 v91, 0, v91, s7
	v_mul_u32_u24_e32 v95, 0x10001, v95
	v_mul_u32_u24_e32 v40, 0x10001, v40
	v_cndmask_b32_e64 v92, 0x7f800000, v92, s8
	v_and_b32_e32 v46, 0xffff, v46
	v_cndmask_b32_e64 v91, 0x7f800000, v91, s6
	v_mul_u32_u24_e32 v97, 0x10001, v97
	v_mul_u32_u24_e32 v41, 0x10001, v41
	v_cvt_f16_f32_e32 v102, v92
	v_fmac_f32_e32 v87, v85, v92
	v_cvt_f16_f32_e32 v99, v91
	v_mul_u32_u24_e32 v46, 0x10001, v46
	v_mul_u32_u24_e32 v100, 0x10001, v100
	v_and_b32_e32 v102, 0xffff, v102
	v_and_b32_e32 v96, 0xffff, v43
	v_and_b32_e32 v99, 0xffff, v99
	v_mul_u32_u24_e32 v42, 0x10001, v42
	v_mul_u32_u24_e32 v101, 0x10001, v101
	;; [unrolled: 1-line block ×3, first 2 shown]
	v_lshrrev_b32_e32 v43, 16, v43
	v_mul_u32_u24_e32 v99, 0x10001, v99
	v_and_b32_e32 v103, 0xffff, v36
	v_lshrrev_b32_e32 v36, 16, v36
	v_pk_mul_f16 v64, v64, v102
	v_pk_fma_f16 v28, v71, v102, v28
	v_pk_mul_f16 v84, v84, v99
	v_pk_fma_f16 v80, v80, v99, v108
	v_mul_u32_u24_e32 v96, 0x10001, v96
	v_mul_u32_u24_e32 v43, 0x10001, v43
	v_pk_fma_f16 v28, v30, v93, v28
	v_pk_fma_f16 v44, v29, v44, v84
	;; [unrolled: 1-line block ×4, first 2 shown]
	v_and_b32_e32 v104, 0xffff, v37
	v_mul_u32_u24_e32 v103, 0x10001, v103
	v_pk_fma_f16 v30, v31, v45, v44
	v_pk_fma_f16 v29, v31, v93, v29
	;; [unrolled: 1-line block ×4, first 2 shown]
	v_mul_u32_u24_e32 v36, 0x10001, v36
	v_pk_fma_f16 v28, v25, v46, v30
	v_pk_fma_f16 v25, v25, v94, v29
	;; [unrolled: 1-line block ×4, first 2 shown]
	v_lshrrev_b32_e32 v37, 16, v37
	v_pk_fma_f16 v26, v27, v47, v28
	v_pk_fma_f16 v25, v27, v95, v25
	;; [unrolled: 1-line block ×4, first 2 shown]
	v_mul_u32_u24_e32 v104, 0x10001, v104
	v_pk_fma_f16 v26, v33, v40, v26
	v_pk_fma_f16 v25, v33, v97, v25
	;; [unrolled: 1-line block ×4, first 2 shown]
	v_and_b32_e32 v105, 0xffff, v38
	v_pk_fma_f16 v26, v35, v41, v26
	v_pk_fma_f16 v25, v35, v100, v25
	;; [unrolled: 1-line block ×4, first 2 shown]
	v_lshrrev_b32_e32 v38, 16, v38
	v_pk_fma_f16 v24, v21, v42, v26
	v_pk_fma_f16 v21, v21, v101, v25
	v_lshrrev_b32_e32 v26, 16, v2
	v_pk_fma_f16 v25, v22, v96, v27
	v_pk_fma_f16 v20, v22, v43, v20
	;; [unrolled: 1-line block ×3, first 2 shown]
	v_and_b32_e32 v2, 0xffff, v2
	v_pk_fma_f16 v21, v23, v43, v21
	v_mul_u32_u24_e32 v37, 0x10001, v37
	v_pk_fma_f16 v23, v16, v103, v25
	v_pk_fma_f16 v16, v16, v36, v20
	;; [unrolled: 1-line block ×3, first 2 shown]
	v_mul_u32_u24_e32 v22, 0x10001, v2
	v_pk_fma_f16 v2, v17, v36, v21
	v_and_b32_e32 v106, 0xffff, v39
	v_lshrrev_b32_e32 v39, 16, v39
	v_mul_u32_u24_e32 v105, 0x10001, v105
	v_mul_u32_u24_e32 v38, 0x10001, v38
	v_pk_fma_f16 v17, v18, v104, v23
	v_pk_fma_f16 v16, v18, v37, v16
	;; [unrolled: 1-line block ×4, first 2 shown]
	v_mul_u32_u24_e32 v106, 0x10001, v106
	v_mul_u32_u24_e32 v39, 0x10001, v39
	v_lshrrev_b32_e32 v107, 16, v0
	v_and_b32_e32 v0, 0xffff, v0
	v_pk_fma_f16 v17, v12, v105, v17
	v_pk_fma_f16 v12, v12, v38, v16
	;; [unrolled: 1-line block ×4, first 2 shown]
	v_mul_u32_u24_e32 v0, 0x10001, v0
	v_mul_u32_u24_e32 v44, 0x10001, v107
	v_lshrrev_b32_e32 v30, 16, v1
	v_and_b32_e32 v1, 0xffff, v1
	v_pk_fma_f16 v13, v14, v106, v17
	v_pk_fma_f16 v12, v14, v39, v12
	;; [unrolled: 1-line block ×3, first 2 shown]
	s_wait_loadcnt_dscnt 0x0
	s_barrier_signal -1
	s_barrier_wait -1
	global_inv scope:SCOPE_SE
	ds_load_b128 v[16:19], v77 offset:64
	v_pk_fma_f16 v2, v15, v39, v2
	v_mul_u32_u24_e32 v1, 0x10001, v1
	v_mul_u32_u24_e32 v28, 0x10001, v30
	v_lshrrev_b32_e32 v21, 16, v3
	v_and_b32_e32 v3, 0xffff, v3
	v_pk_fma_f16 v13, v8, v0, v13
	v_pk_fma_f16 v8, v8, v44, v12
	;; [unrolled: 1-line block ×4, first 2 shown]
	v_mul_u32_u24_e32 v12, 0x10001, v3
	v_pk_fma_f16 v9, v10, v1, v13
	v_pk_fma_f16 v8, v10, v28, v8
	;; [unrolled: 1-line block ×4, first 2 shown]
	ds_load_2addr_b64 v[0:3], v62 offset1:24
	v_mul_u32_u24_e32 v20, 0x10001, v26
	v_pk_fma_f16 v9, v4, v22, v9
	v_mul_u32_u24_e32 v13, 0x10001, v21
	v_pk_fma_f16 v14, v5, v22, v10
	v_fmac_f32_e32 v88, v86, v91
	v_pk_fma_f16 v4, v4, v20, v8
	v_pk_fma_f16 v5, v5, v20, v11
	;; [unrolled: 1-line block ×3, first 2 shown]
	ds_load_b128 v[8:11], v77 offset:80
	s_wait_dscnt 0x2
	v_and_b32_e32 v15, 0xffff, v16
	v_lshrrev_b32_e32 v16, 16, v16
	v_pk_fma_f16 v25, v6, v13, v4
	v_pk_fma_f16 v26, v7, v12, v14
	v_pk_fma_f16 v27, v7, v13, v5
	v_mul_u32_u24_e32 v28, 0x10001, v15
	v_mul_u32_u24_e32 v16, 0x10001, v16
	v_and_b32_e32 v29, 0xffff, v17
	v_lshrrev_b32_e32 v17, 16, v17
	ds_load_2addr_b64 v[4:7], v62 offset0:48 offset1:72
	ds_load_b128 v[12:15], v77 offset:96
	ds_load_b128 v[20:23], v77 offset:112
	s_wait_dscnt 0x4
	v_pk_fma_f16 v24, v0, v28, v24
	v_pk_fma_f16 v0, v0, v16, v25
	v_mul_u32_u24_e32 v29, 0x10001, v29
	v_pk_fma_f16 v25, v1, v28, v26
	v_mul_u32_u24_e32 v17, 0x10001, v17
	v_pk_fma_f16 v1, v1, v16, v27
	v_and_b32_e32 v27, 0xffff, v19
	v_pk_fma_f16 v16, v2, v29, v24
	v_and_b32_e32 v24, 0xffff, v18
	v_lshrrev_b32_e32 v18, 16, v18
	v_pk_fma_f16 v26, v2, v17, v0
	v_pk_fma_f16 v25, v3, v29, v25
	;; [unrolled: 1-line block ×3, first 2 shown]
	ds_load_2addr_b64 v[0:3], v62 offset0:96 offset1:120
	v_mul_u32_u24_e32 v24, 0x10001, v24
	v_mul_u32_u24_e32 v18, 0x10001, v18
	v_lshrrev_b32_e32 v19, 16, v19
	s_wait_dscnt 0x3
	s_delay_alu instid0(VALU_DEP_3) | instskip(NEXT) | instid1(VALU_DEP_3)
	v_pk_fma_f16 v16, v4, v24, v16
	v_pk_fma_f16 v4, v4, v18, v26
	;; [unrolled: 1-line block ×3, first 2 shown]
	v_mul_u32_u24_e32 v25, 0x10001, v27
	v_mul_u32_u24_e32 v26, 0x10001, v19
	v_pk_fma_f16 v5, v5, v18, v17
	v_and_b32_e32 v17, 0xffff, v8
	v_lshrrev_b32_e32 v8, 16, v8
	v_pk_fma_f16 v27, v6, v25, v16
	v_pk_fma_f16 v4, v6, v26, v4
	;; [unrolled: 1-line block ×3, first 2 shown]
	v_mul_u32_u24_e32 v24, 0x10001, v17
	v_mul_u32_u24_e32 v8, 0x10001, v8
	v_and_b32_e32 v25, 0xffff, v9
	ds_load_2addr_b64 v[16:19], v62 offset0:144 offset1:168
	v_pk_fma_f16 v5, v7, v26, v5
	v_lshrrev_b32_e32 v7, 16, v9
	s_wait_dscnt 0x1
	v_pk_fma_f16 v9, v0, v24, v27
	v_mul_u32_u24_e32 v25, 0x10001, v25
	v_pk_fma_f16 v0, v0, v8, v4
	v_pk_fma_f16 v4, v1, v24, v6
	v_mul_u32_u24_e32 v6, 0x10001, v7
	v_pk_fma_f16 v1, v1, v8, v5
	v_pk_fma_f16 v5, v2, v25, v9
	v_and_b32_e32 v7, 0xffff, v10
	v_lshrrev_b32_e32 v8, 16, v10
	v_pk_fma_f16 v9, v2, v6, v0
	v_pk_fma_f16 v4, v3, v25, v4
	;; [unrolled: 1-line block ×3, first 2 shown]
	ds_load_2addr_b64 v[0:3], v62 offset0:192 offset1:216
	v_mul_u32_u24_e32 v7, 0x10001, v7
	v_mul_u32_u24_e32 v8, 0x10001, v8
	v_and_b32_e32 v10, 0xffff, v11
	v_lshrrev_b32_e32 v11, 16, v11
	s_wait_dscnt 0x1
	v_pk_fma_f16 v5, v16, v7, v5
	v_pk_fma_f16 v9, v16, v8, v9
	;; [unrolled: 1-line block ×3, first 2 shown]
	v_mul_u32_u24_e32 v7, 0x10001, v10
	v_mul_u32_u24_e32 v10, 0x10001, v11
	v_pk_fma_f16 v8, v17, v8, v6
	v_and_b32_e32 v6, 0xffff, v12
	v_lshrrev_b32_e32 v11, 16, v12
	v_pk_fma_f16 v12, v18, v7, v5
	v_pk_fma_f16 v9, v18, v10, v9
	;; [unrolled: 1-line block ×3, first 2 shown]
	v_mul_u32_u24_e32 v17, 0x10001, v6
	v_mul_u32_u24_e32 v11, 0x10001, v11
	v_and_b32_e32 v18, 0xffff, v13
	ds_load_2addr_b64 v[4:7], v90 offset0:112 offset1:136
	v_pk_fma_f16 v8, v19, v10, v8
	v_lshrrev_b32_e32 v10, 16, v13
	s_wait_dscnt 0x1
	v_pk_fma_f16 v12, v0, v17, v12
	v_pk_fma_f16 v0, v0, v11, v9
	v_mul_u32_u24_e32 v9, 0x10001, v18
	v_pk_fma_f16 v13, v1, v17, v16
	v_mul_u32_u24_e32 v16, 0x10001, v10
	v_pk_fma_f16 v1, v1, v11, v8
	v_and_b32_e32 v8, 0xffff, v14
	v_pk_fma_f16 v12, v2, v9, v12
	v_lshrrev_b32_e32 v14, 16, v14
	v_pk_fma_f16 v0, v2, v16, v0
	v_pk_fma_f16 v2, v3, v9, v13
	v_mul_u32_u24_e32 v13, 0x10001, v8
	ds_load_2addr_b64 v[8:11], v89 offset0:32 offset1:56
	v_mul_u32_u24_e32 v14, 0x10001, v14
	v_pk_fma_f16 v1, v3, v16, v1
	v_and_b32_e32 v3, 0xffff, v15
	v_lshrrev_b32_e32 v15, 16, v15
	s_wait_dscnt 0x1
	v_pk_fma_f16 v12, v4, v13, v12
	v_pk_fma_f16 v0, v4, v14, v0
	;; [unrolled: 1-line block ×3, first 2 shown]
	v_mul_u32_u24_e32 v3, 0x10001, v3
	v_mul_u32_u24_e32 v4, 0x10001, v15
	v_lshrrev_b32_e32 v15, 16, v20
	v_and_b32_e32 v13, 0xffff, v20
	v_pk_fma_f16 v1, v5, v14, v1
	v_pk_fma_f16 v5, v6, v3, v12
	;; [unrolled: 1-line block ×3, first 2 shown]
	v_mul_u32_u24_e32 v12, 0x10001, v15
	v_mul_u32_u24_e32 v6, 0x10001, v13
	v_pk_fma_f16 v13, v7, v3, v2
	v_pk_fma_f16 v4, v7, v4, v1
	v_lshrrev_b32_e32 v14, 16, v21
	s_wait_dscnt 0x0
	v_pk_fma_f16 v7, v8, v12, v0
	ds_load_2addr_b64 v[0:3], v89 offset0:80 offset1:104
	s_wait_loadcnt_dscnt 0x0
	s_barrier_signal -1
	s_barrier_wait -1
	global_inv scope:SCOPE_SE
	s_load_b32 s6, s[42:43], 0x4
	v_pk_fma_f16 v5, v8, v6, v5
	v_and_b32_e32 v8, 0xffff, v21
	v_pk_fma_f16 v6, v9, v6, v13
	v_pk_fma_f16 v4, v9, v12, v4
	v_mul_u32_u24_e32 v9, 0x10001, v14
	v_and_b32_e32 v12, 0xffff, v22
	v_mul_u32_u24_e32 v8, 0x10001, v8
	v_lshrrev_b32_e32 v13, 16, v22
	s_delay_alu instid0(VALU_DEP_4) | instskip(SKIP_1) | instid1(VALU_DEP_4)
	v_pk_fma_f16 v7, v10, v9, v7
	v_pk_fma_f16 v4, v11, v9, v4
	;; [unrolled: 1-line block ×4, first 2 shown]
	v_mul_u32_u24_e32 v8, 0x10001, v12
	v_mul_u32_u24_e32 v10, 0x10001, v13
	v_and_b32_e32 v12, 0xffff, v23
	v_lshrrev_b32_e32 v13, 16, v23
	s_delay_alu instid0(VALU_DEP_4) | instskip(NEXT) | instid1(VALU_DEP_4)
	v_pk_fma_f16 v5, v0, v8, v5
	v_pk_fma_f16 v0, v0, v10, v7
	s_delay_alu instid0(VALU_DEP_4) | instskip(NEXT) | instid1(VALU_DEP_4)
	v_mul_u32_u24_e32 v7, 0x10001, v12
	v_mul_u32_u24_e32 v9, 0x10001, v13
	v_pk_fma_f16 v6, v1, v8, v6
	v_pk_fma_f16 v1, v1, v10, v4
	s_wait_kmcnt 0x0
	s_lshl_b32 s6, s6, 5
	v_pk_fma_f16 v80, v2, v7, v5
	v_pk_fma_f16 v71, v2, v9, v0
	;; [unrolled: 1-line block ×4, first 2 shown]
	s_wait_alu 0xfffe
	s_add_co_i32 s36, s6, s36
	s_wait_alu 0xfffe
	s_cmp_ge_i32 s36, s30
	s_cbranch_scc1 .LBB40_29
; %bb.28:                               ;   in Loop: Header=BB40_11 Depth=1
	v_dual_mov_b32 v0, v60 :: v_dual_mov_b32 v1, v61
	v_dual_mov_b32 v86, v88 :: v_dual_mov_b32 v85, v87
	s_branch .LBB40_11
.LBB40_29:
	v_mov_b32_e32 v2, v63
.LBB40_30:
	v_cmp_lt_i32_e32 vcc_lo, v70, v65
	s_cmp_lg_u64 s[12:13], 0
	s_cselect_b32 s3, -1, 0
	s_cmp_eq_u32 s14, 0
	s_wait_alu 0xfffd
	v_cndmask_b32_e32 v0, v2, v70, vcc_lo
	v_cmp_lt_i32_e32 vcc_lo, v69, v65
	s_cselect_b32 s4, -1, 0
	s_wait_alu 0xfffe
	s_and_b32 s3, s4, s3
	s_wait_alu 0xfffd
	v_cndmask_b32_e32 v3, v2, v69, vcc_lo
	v_cmp_lt_i32_e32 vcc_lo, v68, v65
	s_delay_alu instid0(VALU_DEP_2)
	v_lshlrev_b32_e32 v3, 2, v3
	v_lshlrev_b32_e32 v0, 2, v0
	ds_bpermute_b32 v1, v0, v88
	s_wait_dscnt 0x0
	v_add_f32_e32 v1, v88, v1
	ds_bpermute_b32 v0, v0, v87
	ds_bpermute_b32 v4, v3, v1
	s_wait_dscnt 0x1
	v_add_f32_e32 v0, v87, v0
	s_wait_dscnt 0x0
	v_add_f32_e32 v1, v1, v4
	ds_bpermute_b32 v3, v3, v0
	s_wait_alu 0xfffd
	v_cndmask_b32_e32 v5, v2, v68, vcc_lo
	v_cmp_lt_i32_e32 vcc_lo, v67, v65
	s_wait_dscnt 0x0
	s_delay_alu instid0(VALU_DEP_2)
	v_dual_add_f32 v0, v0, v3 :: v_dual_lshlrev_b32 v5, 2, v5
	ds_bpermute_b32 v4, v5, v0
	s_wait_dscnt 0x0
	v_add_f32_e32 v0, v0, v4
	ds_bpermute_b32 v3, v5, v1
	s_wait_alu 0xfffd
	v_cndmask_b32_e32 v5, v2, v67, vcc_lo
	v_cmp_lt_i32_e32 vcc_lo, v66, v65
	s_wait_alu 0xfffd
	v_cndmask_b32_e32 v2, v2, v66, vcc_lo
	s_wait_alu 0xfffe
	s_and_b32 vcc_lo, exec_lo, s3
	s_delay_alu instid0(VALU_DEP_1)
	v_lshlrev_b32_e32 v2, 2, v2
	v_lshlrev_b32_e32 v5, 2, v5
	ds_bpermute_b32 v4, v5, v0
	s_wait_dscnt 0x1
	v_add_f32_e32 v1, v1, v3
	ds_bpermute_b32 v3, v5, v1
	s_wait_dscnt 0x0
	v_add_f32_e32 v1, v1, v3
	v_add_f32_e32 v3, v0, v4
	ds_bpermute_b32 v0, v2, v1
	ds_bpermute_b32 v2, v2, v3
	s_wait_dscnt 0x0
	v_dual_add_f32 v0, v1, v0 :: v_dual_add_f32 v1, v3, v2
	s_wait_alu 0xfffe
	s_cbranch_vccz .LBB40_33
; %bb.31:
	s_ashr_i32 s21, s20, 31
	v_mov_b32_e32 v2, 0
	s_wait_alu 0xfffe
	s_lshl_b64 s[4:5], s[20:21], 2
	s_wait_alu 0xfffe
	s_add_nc_u64 s[4:5], s[12:13], s[4:5]
	global_load_b64 v[2:3], v2, s[4:5]
	s_wait_loadcnt 0x0
	v_dual_max_num_f32 v4, v60, v60 :: v_dual_max_num_f32 v5, v2, v2
	s_delay_alu instid0(VALU_DEP_1) | instskip(NEXT) | instid1(VALU_DEP_1)
	v_dual_max_num_f32 v7, v3, v3 :: v_dual_max_num_f32 v4, v4, v5
	v_sub_f32_e32 v2, v2, v4
	s_delay_alu instid0(VALU_DEP_1) | instskip(NEXT) | instid1(VALU_DEP_1)
	v_dual_max_num_f32 v6, v61, v61 :: v_dual_mul_f32 v9, 0x3fb8aa3b, v2
	v_dual_max_num_f32 v5, v6, v7 :: v_dual_sub_f32 v6, v60, v4
	s_delay_alu instid0(VALU_DEP_2) | instskip(NEXT) | instid1(VALU_DEP_2)
	v_rndne_f32_e32 v17, v9
	v_sub_f32_e32 v7, v61, v5
	s_delay_alu instid0(VALU_DEP_3) | instskip(SKIP_1) | instid1(VALU_DEP_3)
	v_dual_sub_f32 v3, v3, v5 :: v_dual_mul_f32 v8, 0x3fb8aa3b, v6
	v_fma_f32 v14, 0x3fb8aa3b, v2, -v9
	v_dual_sub_f32 v9, v9, v17 :: v_dual_mul_f32 v10, 0x3fb8aa3b, v7
	s_delay_alu instid0(VALU_DEP_3) | instskip(NEXT) | instid1(VALU_DEP_4)
	v_mul_f32_e32 v11, 0x3fb8aa3b, v3
	v_fma_f32 v12, 0x3fb8aa3b, v6, -v8
	v_rndne_f32_e32 v13, v8
	v_fmac_f32_e32 v14, 0x32a5705f, v2
	v_fma_f32 v15, 0x3fb8aa3b, v7, -v10
	v_rndne_f32_e32 v16, v10
	v_fmac_f32_e32 v12, 0x32a5705f, v6
	v_fma_f32 v18, 0x3fb8aa3b, v3, -v11
	v_rndne_f32_e32 v19, v11
	v_dual_sub_f32 v8, v8, v13 :: v_dual_fmac_f32 v15, 0x32a5705f, v7
	v_dual_sub_f32 v10, v10, v16 :: v_dual_add_f32 v9, v9, v14
	s_delay_alu instid0(VALU_DEP_4) | instskip(NEXT) | instid1(VALU_DEP_3)
	v_dual_fmac_f32 v18, 0x32a5705f, v3 :: v_dual_mov_b32 v61, v5
	v_dual_sub_f32 v11, v11, v19 :: v_dual_add_f32 v8, v8, v12
	s_delay_alu instid0(VALU_DEP_3) | instskip(SKIP_2) | instid1(VALU_DEP_4)
	v_add_f32_e32 v10, v10, v15
	v_cvt_i32_f32_e32 v12, v13
	v_cvt_i32_f32_e32 v13, v16
	v_add_f32_e32 v11, v11, v18
	v_exp_f32_e32 v8, v8
	v_exp_f32_e32 v10, v10
	v_cmp_ngt_f32_e32 vcc_lo, 0xc2ce8ed0, v6
	v_exp_f32_e32 v9, v9
	v_cvt_i32_f32_e32 v14, v17
	v_exp_f32_e32 v11, v11
	v_mov_b32_e32 v60, v4
	v_ldexp_f32 v8, v8, v12
	s_delay_alu instid0(TRANS32_DEP_3) | instskip(SKIP_1) | instid1(TRANS32_DEP_2)
	v_ldexp_f32 v10, v10, v13
	v_cvt_i32_f32_e32 v12, v19
	v_ldexp_f32 v9, v9, v14
	s_wait_alu 0xfffd
	v_cndmask_b32_e32 v8, 0, v8, vcc_lo
	v_cmp_ngt_f32_e32 vcc_lo, 0xc2ce8ed0, v7
	s_wait_alu 0xfffd
	v_cndmask_b32_e32 v10, 0, v10, vcc_lo
	v_cmp_nlt_f32_e32 vcc_lo, 0x42b17218, v6
	s_wait_alu 0xfffd
	v_cndmask_b32_e32 v6, 0x7f800000, v8, vcc_lo
	v_cmp_nlt_f32_e32 vcc_lo, 0x42b17218, v7
	v_ldexp_f32 v8, v11, v12
	s_wait_alu 0xfffd
	v_cndmask_b32_e32 v7, 0x7f800000, v10, vcc_lo
	v_cmp_ngt_f32_e32 vcc_lo, 0xc2ce8ed0, v2
	s_delay_alu instid0(VALU_DEP_2)
	v_cvt_f16_f32_e32 v11, v7
	s_wait_alu 0xfffd
	v_cndmask_b32_e32 v9, 0, v9, vcc_lo
	v_cmp_ngt_f32_e32 vcc_lo, 0xc2ce8ed0, v3
	s_wait_alu 0xfffd
	v_cndmask_b32_e32 v8, 0, v8, vcc_lo
	v_cmp_nlt_f32_e32 vcc_lo, 0x42b17218, v2
	s_wait_alu 0xfffd
	v_cndmask_b32_e32 v2, 0x7f800000, v9, vcc_lo
	v_cmp_nlt_f32_e32 vcc_lo, 0x42b17218, v3
	s_wait_alu 0xfffd
	v_cndmask_b32_e32 v3, 0x7f800000, v8, vcc_lo
	s_delay_alu instid0(VALU_DEP_1) | instskip(NEXT) | instid1(VALU_DEP_1)
	v_fmac_f32_e32 v3, v1, v7
	v_mov_b32_e32 v1, v3
	v_cvt_f16_f32_e32 v10, v6
	v_fmac_f32_e32 v2, v0, v6
	s_delay_alu instid0(VALU_DEP_2) | instskip(SKIP_1) | instid1(VALU_DEP_3)
	v_and_b32_e32 v9, 0xffff, v10
	v_and_b32_e32 v10, 0xffff, v11
	v_mov_b32_e32 v0, v2
	s_delay_alu instid0(VALU_DEP_3) | instskip(NEXT) | instid1(VALU_DEP_3)
	v_mul_u32_u24_e32 v6, 0x10001, v9
	v_mul_u32_u24_e32 v4, 0x10001, v10
	s_delay_alu instid0(VALU_DEP_2) | instskip(SKIP_1) | instid1(VALU_DEP_3)
	v_pk_mul_f16 v80, v80, v6
	v_pk_mul_f16 v84, v84, v6
	;; [unrolled: 1-line block ×4, first 2 shown]
	s_mov_b32 s3, exec_lo
	v_cmpx_gt_i32_e64 s22, v50
	s_cbranch_execnz .LBB40_34
.LBB40_32:
	s_nop 0
	s_sendmsg sendmsg(MSG_DEALLOC_VGPRS)
	s_endpgm
.LBB40_33:
	s_delay_alu instid0(VALU_DEP_1)
	v_dual_mov_b32 v3, v1 :: v_dual_mov_b32 v2, v0
	s_mov_b32 s3, exec_lo
	v_cmpx_gt_i32_e64 s22, v50
	s_cbranch_execz .LBB40_32
.LBB40_34:
	s_load_b32 s0, s[0:1], 0xd4
	v_mov_b32_e32 v6, 1.0
	s_wait_kmcnt 0x0
	s_cmp_lg_u32 s0, 1
	s_cselect_b32 s3, -1, 0
	s_cmp_eq_u32 s0, 1
	s_cselect_b32 s1, -1, 0
	s_wait_alu 0xfffe
	s_and_b32 vcc_lo, exec_lo, s3
	s_wait_alu 0xfffe
	s_cbranch_vccnz .LBB40_36
; %bb.35:
	v_div_scale_f32 v4, null, v0, v0, 1.0
	s_delay_alu instid0(VALU_DEP_1) | instskip(NEXT) | instid1(TRANS32_DEP_1)
	v_rcp_f32_e32 v5, v4
	v_fma_f32 v6, -v4, v5, 1.0
	s_delay_alu instid0(VALU_DEP_1) | instskip(SKIP_1) | instid1(VALU_DEP_1)
	v_fmac_f32_e32 v5, v6, v5
	v_div_scale_f32 v6, vcc_lo, 1.0, v0, 1.0
	v_mul_f32_e32 v7, v6, v5
	s_delay_alu instid0(VALU_DEP_1) | instskip(NEXT) | instid1(VALU_DEP_1)
	v_fma_f32 v8, -v4, v7, v6
	v_fmac_f32_e32 v7, v8, v5
	s_delay_alu instid0(VALU_DEP_1) | instskip(SKIP_1) | instid1(VALU_DEP_1)
	v_fma_f32 v4, -v4, v7, v6
	s_wait_alu 0xfffd
	v_div_fmas_f32 v4, v4, v5, v7
	s_delay_alu instid0(VALU_DEP_1)
	v_div_fixup_f32 v6, v4, v0, 1.0
.LBB40_36:
	v_mad_co_u64_u32 v[4:5], null, s28, s22, v[50:51]
	s_delay_alu instid0(VALU_DEP_1) | instskip(NEXT) | instid1(VALU_DEP_1)
	v_mad_co_u64_u32 v[4:5], null, v4, s23, s[20:21]
	v_mad_co_u64_u32 v[4:5], null, s0, v4, s[14:15]
	s_and_saveexec_b32 s4, s2
	s_cbranch_execz .LBB40_38
; %bb.37:
	v_lshrrev_b32_e32 v0, 16, v84
	v_mad_co_u64_u32 v[7:8], null, 0x60, v4, v[48:49]
	v_lshrrev_b32_e32 v5, 16, v80
	v_cvt_f32_f16_e32 v12, v84
	s_delay_alu instid0(VALU_DEP_4) | instskip(SKIP_3) | instid1(VALU_DEP_4)
	v_cvt_f32_f16_e32 v0, v0
	v_mov_b32_e32 v8, 0
	v_cvt_f32_f16_e32 v13, v80
	v_cvt_f32_f16_e32 v5, v5
	v_mul_f32_e32 v9, v6, v0
	s_delay_alu instid0(VALU_DEP_4) | instskip(NEXT) | instid1(VALU_DEP_1)
	v_lshlrev_b64_e32 v[7:8], 2, v[7:8]
	v_add_co_u32 v10, vcc_lo, s16, v7
	s_wait_alu 0xfffd
	s_delay_alu instid0(VALU_DEP_2)
	v_add_co_ci_u32_e64 v11, null, s17, v8, vcc_lo
	v_mul_f32_e32 v8, v6, v12
	v_mul_f32_e32 v7, v6, v5
	;; [unrolled: 1-line block ×3, first 2 shown]
	global_store_b128 v[10:11], v[6:9], off
.LBB40_38:
	s_wait_alu 0xfffe
	s_or_b32 exec_lo, exec_lo, s4
	v_cmp_eq_u32_e32 vcc_lo, 0, v49
	s_and_b32 s3, vcc_lo, s3
	s_wait_alu 0xfffe
	s_and_saveexec_b32 s4, s3
	s_cbranch_execnz .LBB40_42
; %bb.39:
	s_wait_alu 0xfffe
	s_or_b32 exec_lo, exec_lo, s4
	v_mov_b32_e32 v2, 1.0
	s_and_not1_b32 vcc_lo, exec_lo, s1
	s_wait_alu 0xfffe
	s_cbranch_vccz .LBB40_43
.LBB40_40:
	v_add_nc_u32_e32 v0, s0, v4
	s_and_saveexec_b32 s0, s2
	s_cbranch_execnz .LBB40_44
.LBB40_41:
	s_wait_alu 0xfffe
	s_or_b32 exec_lo, exec_lo, s0
	s_delay_alu instid0(SALU_CYCLE_1)
	s_and_b32 exec_lo, exec_lo, s3
	s_cbranch_execz .LBB40_32
	s_branch .LBB40_45
.LBB40_42:
	v_ashrrev_i32_e32 v5, 31, v4
	v_dual_mov_b32 v7, v60 :: v_dual_mov_b32 v8, v2
	s_delay_alu instid0(VALU_DEP_2) | instskip(NEXT) | instid1(VALU_DEP_1)
	v_lshlrev_b64_e32 v[5:6], 3, v[4:5]
	v_add_co_u32 v5, vcc_lo, s18, v5
	s_wait_alu 0xfffd
	s_delay_alu instid0(VALU_DEP_2)
	v_add_co_ci_u32_e64 v6, null, s19, v6, vcc_lo
	global_store_b64 v[5:6], v[7:8], off
	s_wait_alu 0xfffe
	s_or_b32 exec_lo, exec_lo, s4
	v_mov_b32_e32 v2, 1.0
	s_and_not1_b32 vcc_lo, exec_lo, s1
	s_wait_alu 0xfffe
	s_cbranch_vccnz .LBB40_40
.LBB40_43:
	v_div_scale_f32 v0, null, v1, v1, 1.0
	s_delay_alu instid0(VALU_DEP_1) | instskip(NEXT) | instid1(TRANS32_DEP_1)
	v_rcp_f32_e32 v2, v0
	v_fma_f32 v5, -v0, v2, 1.0
	s_delay_alu instid0(VALU_DEP_1) | instskip(SKIP_1) | instid1(VALU_DEP_1)
	v_fmac_f32_e32 v2, v5, v2
	v_div_scale_f32 v5, vcc_lo, 1.0, v1, 1.0
	v_mul_f32_e32 v6, v5, v2
	s_delay_alu instid0(VALU_DEP_1) | instskip(NEXT) | instid1(VALU_DEP_1)
	v_fma_f32 v7, -v0, v6, v5
	v_fmac_f32_e32 v6, v7, v2
	s_delay_alu instid0(VALU_DEP_1) | instskip(SKIP_1) | instid1(VALU_DEP_1)
	v_fma_f32 v0, -v0, v6, v5
	s_wait_alu 0xfffd
	v_div_fmas_f32 v0, v0, v2, v6
	s_delay_alu instid0(VALU_DEP_1)
	v_div_fixup_f32 v2, v0, v1, 1.0
	v_add_nc_u32_e32 v0, s0, v4
	s_and_saveexec_b32 s0, s2
	s_cbranch_execz .LBB40_41
.LBB40_44:
	s_delay_alu instid0(VALU_DEP_1)
	v_mad_co_u64_u32 v[4:5], null, 0x60, v0, v[48:49]
	v_lshrrev_b32_e32 v6, 16, v71
	v_cvt_f32_f16_e32 v10, v64
	v_mov_b32_e32 v5, 0
	v_lshrrev_b32_e32 v1, 16, v64
	v_cvt_f32_f16_e32 v11, v71
	v_cvt_f32_f16_e32 v12, v6
	v_mul_f32_e32 v6, v2, v10
	v_lshlrev_b64_e32 v[4:5], 2, v[4:5]
	v_cvt_f32_f16_e32 v1, v1
	s_delay_alu instid0(VALU_DEP_1) | instskip(NEXT) | instid1(VALU_DEP_3)
	v_mul_f32_e32 v7, v2, v1
	v_add_co_u32 v8, vcc_lo, s16, v4
	s_wait_alu 0xfffd
	s_delay_alu instid0(VALU_DEP_4)
	v_add_co_ci_u32_e64 v9, null, s17, v5, vcc_lo
	v_mul_f32_e32 v5, v2, v12
	v_mul_f32_e32 v4, v2, v11
	global_store_b128 v[8:9], v[4:7], off
	s_wait_alu 0xfffe
	s_or_b32 exec_lo, exec_lo, s0
	s_delay_alu instid0(SALU_CYCLE_1)
	s_and_b32 exec_lo, exec_lo, s3
	s_cbranch_execz .LBB40_32
.LBB40_45:
	v_ashrrev_i32_e32 v1, 31, v0
	v_mov_b32_e32 v2, v61
	s_delay_alu instid0(VALU_DEP_2) | instskip(NEXT) | instid1(VALU_DEP_1)
	v_lshlrev_b64_e32 v[0:1], 3, v[0:1]
	v_add_co_u32 v0, vcc_lo, s18, v0
	s_wait_alu 0xfffd
	s_delay_alu instid0(VALU_DEP_2)
	v_add_co_ci_u32_e64 v1, null, s19, v1, vcc_lo
	global_store_b64 v[0:1], v[2:3], off
	s_nop 0
	s_sendmsg sendmsg(MSG_DEALLOC_VGPRS)
	s_endpgm
	.section	.rodata,"a",@progbits
	.p2align	6, 0x0
	.amdhsa_kernel _ZL15flash_attn_tileILi96ELi96ELi8ELi2ELb0EEvPKcS1_S1_S1_S1_PKiPfP15HIP_vector_typeIfLj2EEffffjfiS5_IjLj3EEiiiiiiiiiiiliiliiiiil
		.amdhsa_group_segment_fixed_size 7808
		.amdhsa_private_segment_fixed_size 0
		.amdhsa_kernarg_size 464
		.amdhsa_user_sgpr_count 2
		.amdhsa_user_sgpr_dispatch_ptr 0
		.amdhsa_user_sgpr_queue_ptr 0
		.amdhsa_user_sgpr_kernarg_segment_ptr 1
		.amdhsa_user_sgpr_dispatch_id 0
		.amdhsa_user_sgpr_private_segment_size 0
		.amdhsa_wavefront_size32 1
		.amdhsa_uses_dynamic_stack 0
		.amdhsa_enable_private_segment 0
		.amdhsa_system_sgpr_workgroup_id_x 1
		.amdhsa_system_sgpr_workgroup_id_y 1
		.amdhsa_system_sgpr_workgroup_id_z 1
		.amdhsa_system_sgpr_workgroup_info 0
		.amdhsa_system_vgpr_workitem_id 1
		.amdhsa_next_free_vgpr 109
		.amdhsa_next_free_sgpr 46
		.amdhsa_reserve_vcc 1
		.amdhsa_float_round_mode_32 0
		.amdhsa_float_round_mode_16_64 0
		.amdhsa_float_denorm_mode_32 3
		.amdhsa_float_denorm_mode_16_64 3
		.amdhsa_fp16_overflow 0
		.amdhsa_workgroup_processor_mode 1
		.amdhsa_memory_ordered 1
		.amdhsa_forward_progress 1
		.amdhsa_inst_pref_size 64
		.amdhsa_round_robin_scheduling 0
		.amdhsa_exception_fp_ieee_invalid_op 0
		.amdhsa_exception_fp_denorm_src 0
		.amdhsa_exception_fp_ieee_div_zero 0
		.amdhsa_exception_fp_ieee_overflow 0
		.amdhsa_exception_fp_ieee_underflow 0
		.amdhsa_exception_fp_ieee_inexact 0
		.amdhsa_exception_int_div_zero 0
	.end_amdhsa_kernel
	.section	.text._ZL15flash_attn_tileILi96ELi96ELi8ELi2ELb0EEvPKcS1_S1_S1_S1_PKiPfP15HIP_vector_typeIfLj2EEffffjfiS5_IjLj3EEiiiiiiiiiiiliiliiiiil,"axG",@progbits,_ZL15flash_attn_tileILi96ELi96ELi8ELi2ELb0EEvPKcS1_S1_S1_S1_PKiPfP15HIP_vector_typeIfLj2EEffffjfiS5_IjLj3EEiiiiiiiiiiiliiliiiiil,comdat
.Lfunc_end40:
	.size	_ZL15flash_attn_tileILi96ELi96ELi8ELi2ELb0EEvPKcS1_S1_S1_S1_PKiPfP15HIP_vector_typeIfLj2EEffffjfiS5_IjLj3EEiiiiiiiiiiiliiliiiiil, .Lfunc_end40-_ZL15flash_attn_tileILi96ELi96ELi8ELi2ELb0EEvPKcS1_S1_S1_S1_PKiPfP15HIP_vector_typeIfLj2EEffffjfiS5_IjLj3EEiiiiiiiiiiiliiliiiiil
                                        ; -- End function
	.set _ZL15flash_attn_tileILi96ELi96ELi8ELi2ELb0EEvPKcS1_S1_S1_S1_PKiPfP15HIP_vector_typeIfLj2EEffffjfiS5_IjLj3EEiiiiiiiiiiiliiliiiiil.num_vgpr, 109
	.set _ZL15flash_attn_tileILi96ELi96ELi8ELi2ELb0EEvPKcS1_S1_S1_S1_PKiPfP15HIP_vector_typeIfLj2EEffffjfiS5_IjLj3EEiiiiiiiiiiiliiliiiiil.num_agpr, 0
	.set _ZL15flash_attn_tileILi96ELi96ELi8ELi2ELb0EEvPKcS1_S1_S1_S1_PKiPfP15HIP_vector_typeIfLj2EEffffjfiS5_IjLj3EEiiiiiiiiiiiliiliiiiil.numbered_sgpr, 46
	.set _ZL15flash_attn_tileILi96ELi96ELi8ELi2ELb0EEvPKcS1_S1_S1_S1_PKiPfP15HIP_vector_typeIfLj2EEffffjfiS5_IjLj3EEiiiiiiiiiiiliiliiiiil.num_named_barrier, 0
	.set _ZL15flash_attn_tileILi96ELi96ELi8ELi2ELb0EEvPKcS1_S1_S1_S1_PKiPfP15HIP_vector_typeIfLj2EEffffjfiS5_IjLj3EEiiiiiiiiiiiliiliiiiil.private_seg_size, 0
	.set _ZL15flash_attn_tileILi96ELi96ELi8ELi2ELb0EEvPKcS1_S1_S1_S1_PKiPfP15HIP_vector_typeIfLj2EEffffjfiS5_IjLj3EEiiiiiiiiiiiliiliiiiil.uses_vcc, 1
	.set _ZL15flash_attn_tileILi96ELi96ELi8ELi2ELb0EEvPKcS1_S1_S1_S1_PKiPfP15HIP_vector_typeIfLj2EEffffjfiS5_IjLj3EEiiiiiiiiiiiliiliiiiil.uses_flat_scratch, 0
	.set _ZL15flash_attn_tileILi96ELi96ELi8ELi2ELb0EEvPKcS1_S1_S1_S1_PKiPfP15HIP_vector_typeIfLj2EEffffjfiS5_IjLj3EEiiiiiiiiiiiliiliiiiil.has_dyn_sized_stack, 0
	.set _ZL15flash_attn_tileILi96ELi96ELi8ELi2ELb0EEvPKcS1_S1_S1_S1_PKiPfP15HIP_vector_typeIfLj2EEffffjfiS5_IjLj3EEiiiiiiiiiiiliiliiiiil.has_recursion, 0
	.set _ZL15flash_attn_tileILi96ELi96ELi8ELi2ELb0EEvPKcS1_S1_S1_S1_PKiPfP15HIP_vector_typeIfLj2EEffffjfiS5_IjLj3EEiiiiiiiiiiiliiliiiiil.has_indirect_call, 0
	.section	.AMDGPU.csdata,"",@progbits
; Kernel info:
; codeLenInByte = 8128
; TotalNumSgprs: 48
; NumVgprs: 109
; ScratchSize: 0
; MemoryBound: 0
; FloatMode: 240
; IeeeMode: 1
; LDSByteSize: 7808 bytes/workgroup (compile time only)
; SGPRBlocks: 0
; VGPRBlocks: 13
; NumSGPRsForWavesPerEU: 48
; NumVGPRsForWavesPerEU: 109
; Occupancy: 12
; WaveLimiterHint : 1
; COMPUTE_PGM_RSRC2:SCRATCH_EN: 0
; COMPUTE_PGM_RSRC2:USER_SGPR: 2
; COMPUTE_PGM_RSRC2:TRAP_HANDLER: 0
; COMPUTE_PGM_RSRC2:TGID_X_EN: 1
; COMPUTE_PGM_RSRC2:TGID_Y_EN: 1
; COMPUTE_PGM_RSRC2:TGID_Z_EN: 1
; COMPUTE_PGM_RSRC2:TIDIG_COMP_CNT: 1
	.section	.text._ZL33flash_attn_stream_k_fixup_uniformILi96ELi8ELi2EEvPfPK15HIP_vector_typeIfLj2EEiiiiiiS1_IjLj3EES5_S5_,"axG",@progbits,_ZL33flash_attn_stream_k_fixup_uniformILi96ELi8ELi2EEvPfPK15HIP_vector_typeIfLj2EEiiiiiiS1_IjLj3EES5_S5_,comdat
	.globl	_ZL33flash_attn_stream_k_fixup_uniformILi96ELi8ELi2EEvPfPK15HIP_vector_typeIfLj2EEiiiiiiS1_IjLj3EES5_S5_ ; -- Begin function _ZL33flash_attn_stream_k_fixup_uniformILi96ELi8ELi2EEvPfPK15HIP_vector_typeIfLj2EEiiiiiiS1_IjLj3EES5_S5_
	.p2align	8
	.type	_ZL33flash_attn_stream_k_fixup_uniformILi96ELi8ELi2EEvPfPK15HIP_vector_typeIfLj2EEiiiiiiS1_IjLj3EES5_S5_,@function
_ZL33flash_attn_stream_k_fixup_uniformILi96ELi8ELi2EEvPfPK15HIP_vector_typeIfLj2EEiiiiiiS1_IjLj3EES5_S5_: ; @_ZL33flash_attn_stream_k_fixup_uniformILi96ELi8ELi2EEvPfPK15HIP_vector_typeIfLj2EEiiiiiiS1_IjLj3EES5_S5_
; %bb.0:
	s_clause 0x1
	s_load_b256 s[4:11], s[0:1], 0x1c
	s_load_b128 s[12:15], s[0:1], 0x3c
	s_wait_kmcnt 0x0
	s_mul_hi_u32 s2, s7, ttmp9
	s_delay_alu instid0(SALU_CYCLE_1) | instskip(NEXT) | instid1(SALU_CYCLE_1)
	s_add_co_i32 s2, ttmp9, s2
	s_lshr_b32 s2, s2, s8
	s_delay_alu instid0(SALU_CYCLE_1) | instskip(SKIP_2) | instid1(SALU_CYCLE_1)
	s_mul_i32 s3, s2, s9
	s_load_b64 s[8:9], s[0:1], 0x10
	s_sub_co_i32 s3, ttmp9, s3
	s_mul_hi_u32 s7, s3, s10
	s_delay_alu instid0(SALU_CYCLE_1) | instskip(NEXT) | instid1(SALU_CYCLE_1)
	s_add_co_i32 s7, s3, s7
	s_lshr_b32 s7, s7, s11
	s_lshr_b32 s11, ttmp7, 16
	s_mul_i32 s10, s7, s12
	s_delay_alu instid0(SALU_CYCLE_1) | instskip(NEXT) | instid1(SALU_CYCLE_1)
	s_sub_co_i32 s3, s3, s10
	s_mul_hi_u32 s10, s3, s13
	s_delay_alu instid0(SALU_CYCLE_1) | instskip(NEXT) | instid1(SALU_CYCLE_1)
	s_add_co_i32 s10, s3, s10
	s_lshr_b32 s13, s10, s14
	s_delay_alu instid0(SALU_CYCLE_1) | instskip(SKIP_4) | instid1(SALU_CYCLE_1)
	s_mul_i32 s10, s13, s15
	s_lshl_b32 s13, s13, 1
	s_sub_co_i32 s12, s3, s10
	s_and_b32 s10, ttmp7, 0xffff
	s_lshl_b32 s3, s12, 3
	s_add_co_i32 s3, s3, s10
	s_wait_kmcnt 0x0
	s_cmp_lt_i32 s3, s8
	s_cselect_b32 s3, -1, 0
	s_add_co_i32 s13, s13, s11
	s_delay_alu instid0(SALU_CYCLE_1) | instskip(SKIP_1) | instid1(SALU_CYCLE_1)
	s_cmp_lt_i32 s13, s5
	s_cselect_b32 s14, -1, 0
	s_and_b32 s3, s3, s14
	s_delay_alu instid0(SALU_CYCLE_1)
	s_and_not1_b32 vcc_lo, exec_lo, s3
	s_cbranch_vccnz .LBB41_6
; %bb.1:
	s_mul_i32 s8, s2, s8
	s_mul_i32 s7, s7, s5
	s_add_co_i32 s8, s8, s10
	s_add_co_i32 s5, s13, s7
	s_mul_i32 s8, s8, s9
	s_load_b128 s[0:3], s[0:1], 0x0
	s_mul_i32 s7, s9, s12
	s_add_co_i32 s5, s5, s8
	s_mulk_i32 s7, 0x300
	s_mulk_i32 s5, 0x60
	s_mul_i32 s8, s6, ttmp9
	v_add3_u32 v1, s5, s7, v0
	s_lshl_b32 s5, s10, 1
	s_add_co_i32 s9, s8, s6
	s_delay_alu instid0(SALU_CYCLE_1) | instskip(NEXT) | instid1(VALU_DEP_1)
	s_add_co_i32 s7, s9, -2
	v_ashrrev_i32_e32 v2, 31, v1
	s_delay_alu instid0(VALU_DEP_1) | instskip(SKIP_1) | instid1(VALU_DEP_1)
	v_lshlrev_b64_e32 v[1:2], 2, v[1:2]
	s_wait_kmcnt 0x0
	v_add_co_u32 v1, vcc_lo, s0, v1
	s_delay_alu instid0(VALU_DEP_1)
	v_add_co_ci_u32_e64 v2, null, s1, v2, vcc_lo
	s_wait_alu 0xfffe
	s_add_co_i32 s0, s5, s11
	s_lshl_b32 s1, s9, 4
	global_load_b32 v5, v[1:2], off
	s_wait_alu 0xfffe
	s_add_co_i32 s0, s0, s1
	s_wait_alu 0xfffe
	s_add_co_i32 s0, s0, -16
	s_wait_alu 0xfffe
	s_ashr_i32 s1, s0, 31
	s_wait_alu 0xfffe
	s_lshl_b64 s[0:1], s[0:1], 3
	s_cmp_lt_i32 s7, s8
	s_wait_alu 0xfffe
	s_add_nc_u64 s[0:1], s[2:3], s[0:1]
	s_load_b32 s12, s[0:1], 0x4
	s_cbranch_scc1 .LBB41_4
; %bb.2:
	s_load_b32 s0, s[0:1], 0x0
	s_add_co_i32 s1, ttmp9, 1
	s_mulk_i32 s10, 0xc0
	s_wait_alu 0xfffe
	s_mul_i32 s1, s6, s1
	s_lshl_b32 s14, s4, 6
	s_wait_alu 0xfffe
	s_lshl_b32 s13, s1, 4
	s_mulk_i32 s1, 0x600
	s_add_co_i32 s13, s11, s13
	s_mulk_i32 s11, 0x60
	s_lshl_b32 s4, s4, 4
	s_add_co_i32 s10, s11, s10
	s_ashr_i32 s15, s14, 31
	s_wait_alu 0xfffe
	s_add_co_i32 s10, s10, s1
	s_add_co_i32 s1, s13, s4
	v_add3_u32 v3, s10, v0, 0xfffff400
	s_wait_kmcnt 0x0
	v_mov_b32_e32 v6, s12
	s_lshl_b64 s[6:7], s[14:15], 2
	s_wait_alu 0xfffe
	s_add_co_i32 s4, s1, s5
	s_add_nc_u64 s[6:7], s[2:3], s[6:7]
	s_add_co_i32 s1, s9, -1
	s_wait_alu 0xfffe
	s_sub_co_i32 s4, s4, 32
.LBB41_3:                               ; =>This Inner Loop Header: Depth=1
	v_ashrrev_i32_e32 v4, 31, v3
	s_wait_alu 0xfffe
	s_ashr_i32 s5, s4, 31
	v_mov_b32_e32 v10, v6
	s_wait_alu 0xfffe
	s_lshl_b64 s[10:11], s[4:5], 3
	s_wait_loadcnt 0x0
	v_mov_b32_e32 v9, v5
	v_lshlrev_b64_e32 v[7:8], 2, v[3:4]
	s_wait_alu 0xfffe
	s_add_nc_u64 s[10:11], s[2:3], s[10:11]
	v_max_num_f32_e64 v4, s0, s0
	s_load_b64 s[10:11], s[10:11], 0x0
	v_add_nc_u32_e32 v3, 0xfffffa00, v3
	v_add_co_u32 v7, vcc_lo, s6, v7
	s_wait_alu 0xfffd
	v_add_co_ci_u32_e64 v8, null, s7, v8, vcc_lo
	v_readfirstlane_b32 s5, v4
	global_load_b32 v0, v[7:8], off
	s_wait_kmcnt 0x0
	v_max_num_f32_e64 v4, s10, s10
	s_delay_alu instid0(VALU_DEP_1) | instskip(SKIP_2) | instid1(SALU_CYCLE_2)
	v_readfirstlane_b32 s9, v4
	s_max_num_f32 s5, s5, s9
	s_wait_alu 0xfffe
	s_sub_f32 s0, s0, s5
	s_sub_f32 s9, s10, s5
	s_wait_alu 0xfffe
	s_delay_alu instid0(SALU_CYCLE_1) | instskip(NEXT) | instid1(SALU_CYCLE_1)
	s_mul_f32 s10, s0, 0x3fb8aa3b
	s_mul_f32 s12, s9, 0x3fb8aa3b
	s_wait_alu 0xfffe
	s_delay_alu instid0(SALU_CYCLE_1)
	s_xor_b32 s13, s10, 0x80000000
	s_rndne_f32 s14, s10
	s_wait_alu 0xfffe
	s_fmamk_f32 s13, s0, 0x3fb8aa3b, s13
	s_cmp_nlt_f32 s0, 0xc2ce8ed0
	s_rndne_f32 s15, s12
	s_sub_f32 s10, s10, s14
	s_wait_alu 0xfffe
	s_fmamk_f32 s13, s0, 0x32a5705f, s13
	s_cvt_i32_f32 s14, s14
	s_cselect_b32 vcc_lo, -1, 0
	s_cmp_ngt_f32 s0, 0x42b17218
	s_wait_alu 0xfffe
	s_add_f32 s10, s10, s13
	s_sub_f32 s13, s12, s15
	s_wait_alu 0xfffe
	s_delay_alu instid0(SALU_CYCLE_1) | instskip(SKIP_1) | instid1(TRANS32_DEP_1)
	v_s_exp_f32 s10, s10
	s_wait_alu 0xf1ff
	v_ldexp_f32 v4, s10, s14
	s_cvt_i32_f32 s10, s15
	s_delay_alu instid0(VALU_DEP_1) | instskip(SKIP_3) | instid1(VALU_DEP_1)
	v_cndmask_b32_e32 v4, 0, v4, vcc_lo
	s_cselect_b32 vcc_lo, -1, 0
	s_cmp_ge_f32 s0, 0xc1a00000
	s_wait_alu 0xfffe
	v_cndmask_b32_e32 v4, 0x7f800000, v4, vcc_lo
	s_cselect_b32 vcc_lo, -1, 0
	s_xor_b32 s0, s12, 0x80000000
	s_cmp_nlt_f32 s9, 0xc2ce8ed0
	s_wait_alu 0xfffe
	s_fmamk_f32 s0, s9, 0x3fb8aa3b, s0
	s_wait_alu 0xfffe
	s_delay_alu instid0(SALU_CYCLE_2) | instskip(SKIP_1) | instid1(SALU_CYCLE_2)
	s_fmamk_f32 s0, s9, 0x32a5705f, s0
	s_wait_alu 0xfffe
	s_add_f32 s0, s13, s0
	s_wait_alu 0xfffe
	s_delay_alu instid0(SALU_CYCLE_2) | instskip(SKIP_1) | instid1(TRANS32_DEP_1)
	v_s_exp_f32 s0, s0
	s_wait_alu 0xf1ff
	v_ldexp_f32 v7, s0, s10
	s_cselect_b32 s0, -1, 0
	s_cmp_ngt_f32 s9, 0x42b17218
	s_wait_alu 0xfffe
	s_delay_alu instid0(VALU_DEP_1) | instskip(SKIP_3) | instid1(VALU_DEP_1)
	v_cndmask_b32_e64 v7, 0, v7, s0
	s_cselect_b32 s0, -1, 0
	s_cmp_ge_f32 s9, 0xc1a00000
	s_wait_alu 0xfffe
	v_cndmask_b32_e64 v7, 0x7f800000, v7, s0
	s_cselect_b32 s0, -1, 0
	s_add_co_i32 s1, s1, -1
	s_add_co_i32 s4, s4, -16
	s_wait_alu 0xfffe
	s_cmp_le_i32 s1, s8
	v_cndmask_b32_e64 v7, 0, v7, s0
	s_mov_b32 s0, s5
	s_wait_loadcnt 0x0
	s_delay_alu instid0(VALU_DEP_1) | instskip(NEXT) | instid1(VALU_DEP_1)
	v_dual_mul_f32 v5, v0, v7 :: v_dual_cndmask_b32 v4, 0, v4
	v_dual_mul_f32 v8, s11, v7 :: v_dual_fmac_f32 v5, v9, v4
	s_delay_alu instid0(VALU_DEP_1) | instskip(NEXT) | instid1(VALU_DEP_1)
	v_mov_b32_e32 v6, v8
	v_fmac_f32_e32 v6, v10, v4
	s_cbranch_scc0 .LBB41_3
	s_branch .LBB41_5
.LBB41_4:
	s_wait_kmcnt 0x0
	v_mov_b32_e32 v6, s12
.LBB41_5:
	s_wait_loadcnt 0x0
	s_delay_alu instid0(VALU_DEP_1) | instskip(NEXT) | instid1(VALU_DEP_1)
	v_div_scale_f32 v0, null, v6, v6, v5
	v_rcp_f32_e32 v3, v0
	s_delay_alu instid0(TRANS32_DEP_1) | instskip(NEXT) | instid1(VALU_DEP_1)
	v_fma_f32 v4, -v0, v3, 1.0
	v_fmac_f32_e32 v3, v4, v3
	v_div_scale_f32 v4, vcc_lo, v5, v6, v5
	s_delay_alu instid0(VALU_DEP_1) | instskip(NEXT) | instid1(VALU_DEP_1)
	v_mul_f32_e32 v7, v4, v3
	v_fma_f32 v8, -v0, v7, v4
	s_delay_alu instid0(VALU_DEP_1) | instskip(NEXT) | instid1(VALU_DEP_1)
	v_fmac_f32_e32 v7, v8, v3
	v_fma_f32 v0, -v0, v7, v4
	s_wait_alu 0xfffd
	s_delay_alu instid0(VALU_DEP_1) | instskip(NEXT) | instid1(VALU_DEP_1)
	v_div_fmas_f32 v0, v0, v3, v7
	v_div_fixup_f32 v0, v0, v6, v5
	global_store_b32 v[1:2], v0, off
.LBB41_6:
	s_endpgm
	.section	.rodata,"a",@progbits
	.p2align	6, 0x0
	.amdhsa_kernel _ZL33flash_attn_stream_k_fixup_uniformILi96ELi8ELi2EEvPfPK15HIP_vector_typeIfLj2EEiiiiiiS1_IjLj3EES5_S5_
		.amdhsa_group_segment_fixed_size 0
		.amdhsa_private_segment_fixed_size 0
		.amdhsa_kernarg_size 76
		.amdhsa_user_sgpr_count 2
		.amdhsa_user_sgpr_dispatch_ptr 0
		.amdhsa_user_sgpr_queue_ptr 0
		.amdhsa_user_sgpr_kernarg_segment_ptr 1
		.amdhsa_user_sgpr_dispatch_id 0
		.amdhsa_user_sgpr_private_segment_size 0
		.amdhsa_wavefront_size32 1
		.amdhsa_uses_dynamic_stack 0
		.amdhsa_enable_private_segment 0
		.amdhsa_system_sgpr_workgroup_id_x 1
		.amdhsa_system_sgpr_workgroup_id_y 1
		.amdhsa_system_sgpr_workgroup_id_z 1
		.amdhsa_system_sgpr_workgroup_info 0
		.amdhsa_system_vgpr_workitem_id 0
		.amdhsa_next_free_vgpr 11
		.amdhsa_next_free_sgpr 16
		.amdhsa_reserve_vcc 1
		.amdhsa_float_round_mode_32 0
		.amdhsa_float_round_mode_16_64 0
		.amdhsa_float_denorm_mode_32 3
		.amdhsa_float_denorm_mode_16_64 3
		.amdhsa_fp16_overflow 0
		.amdhsa_workgroup_processor_mode 1
		.amdhsa_memory_ordered 1
		.amdhsa_forward_progress 1
		.amdhsa_inst_pref_size 9
		.amdhsa_round_robin_scheduling 0
		.amdhsa_exception_fp_ieee_invalid_op 0
		.amdhsa_exception_fp_denorm_src 0
		.amdhsa_exception_fp_ieee_div_zero 0
		.amdhsa_exception_fp_ieee_overflow 0
		.amdhsa_exception_fp_ieee_underflow 0
		.amdhsa_exception_fp_ieee_inexact 0
		.amdhsa_exception_int_div_zero 0
	.end_amdhsa_kernel
	.section	.text._ZL33flash_attn_stream_k_fixup_uniformILi96ELi8ELi2EEvPfPK15HIP_vector_typeIfLj2EEiiiiiiS1_IjLj3EES5_S5_,"axG",@progbits,_ZL33flash_attn_stream_k_fixup_uniformILi96ELi8ELi2EEvPfPK15HIP_vector_typeIfLj2EEiiiiiiS1_IjLj3EES5_S5_,comdat
.Lfunc_end41:
	.size	_ZL33flash_attn_stream_k_fixup_uniformILi96ELi8ELi2EEvPfPK15HIP_vector_typeIfLj2EEiiiiiiS1_IjLj3EES5_S5_, .Lfunc_end41-_ZL33flash_attn_stream_k_fixup_uniformILi96ELi8ELi2EEvPfPK15HIP_vector_typeIfLj2EEiiiiiiS1_IjLj3EES5_S5_
                                        ; -- End function
	.set _ZL33flash_attn_stream_k_fixup_uniformILi96ELi8ELi2EEvPfPK15HIP_vector_typeIfLj2EEiiiiiiS1_IjLj3EES5_S5_.num_vgpr, 11
	.set _ZL33flash_attn_stream_k_fixup_uniformILi96ELi8ELi2EEvPfPK15HIP_vector_typeIfLj2EEiiiiiiS1_IjLj3EES5_S5_.num_agpr, 0
	.set _ZL33flash_attn_stream_k_fixup_uniformILi96ELi8ELi2EEvPfPK15HIP_vector_typeIfLj2EEiiiiiiS1_IjLj3EES5_S5_.numbered_sgpr, 16
	.set _ZL33flash_attn_stream_k_fixup_uniformILi96ELi8ELi2EEvPfPK15HIP_vector_typeIfLj2EEiiiiiiS1_IjLj3EES5_S5_.num_named_barrier, 0
	.set _ZL33flash_attn_stream_k_fixup_uniformILi96ELi8ELi2EEvPfPK15HIP_vector_typeIfLj2EEiiiiiiS1_IjLj3EES5_S5_.private_seg_size, 0
	.set _ZL33flash_attn_stream_k_fixup_uniformILi96ELi8ELi2EEvPfPK15HIP_vector_typeIfLj2EEiiiiiiS1_IjLj3EES5_S5_.uses_vcc, 1
	.set _ZL33flash_attn_stream_k_fixup_uniformILi96ELi8ELi2EEvPfPK15HIP_vector_typeIfLj2EEiiiiiiS1_IjLj3EES5_S5_.uses_flat_scratch, 0
	.set _ZL33flash_attn_stream_k_fixup_uniformILi96ELi8ELi2EEvPfPK15HIP_vector_typeIfLj2EEiiiiiiS1_IjLj3EES5_S5_.has_dyn_sized_stack, 0
	.set _ZL33flash_attn_stream_k_fixup_uniformILi96ELi8ELi2EEvPfPK15HIP_vector_typeIfLj2EEiiiiiiS1_IjLj3EES5_S5_.has_recursion, 0
	.set _ZL33flash_attn_stream_k_fixup_uniformILi96ELi8ELi2EEvPfPK15HIP_vector_typeIfLj2EEiiiiiiS1_IjLj3EES5_S5_.has_indirect_call, 0
	.section	.AMDGPU.csdata,"",@progbits
; Kernel info:
; codeLenInByte = 1148
; TotalNumSgprs: 18
; NumVgprs: 11
; ScratchSize: 0
; MemoryBound: 0
; FloatMode: 240
; IeeeMode: 1
; LDSByteSize: 0 bytes/workgroup (compile time only)
; SGPRBlocks: 0
; VGPRBlocks: 1
; NumSGPRsForWavesPerEU: 18
; NumVGPRsForWavesPerEU: 11
; Occupancy: 16
; WaveLimiterHint : 0
; COMPUTE_PGM_RSRC2:SCRATCH_EN: 0
; COMPUTE_PGM_RSRC2:USER_SGPR: 2
; COMPUTE_PGM_RSRC2:TRAP_HANDLER: 0
; COMPUTE_PGM_RSRC2:TGID_X_EN: 1
; COMPUTE_PGM_RSRC2:TGID_Y_EN: 1
; COMPUTE_PGM_RSRC2:TGID_Z_EN: 1
; COMPUTE_PGM_RSRC2:TIDIG_COMP_CNT: 0
	.section	.text._ZL33flash_attn_stream_k_fixup_generalILi96ELi8ELi2EEvPfPK15HIP_vector_typeIfLj2EEiiiiS1_IjLj3EES5_S5_S5_,"axG",@progbits,_ZL33flash_attn_stream_k_fixup_generalILi96ELi8ELi2EEvPfPK15HIP_vector_typeIfLj2EEiiiiS1_IjLj3EES5_S5_S5_,comdat
	.globl	_ZL33flash_attn_stream_k_fixup_generalILi96ELi8ELi2EEvPfPK15HIP_vector_typeIfLj2EEiiiiS1_IjLj3EES5_S5_S5_ ; -- Begin function _ZL33flash_attn_stream_k_fixup_generalILi96ELi8ELi2EEvPfPK15HIP_vector_typeIfLj2EEiiiiS1_IjLj3EES5_S5_S5_
	.p2align	8
	.type	_ZL33flash_attn_stream_k_fixup_generalILi96ELi8ELi2EEvPfPK15HIP_vector_typeIfLj2EEiiiiS1_IjLj3EES5_S5_S5_,@function
_ZL33flash_attn_stream_k_fixup_generalILi96ELi8ELi2EEvPfPK15HIP_vector_typeIfLj2EEiiiiS1_IjLj3EES5_S5_S5_: ; @_ZL33flash_attn_stream_k_fixup_generalILi96ELi8ELi2EEvPfPK15HIP_vector_typeIfLj2EEiiiiS1_IjLj3EES5_S5_S5_
; %bb.0:
	s_clause 0x1
	s_load_b128 s[4:7], s[0:1], 0x10
	s_load_b32 s16, s[0:1], 0x50
	s_mov_b32 s2, ttmp9
	s_ashr_i32 s3, ttmp9, 31
	s_mov_b32 s17, 0
	s_delay_alu instid0(SALU_CYCLE_1) | instskip(SKIP_3) | instid1(SALU_CYCLE_1)
	s_mov_b32 s8, s17
	s_wait_kmcnt 0x0
	s_ashr_i32 s19, s7, 31
	s_mov_b32 s18, s7
	s_mul_u64 s[2:3], s[18:19], s[2:3]
	s_delay_alu instid0(SALU_CYCLE_1) | instskip(NEXT) | instid1(SALU_CYCLE_1)
	s_mov_b32 s9, s3
	s_cmp_lg_u64 s[8:9], 0
	s_cbranch_scc0 .LBB42_21
; %bb.1:
	s_add_nc_u64 s[8:9], s[16:17], 0
	s_mov_b32 s15, s17
	s_xor_b64 s[8:9], s[8:9], 0
	s_mov_b32 s23, s17
	s_cvt_f32_u32 s7, s8
	s_cvt_f32_u32 s10, s9
	s_sub_nc_u64 s[12:13], 0, s[8:9]
	s_delay_alu instid0(SALU_CYCLE_2) | instskip(NEXT) | instid1(SALU_CYCLE_3)
	s_fmamk_f32 s7, s10, 0x4f800000, s7
	v_s_rcp_f32 s7, s7
	s_delay_alu instid0(TRANS32_DEP_1) | instskip(SKIP_1) | instid1(SALU_CYCLE_2)
	s_mul_f32 s7, s7, 0x5f7ffffc
	s_wait_alu 0xfffe
	s_mul_f32 s10, s7, 0x2f800000
	s_delay_alu instid0(SALU_CYCLE_3) | instskip(NEXT) | instid1(SALU_CYCLE_3)
	s_trunc_f32 s10, s10
	s_fmamk_f32 s7, s10, 0xcf800000, s7
	s_cvt_u32_f32 s11, s10
	s_wait_alu 0xfffe
	s_delay_alu instid0(SALU_CYCLE_1) | instskip(NEXT) | instid1(SALU_CYCLE_3)
	s_cvt_u32_f32 s10, s7
	s_mul_u64 s[20:21], s[12:13], s[10:11]
	s_delay_alu instid0(SALU_CYCLE_1)
	s_mul_hi_u32 s25, s10, s21
	s_mul_i32 s24, s10, s21
	s_mul_hi_u32 s14, s10, s20
	s_mul_i32 s22, s11, s20
	s_add_nc_u64 s[14:15], s[14:15], s[24:25]
	s_mul_hi_u32 s7, s11, s20
	s_mul_hi_u32 s26, s11, s21
	s_add_co_u32 s14, s14, s22
	s_wait_alu 0xfffe
	s_add_co_ci_u32 s22, s15, s7
	s_mul_i32 s20, s11, s21
	s_add_co_ci_u32 s21, s26, 0
	s_delay_alu instid0(SALU_CYCLE_1)
	s_add_nc_u64 s[14:15], s[22:23], s[20:21]
	s_mov_b32 s21, s17
	s_add_co_u32 s10, s10, s14
	s_cselect_b32 s7, -1, 0
	s_wait_alu 0xfffe
	s_cmp_lg_u32 s7, 0
	s_add_co_ci_u32 s11, s11, s15
	s_mov_b32 s15, s17
	s_mul_u64 s[12:13], s[12:13], s[10:11]
	s_delay_alu instid0(SALU_CYCLE_1)
	s_mul_hi_u32 s23, s10, s13
	s_mul_i32 s22, s10, s13
	s_mul_hi_u32 s14, s10, s12
	s_mul_i32 s20, s11, s12
	s_add_nc_u64 s[14:15], s[14:15], s[22:23]
	s_mul_hi_u32 s7, s11, s12
	s_mul_hi_u32 s24, s11, s13
	s_mul_i32 s12, s11, s13
	s_add_co_u32 s13, s14, s20
	s_wait_alu 0xfffe
	s_add_co_ci_u32 s20, s15, s7
	s_add_co_ci_u32 s13, s24, 0
	s_mov_b32 s15, s17
	s_add_nc_u64 s[12:13], s[20:21], s[12:13]
	s_delay_alu instid0(SALU_CYCLE_1) | instskip(SKIP_1) | instid1(SALU_CYCLE_1)
	s_add_co_u32 s7, s10, s12
	s_cselect_b32 s10, -1, 0
	s_cmp_lg_u32 s10, 0
	s_add_co_ci_u32 s20, s11, s13
	s_ashr_i32 s10, s3, 31
	s_delay_alu instid0(SALU_CYCLE_1) | instskip(NEXT) | instid1(SALU_CYCLE_1)
	s_mov_b32 s11, s10
	s_add_nc_u64 s[12:13], s[2:3], s[10:11]
	s_delay_alu instid0(SALU_CYCLE_1) | instskip(NEXT) | instid1(SALU_CYCLE_1)
	s_xor_b64 s[12:13], s[12:13], s[10:11]
	s_mul_hi_u32 s23, s12, s20
	s_mul_i32 s22, s12, s20
	s_wait_alu 0xfffe
	s_mul_hi_u32 s14, s12, s7
	s_mul_hi_u32 s24, s13, s7
	s_mul_i32 s7, s13, s7
	s_add_nc_u64 s[14:15], s[14:15], s[22:23]
	s_mul_hi_u32 s3, s13, s20
	s_wait_alu 0xfffe
	s_add_co_u32 s7, s14, s7
	s_mul_i32 s22, s13, s20
	s_add_co_ci_u32 s20, s15, s24
	s_add_co_ci_u32 s23, s3, 0
	s_delay_alu instid0(SALU_CYCLE_1) | instskip(NEXT) | instid1(SALU_CYCLE_1)
	s_add_nc_u64 s[14:15], s[20:21], s[22:23]
	s_mul_u64 s[20:21], s[8:9], s[14:15]
	s_delay_alu instid0(SALU_CYCLE_1)
	s_sub_co_u32 s3, s12, s20
	s_cselect_b32 s7, -1, 0
	s_sub_co_i32 s12, s13, s21
	s_wait_alu 0xfffe
	s_cmp_lg_u32 s7, 0
	s_sub_co_ci_u32 s12, s12, s9
	s_sub_co_u32 s20, s3, s8
	s_cselect_b32 s22, -1, 0
	s_delay_alu instid0(SALU_CYCLE_1) | instskip(SKIP_2) | instid1(SALU_CYCLE_1)
	s_cmp_lg_u32 s22, 0
	s_add_nc_u64 s[22:23], s[14:15], 1
	s_sub_co_ci_u32 s12, s12, 0
	s_cmp_ge_u32 s12, s9
	s_cselect_b32 s24, -1, 0
	s_cmp_ge_u32 s20, s8
	s_cselect_b32 s20, -1, 0
	s_cmp_eq_u32 s12, s9
	s_cselect_b32 s12, s20, s24
	s_add_nc_u64 s[24:25], s[14:15], 2
	s_cmp_lg_u32 s12, 0
	s_cselect_b32 s12, s24, s22
	s_cselect_b32 s20, s25, s23
	s_cmp_lg_u32 s7, 0
	s_sub_co_ci_u32 s7, s13, s21
	s_wait_alu 0xfffe
	s_cmp_ge_u32 s7, s9
	s_cselect_b32 s13, -1, 0
	s_cmp_ge_u32 s3, s8
	s_cselect_b32 s3, -1, 0
	s_cmp_eq_u32 s7, s9
	s_cselect_b32 s3, s3, s13
	s_delay_alu instid0(SALU_CYCLE_1) | instskip(SKIP_4) | instid1(SALU_CYCLE_1)
	s_cmp_lg_u32 s3, 0
	s_mov_b32 s3, s17
	s_cselect_b32 s9, s20, s15
	s_cselect_b32 s8, s12, s14
	s_xor_b64 s[10:11], s[10:11], 0
	s_xor_b64 s[8:9], s[8:9], s[10:11]
	s_delay_alu instid0(SALU_CYCLE_1)
	s_sub_nc_u64 s[20:21], s[8:9], s[10:11]
	s_and_not1_b32 vcc_lo, exec_lo, s3
	s_cbranch_vccnz .LBB42_3
.LBB42_2:
	v_cvt_f32_u32_e32 v1, s16
	s_sub_co_i32 s7, 0, s16
	s_delay_alu instid0(VALU_DEP_1) | instskip(NEXT) | instid1(TRANS32_DEP_1)
	v_rcp_iflag_f32_e32 v1, v1
	v_mul_f32_e32 v1, 0x4f7ffffe, v1
	s_delay_alu instid0(VALU_DEP_1) | instskip(NEXT) | instid1(VALU_DEP_1)
	v_cvt_u32_f32_e32 v1, v1
	v_readfirstlane_b32 s3, v1
	s_wait_alu 0xfffe
	s_mul_i32 s7, s7, s3
	s_wait_alu 0xfffe
	s_mul_hi_u32 s7, s3, s7
	s_wait_alu 0xfffe
	s_add_co_i32 s3, s3, s7
	s_delay_alu instid0(SALU_CYCLE_1) | instskip(NEXT) | instid1(SALU_CYCLE_1)
	s_mul_hi_u32 s3, s2, s3
	s_mul_i32 s7, s3, s16
	s_wait_alu 0xfffe
	s_sub_co_i32 s2, s2, s7
	s_add_co_i32 s7, s3, 1
	s_sub_co_i32 s8, s2, s16
	s_cmp_ge_u32 s2, s16
	s_wait_alu 0xfffe
	s_cselect_b32 s3, s7, s3
	s_cselect_b32 s2, s8, s2
	s_add_co_i32 s7, s3, 1
	s_cmp_ge_u32 s2, s16
	s_wait_alu 0xfffe
	s_cselect_b32 s20, s7, s3
.LBB42_3:
	s_add_co_i32 s2, ttmp9, 1
	s_mov_b32 s8, 0
	s_ashr_i32 s3, s2, 31
	s_delay_alu instid0(SALU_CYCLE_1) | instskip(NEXT) | instid1(SALU_CYCLE_1)
	s_mul_u64 s[2:3], s[18:19], s[2:3]
	s_mov_b32 s9, s3
	s_delay_alu instid0(SALU_CYCLE_1)
	s_cmp_lg_u64 s[8:9], 0
	s_cbranch_scc0 .LBB42_22
; %bb.4:
	s_add_nc_u64 s[10:11], s[16:17], 0
	s_mov_b32 s23, s8
	s_xor_b64 s[10:11], s[10:11], 0
	s_mov_b32 s27, s8
	s_cvt_f32_u32 s7, s10
	s_cvt_f32_u32 s9, s11
	s_sub_nc_u64 s[14:15], 0, s[10:11]
	s_wait_alu 0xfffe
	s_delay_alu instid0(SALU_CYCLE_1) | instskip(SKIP_1) | instid1(SALU_CYCLE_2)
	s_fmamk_f32 s7, s9, 0x4f800000, s7
	s_wait_alu 0xfffe
	v_s_rcp_f32 s7, s7
	s_delay_alu instid0(TRANS32_DEP_1) | instskip(SKIP_1) | instid1(SALU_CYCLE_2)
	s_mul_f32 s7, s7, 0x5f7ffffc
	s_wait_alu 0xfffe
	s_mul_f32 s9, s7, 0x2f800000
	s_delay_alu instid0(SALU_CYCLE_3) | instskip(NEXT) | instid1(SALU_CYCLE_3)
	s_trunc_f32 s9, s9
	s_fmamk_f32 s7, s9, 0xcf800000, s7
	s_cvt_u32_f32 s13, s9
	s_wait_alu 0xfffe
	s_delay_alu instid0(SALU_CYCLE_1) | instskip(NEXT) | instid1(SALU_CYCLE_3)
	s_cvt_u32_f32 s12, s7
	s_mul_u64 s[24:25], s[14:15], s[12:13]
	s_delay_alu instid0(SALU_CYCLE_1)
	s_mul_hi_u32 s29, s12, s25
	s_mul_i32 s28, s12, s25
	s_mul_hi_u32 s22, s12, s24
	s_mul_i32 s9, s13, s24
	s_add_nc_u64 s[22:23], s[22:23], s[28:29]
	s_mul_hi_u32 s7, s13, s24
	s_mul_hi_u32 s21, s13, s25
	s_add_co_u32 s9, s22, s9
	s_wait_alu 0xfffe
	s_add_co_ci_u32 s26, s23, s7
	s_mul_i32 s24, s13, s25
	s_add_co_ci_u32 s25, s21, 0
	s_delay_alu instid0(SALU_CYCLE_1)
	s_add_nc_u64 s[22:23], s[26:27], s[24:25]
	s_mov_b32 s25, s8
	s_add_co_u32 s12, s12, s22
	s_cselect_b32 s7, -1, 0
	s_wait_alu 0xfffe
	s_cmp_lg_u32 s7, 0
	s_add_co_ci_u32 s13, s13, s23
	s_mov_b32 s23, s8
	s_mul_u64 s[14:15], s[14:15], s[12:13]
	s_delay_alu instid0(SALU_CYCLE_1)
	s_mul_hi_u32 s27, s12, s15
	s_mul_i32 s26, s12, s15
	s_mul_hi_u32 s22, s12, s14
	s_mul_i32 s9, s13, s14
	s_add_nc_u64 s[22:23], s[22:23], s[26:27]
	s_mul_hi_u32 s7, s13, s14
	s_mul_hi_u32 s21, s13, s15
	s_add_co_u32 s9, s22, s9
	s_wait_alu 0xfffe
	s_add_co_ci_u32 s24, s23, s7
	s_mul_i32 s14, s13, s15
	s_add_co_ci_u32 s15, s21, 0
	s_mov_b32 s23, s8
	s_add_nc_u64 s[14:15], s[24:25], s[14:15]
	s_delay_alu instid0(SALU_CYCLE_1) | instskip(SKIP_1) | instid1(SALU_CYCLE_1)
	s_add_co_u32 s7, s12, s14
	s_cselect_b32 s9, -1, 0
	s_cmp_lg_u32 s9, 0
	s_add_co_ci_u32 s9, s13, s15
	s_ashr_i32 s12, s3, 31
	s_delay_alu instid0(SALU_CYCLE_1) | instskip(NEXT) | instid1(SALU_CYCLE_1)
	s_mov_b32 s13, s12
	s_add_nc_u64 s[14:15], s[2:3], s[12:13]
	s_delay_alu instid0(SALU_CYCLE_1) | instskip(NEXT) | instid1(SALU_CYCLE_1)
	s_xor_b64 s[14:15], s[14:15], s[12:13]
	s_mul_hi_u32 s27, s14, s9
	s_mul_i32 s26, s14, s9
	s_wait_alu 0xfffe
	s_mul_hi_u32 s22, s14, s7
	s_mul_hi_u32 s21, s15, s7
	s_mul_i32 s7, s15, s7
	s_add_nc_u64 s[22:23], s[22:23], s[26:27]
	s_mul_hi_u32 s3, s15, s9
	s_wait_alu 0xfffe
	s_add_co_u32 s7, s22, s7
	s_add_co_ci_u32 s24, s23, s21
	s_mul_i32 s26, s15, s9
	s_add_co_ci_u32 s27, s3, 0
	s_delay_alu instid0(SALU_CYCLE_1) | instskip(NEXT) | instid1(SALU_CYCLE_1)
	s_add_nc_u64 s[22:23], s[24:25], s[26:27]
	s_mul_u64 s[24:25], s[10:11], s[22:23]
	s_add_nc_u64 s[26:27], s[22:23], 1
	s_sub_co_u32 s3, s14, s24
	s_cselect_b32 s7, -1, 0
	s_sub_co_i32 s9, s15, s25
	s_wait_alu 0xfffe
	s_cmp_lg_u32 s7, 0
	s_add_nc_u64 s[28:29], s[22:23], 2
	s_sub_co_ci_u32 s9, s9, s11
	s_sub_co_u32 s14, s3, s10
	s_cselect_b32 s21, -1, 0
	s_delay_alu instid0(SALU_CYCLE_1) | instskip(SKIP_1) | instid1(SALU_CYCLE_1)
	s_cmp_lg_u32 s21, 0
	s_sub_co_ci_u32 s9, s9, 0
	s_cmp_ge_u32 s9, s11
	s_cselect_b32 s21, -1, 0
	s_cmp_ge_u32 s14, s10
	s_cselect_b32 s14, -1, 0
	s_cmp_eq_u32 s9, s11
	s_cselect_b32 s9, s14, s21
	s_delay_alu instid0(SALU_CYCLE_1)
	s_cmp_lg_u32 s9, 0
	s_cselect_b32 s9, s28, s26
	s_cselect_b32 s14, s29, s27
	s_cmp_lg_u32 s7, 0
	s_sub_co_ci_u32 s7, s15, s25
	s_wait_alu 0xfffe
	s_cmp_ge_u32 s7, s11
	s_cselect_b32 s15, -1, 0
	s_cmp_ge_u32 s3, s10
	s_cselect_b32 s3, -1, 0
	s_cmp_eq_u32 s7, s11
	s_cselect_b32 s3, s3, s15
	s_delay_alu instid0(SALU_CYCLE_1) | instskip(SKIP_3) | instid1(SALU_CYCLE_1)
	s_cmp_lg_u32 s3, 0
	s_cselect_b32 s11, s14, s23
	s_cselect_b32 s10, s9, s22
	s_xor_b64 s[12:13], s[12:13], 0
	s_xor_b64 s[10:11], s[10:11], s[12:13]
	s_delay_alu instid0(SALU_CYCLE_1)
	s_sub_nc_u64 s[10:11], s[10:11], s[12:13]
	s_load_b96 s[12:14], s[0:1], 0x44
	s_and_not1_b32 vcc_lo, exec_lo, s8
	s_cbranch_vccnz .LBB42_6
.LBB42_5:
	v_cvt_f32_u32_e32 v1, s16
	s_sub_co_i32 s7, 0, s16
	s_delay_alu instid0(VALU_DEP_1) | instskip(NEXT) | instid1(TRANS32_DEP_1)
	v_rcp_iflag_f32_e32 v1, v1
	v_mul_f32_e32 v1, 0x4f7ffffe, v1
	s_delay_alu instid0(VALU_DEP_1) | instskip(NEXT) | instid1(VALU_DEP_1)
	v_cvt_u32_f32_e32 v1, v1
	v_readfirstlane_b32 s3, v1
	s_wait_alu 0xfffe
	s_mul_i32 s7, s7, s3
	s_wait_alu 0xfffe
	s_mul_hi_u32 s7, s3, s7
	s_wait_alu 0xfffe
	s_add_co_i32 s3, s3, s7
	s_delay_alu instid0(SALU_CYCLE_1) | instskip(NEXT) | instid1(SALU_CYCLE_1)
	s_mul_hi_u32 s3, s2, s3
	s_mul_i32 s7, s3, s16
	s_wait_alu 0xfffe
	s_sub_co_i32 s2, s2, s7
	s_add_co_i32 s7, s3, 1
	s_sub_co_i32 s8, s2, s16
	s_cmp_ge_u32 s2, s16
	s_wait_alu 0xfffe
	s_cselect_b32 s3, s7, s3
	s_cselect_b32 s2, s8, s2
	s_add_co_i32 s7, s3, 1
	s_cmp_ge_u32 s2, s16
	s_wait_alu 0xfffe
	s_cselect_b32 s10, s7, s3
.LBB42_6:
	s_mov_b32 s21, 0
	s_wait_kmcnt 0x0
	s_mov_b32 s22, s12
	s_mov_b32 s23, s21
	s_cmp_eq_u32 s20, s10
	s_mul_u64 s[2:3], s[20:21], s[22:23]
	s_cselect_b32 s7, -1, 0
	s_add_co_i32 s2, s3, s20
	s_mov_b32 s11, s21
	s_lshr_b32 s12, s2, s13
	s_mul_u64 s[2:3], s[10:11], s[22:23]
	s_mul_i32 s2, s12, s14
	s_delay_alu instid0(SALU_CYCLE_1) | instskip(SKIP_2) | instid1(SALU_CYCLE_1)
	s_cmp_eq_u32 s2, s20
	s_cselect_b32 s2, -1, 0
	s_add_co_i32 s3, s3, s10
	s_lshr_b32 s3, s3, s13
	s_delay_alu instid0(SALU_CYCLE_1)
	s_cmp_eq_u32 s12, s3
	s_mul_i32 s3, s3, s14
	s_cselect_b32 s8, -1, 0
	s_cmp_lg_u32 s3, s10
	s_cselect_b32 s3, -1, 0
	s_wait_alu 0xfffe
	s_or_b32 s2, s7, s2
	s_and_b32 s3, s8, s3
	s_delay_alu instid0(SALU_CYCLE_1) | instskip(NEXT) | instid1(SALU_CYCLE_1)
	s_or_b32 s2, s2, s3
	s_and_b32 vcc_lo, exec_lo, s2
	s_cbranch_vccnz .LBB42_24
; %bb.7:
	s_load_b256 s[24:31], s[0:1], 0x20
	s_mov_b32 s3, s21
	s_wait_kmcnt 0x0
	s_mov_b32 s2, s24
	s_delay_alu instid0(SALU_CYCLE_1) | instskip(NEXT) | instid1(SALU_CYCLE_1)
	s_mul_u64 s[2:3], s[20:21], s[2:3]
	s_add_co_i32 s2, s3, s20
	s_delay_alu instid0(SALU_CYCLE_1) | instskip(SKIP_2) | instid1(SALU_CYCLE_1)
	s_lshr_b32 s7, s2, s25
	s_load_b32 s2, s[0:1], 0x40
	s_mul_i32 s3, s7, s26
	s_sub_co_i32 s3, s20, s3
	s_delay_alu instid0(SALU_CYCLE_1) | instskip(NEXT) | instid1(SALU_CYCLE_1)
	s_mul_hi_u32 s8, s3, s27
	s_add_co_i32 s8, s3, s8
	s_delay_alu instid0(SALU_CYCLE_1) | instskip(NEXT) | instid1(SALU_CYCLE_1)
	s_lshr_b32 s15, s8, s28
	s_mul_i32 s8, s15, s29
	s_delay_alu instid0(SALU_CYCLE_1) | instskip(NEXT) | instid1(SALU_CYCLE_1)
	s_sub_co_i32 s8, s3, s8
	s_mul_hi_u32 s3, s8, s30
	s_delay_alu instid0(SALU_CYCLE_1) | instskip(NEXT) | instid1(SALU_CYCLE_1)
	s_add_co_i32 s3, s8, s3
	s_lshr_b32 s10, s3, s31
	s_mov_b32 s3, s21
	s_wait_kmcnt 0x0
	s_mul_i32 s2, s10, s2
	s_lshl_b32 s24, s10, 1
	s_sub_co_i32 s2, s8, s2
	s_delay_alu instid0(SALU_CYCLE_1) | instskip(SKIP_2) | instid1(SALU_CYCLE_1)
	s_mul_u64 s[8:9], s[2:3], s[22:23]
	s_lshr_b32 s3, ttmp7, 16
	s_add_co_i32 s2, s2, s9
	s_lshr_b32 s21, s2, s13
	s_and_b32 s2, ttmp7, 0xffff
	s_lshl_b32 s8, s21, 3
	s_delay_alu instid0(SALU_CYCLE_1) | instskip(NEXT) | instid1(SALU_CYCLE_1)
	s_add_co_i32 s8, s8, s2
	s_cmp_lt_i32 s8, s4
	s_cselect_b32 s8, -1, 0
	s_add_co_i32 s24, s24, s3
	s_delay_alu instid0(SALU_CYCLE_1) | instskip(SKIP_1) | instid1(SALU_CYCLE_1)
	s_cmp_lt_i32 s24, s6
	s_cselect_b32 s9, -1, 0
	s_and_b32 s8, s8, s9
	s_delay_alu instid0(SALU_CYCLE_1)
	s_and_not1_b32 vcc_lo, exec_lo, s8
	s_cbranch_vccnz .LBB42_24
; %bb.8:
	s_mul_i32 s4, s7, s4
	s_load_b128 s[8:11], s[0:1], 0x0
	s_add_co_i32 s0, s4, s2
	s_mul_i32 s15, s15, s6
	s_mul_i32 s0, s0, s5
	s_add_co_i32 s1, s24, s15
	s_mul_i32 s4, s5, s21
	s_add_co_i32 s0, s1, s0
	s_mulk_i32 s4, 0x300
	s_mulk_i32 s0, 0x60
	s_lshl_b32 s15, s2, 1
	v_add3_u32 v1, s4, s0, v0
	s_add_nc_u64 s[0:1], s[16:17], 0
	s_add_co_i32 s15, s15, s3
	s_wait_alu 0xfffe
	s_xor_b64 s[6:7], s[0:1], 0
	s_lshl_b32 s0, ttmp9, 4
	v_ashrrev_i32_e32 v2, 31, v1
	s_wait_alu 0xfffe
	s_cvt_f32_u32 s1, s6
	s_cvt_f32_u32 s2, s7
	s_add_co_i32 s0, s15, s0
	v_cvt_f32_u32_e32 v3, s16
	v_lshlrev_b64_e32 v[1:2], 2, v[1:2]
	s_wait_alu 0xfffe
	s_fmamk_f32 s2, s2, 0x4f800000, s1
	s_ashr_i32 s1, s0, 31
	s_add_co_i32 s34, ttmp9, -1
	s_wait_alu 0xfffe
	s_lshl_b64 s[0:1], s[0:1], 3
	v_s_rcp_f32 s2, s2
	s_wait_kmcnt 0x0
	v_add_co_u32 v1, vcc_lo, s8, v1
	s_delay_alu instid0(VALU_DEP_1)
	v_add_co_ci_u32_e64 v2, null, s9, v2, vcc_lo
	s_wait_alu 0xfffe
	s_add_nc_u64 s[0:1], s[10:11], s[0:1]
	v_rcp_iflag_f32_e32 v3, v3
	s_load_b64 s[26:27], s[0:1], 0x0
	global_load_b32 v5, v[1:2], off
	s_mul_f32 s2, s2, 0x5f7ffffc
	s_mov_b32 s8, 0
	s_lshl_b32 s0, s16, 6
	s_wait_alu 0xfffe
	s_mov_b32 s1, s8
	s_mul_f32 s3, s2, 0x2f800000
	s_wait_alu 0xfffe
	s_lshl_b64 s[0:1], s[0:1], 2
	s_sub_nc_u64 s[30:31], 0, s[6:7]
	v_mul_f32_e32 v6, 0x4f7ffffe, v3
	s_trunc_f32 s3, s3
	s_wait_alu 0xfffe
	s_add_nc_u64 s[24:25], s[10:11], s[0:1]
	v_mad_co_u64_u32 v[3:4], null, 0x60, s15, v[0:1]
	s_fmamk_f32 s0, s3, 0xcf800000, s2
	v_cvt_u32_f32_e32 v0, v6
	s_cvt_u32_f32 s29, s3
	s_wait_alu 0xfffe
	s_cvt_u32_f32 s28, s0
	s_wait_kmcnt 0x0
	v_mov_b32_e32 v4, s27
.LBB42_9:                               ; =>This Inner Loop Header: Depth=1
	s_wait_alu 0xfffe
	s_ashr_i32 s35, s34, 31
	s_mov_b32 s2, -1
	s_wait_alu 0xfffe
	s_mul_u64 s[0:1], s[34:35], s[18:19]
                                        ; implicit-def: $sgpr38_sgpr39
	s_wait_alu 0xfffe
	s_mov_b32 s9, s1
	s_wait_alu 0xfffe
	s_cmp_lg_u64 s[8:9], 0
	s_cbranch_scc0 .LBB42_11
; %bb.10:                               ;   in Loop: Header=BB42_9 Depth=1
	s_mul_u64 s[2:3], s[30:31], s[28:29]
	s_mov_b32 s37, s8
	s_wait_alu 0xfffe
	s_mul_hi_u32 s5, s28, s3
	s_mul_i32 s4, s28, s3
	s_mul_hi_u32 s36, s28, s2
	s_mul_hi_u32 s9, s29, s2
	s_wait_alu 0xfffe
	s_add_nc_u64 s[4:5], s[36:37], s[4:5]
	s_mul_i32 s2, s29, s2
	s_mul_hi_u32 s17, s29, s3
	s_wait_alu 0xfffe
	s_add_co_u32 s2, s4, s2
	s_add_co_ci_u32 s2, s5, s9
	s_add_co_ci_u32 s5, s17, 0
	s_mul_i32 s4, s29, s3
	s_mov_b32 s3, s8
	s_mov_b32 s39, s8
	s_wait_alu 0xfffe
	s_add_nc_u64 s[2:3], s[2:3], s[4:5]
	s_wait_alu 0xfffe
	s_add_co_u32 s2, s28, s2
	s_cselect_b32 s4, -1, 0
	s_wait_alu 0xfffe
	s_cmp_lg_u32 s4, 0
	s_add_co_ci_u32 s3, s29, s3
	s_wait_alu 0xfffe
	s_mul_u64 s[4:5], s[30:31], s[2:3]
	s_wait_alu 0xfffe
	s_mul_hi_u32 s37, s2, s5
	s_mul_i32 s36, s2, s5
	s_mul_hi_u32 s38, s2, s4
	s_mul_hi_u32 s9, s3, s4
	s_mul_i32 s4, s3, s4
	s_wait_alu 0xfffe
	s_add_nc_u64 s[36:37], s[38:39], s[36:37]
	s_mul_hi_u32 s17, s3, s5
	s_wait_alu 0xfffe
	s_add_co_u32 s4, s36, s4
	s_add_co_ci_u32 s4, s37, s9
	s_add_co_ci_u32 s37, s17, 0
	s_mul_i32 s36, s3, s5
	s_mov_b32 s5, s8
	s_wait_alu 0xfffe
	s_add_nc_u64 s[4:5], s[4:5], s[36:37]
	s_mov_b32 s37, s8
	s_wait_alu 0xfffe
	s_add_co_u32 s9, s2, s4
	s_cselect_b32 s2, -1, 0
	s_wait_alu 0xfffe
	s_cmp_lg_u32 s2, 0
	s_add_co_ci_u32 s17, s3, s5
	s_ashr_i32 s2, s1, 31
	s_wait_alu 0xfffe
	s_mov_b32 s3, s2
	s_wait_alu 0xfffe
	s_add_nc_u64 s[4:5], s[0:1], s[2:3]
	s_wait_alu 0xfffe
	s_xor_b64 s[4:5], s[4:5], s[2:3]
	s_wait_alu 0xfffe
	s_mul_hi_u32 s39, s4, s17
	s_mul_i32 s38, s4, s17
	s_mul_hi_u32 s36, s4, s9
	s_mul_i32 s21, s5, s9
	s_wait_alu 0xfffe
	s_add_nc_u64 s[36:37], s[36:37], s[38:39]
	s_mul_hi_u32 s9, s5, s9
	s_mul_hi_u32 s1, s5, s17
	s_wait_alu 0xfffe
	s_add_co_u32 s21, s36, s21
	s_add_co_ci_u32 s36, s37, s9
	s_add_co_ci_u32 s39, s1, 0
	s_mul_i32 s38, s5, s17
	s_mov_b32 s37, s8
	s_wait_alu 0xfffe
	s_add_nc_u64 s[36:37], s[36:37], s[38:39]
	s_wait_alu 0xfffe
	s_mul_u64 s[38:39], s[6:7], s[36:37]
	s_add_nc_u64 s[40:41], s[36:37], 1
	s_sub_co_u32 s1, s4, s38
	s_cselect_b32 s4, -1, 0
	s_sub_co_i32 s9, s5, s39
	s_wait_alu 0xfffe
	s_cmp_lg_u32 s4, 0
	s_add_nc_u64 s[42:43], s[36:37], 2
	s_sub_co_ci_u32 s9, s9, s7
	s_sub_co_u32 s17, s1, s6
	s_cselect_b32 s21, -1, 0
	s_delay_alu instid0(SALU_CYCLE_1)
	s_cmp_lg_u32 s21, 0
	s_wait_alu 0xfffe
	s_sub_co_ci_u32 s9, s9, 0
	s_wait_alu 0xfffe
	s_cmp_ge_u32 s9, s7
	s_cselect_b32 s21, -1, 0
	s_cmp_ge_u32 s17, s6
	s_cselect_b32 s17, -1, 0
	s_cmp_eq_u32 s9, s7
	s_wait_alu 0xfffe
	s_cselect_b32 s9, s17, s21
	s_wait_alu 0xfffe
	s_cmp_lg_u32 s9, 0
	s_cselect_b32 s9, s42, s40
	s_cselect_b32 s17, s43, s41
	s_cmp_lg_u32 s4, 0
	s_sub_co_ci_u32 s4, s5, s39
	s_wait_alu 0xfffe
	s_cmp_ge_u32 s4, s7
	s_cselect_b32 s5, -1, 0
	s_cmp_ge_u32 s1, s6
	s_cselect_b32 s1, -1, 0
	s_cmp_eq_u32 s4, s7
	s_wait_alu 0xfffe
	s_cselect_b32 s1, s1, s5
	s_wait_alu 0xfffe
	s_cmp_lg_u32 s1, 0
	s_cselect_b32 s5, s17, s37
	s_cselect_b32 s4, s9, s36
	s_xor_b64 s[2:3], s[2:3], 0
	s_wait_alu 0xfffe
	s_xor_b64 s[4:5], s[4:5], s[2:3]
	s_wait_alu 0xfffe
	s_sub_nc_u64 s[38:39], s[4:5], s[2:3]
	s_mov_b32 s2, 0
.LBB42_11:                              ;   in Loop: Header=BB42_9 Depth=1
	s_wait_alu 0xfffe
	s_and_not1_b32 vcc_lo, exec_lo, s2
	s_wait_alu 0xfffe
	s_cbranch_vccnz .LBB42_13
; %bb.12:                               ;   in Loop: Header=BB42_9 Depth=1
	v_readfirstlane_b32 s1, v0
	s_sub_co_i32 s2, 0, s16
	s_wait_alu 0xfffe
	s_mul_i32 s2, s2, s1
	s_wait_alu 0xfffe
	s_mul_hi_u32 s2, s1, s2
	s_wait_alu 0xfffe
	s_add_co_i32 s1, s1, s2
	s_wait_alu 0xfffe
	s_mul_hi_u32 s1, s0, s1
	s_wait_alu 0xfffe
	s_mul_i32 s2, s1, s16
	s_wait_alu 0xfffe
	s_sub_co_i32 s0, s0, s2
	s_add_co_i32 s2, s1, 1
	s_wait_alu 0xfffe
	s_sub_co_i32 s3, s0, s16
	s_cmp_ge_u32 s0, s16
	s_cselect_b32 s1, s2, s1
	s_wait_alu 0xfffe
	s_cselect_b32 s0, s3, s0
	s_add_co_i32 s2, s1, 1
	s_wait_alu 0xfffe
	s_cmp_ge_u32 s0, s16
	s_cselect_b32 s38, s2, s1
.LBB42_13:                              ;   in Loop: Header=BB42_9 Depth=1
	v_readfirstlane_b32 s9, v0
	s_cmp_lg_u32 s20, s38
	s_mov_b32 s0, -1
                                        ; implicit-def: $sgpr21
                                        ; implicit-def: $vgpr6
                                        ; implicit-def: $vgpr7
                                        ; implicit-def: $sgpr17
                                        ; implicit-def: $sgpr27
	s_cbranch_scc1 .LBB42_16
; %bb.14:                               ;   in Loop: Header=BB42_9 Depth=1
	s_wait_alu 0xfffe
	s_and_not1_b32 vcc_lo, exec_lo, s0
	s_wait_alu 0xfffe
	s_cbranch_vccz .LBB42_19
.LBB42_15:                              ;   in Loop: Header=BB42_9 Depth=1
	s_and_not1_b32 vcc_lo, exec_lo, s21
	s_wait_alu 0xfffe
	s_cbranch_vccnz .LBB42_20
	s_branch .LBB42_23
.LBB42_16:                              ;   in Loop: Header=BB42_9 Depth=1
	s_add_co_i32 s0, s34, s16
	s_mov_b32 s1, s8
	s_wait_alu 0xfffe
	s_lshl_b32 s0, s0, 4
	v_max_num_f32_e64 v6, s26, s26
	s_wait_alu 0xfffe
	s_add_co_i32 s0, s0, s15
	s_mov_b32 s39, s8
	s_wait_alu 0xfffe
	s_lshl_b64 s[0:1], s[0:1], 3
	s_mul_u64 s[40:41], s[38:39], s[22:23]
	s_wait_alu 0xfffe
	s_add_nc_u64 s[0:1], s[10:11], s[0:1]
	s_mov_b32 s27, s20
	s_load_b64 s[36:37], s[0:1], 0x0
	v_readfirstlane_b32 s0, v6
	s_wait_kmcnt 0x0
	v_max_num_f32_e64 v7, s36, s36
	s_delay_alu instid0(VALU_DEP_1) | instskip(SKIP_2) | instid1(SALU_CYCLE_2)
	v_readfirstlane_b32 s1, v7
	s_max_num_f32 s9, s0, s1
	s_wait_alu 0xfffe
	s_sub_f32 s33, s26, s9
	s_sub_f32 s35, s36, s9
	s_wait_alu 0xfffe
	s_delay_alu instid0(SALU_CYCLE_1)
	s_cmp_nlt_f32 s33, 0xc2ce8ed0
	s_cselect_b32 s0, -1, 0
	s_cmp_ngt_f32 s33, 0x42b17218
	s_cselect_b32 s1, -1, 0
	s_cmp_ge_f32 s33, 0xc1a00000
	s_cselect_b32 s2, -1, 0
	s_cmp_nlt_f32 s35, 0xc2ce8ed0
	s_cselect_b32 s3, -1, 0
	s_cmp_ngt_f32 s35, 0x42b17218
	s_cselect_b32 s4, -1, 0
	s_cmp_ge_f32 s35, 0xc1a00000
	s_cselect_b32 s5, -1, 0
	s_add_co_i32 s17, s41, s38
	s_wait_alu 0xfffe
	s_lshr_b32 s17, s17, s13
	s_wait_alu 0xfffe
	s_mul_i32 s21, s17, s14
	s_delay_alu instid0(SALU_CYCLE_1)
	s_cmp_eq_u32 s21, s38
	s_cselect_b32 s21, -1, 0
	s_cmp_lt_u32 s17, s12
	s_cselect_b32 s17, -1, 0
	s_wait_alu 0xfffe
	s_or_b32 s17, s17, s21
	s_mov_b32 s21, -1
	s_wait_alu 0xfffe
	s_and_b32 vcc_lo, exec_lo, s17
	s_mov_b32 s17, s34
	s_wait_alu 0xfffe
	s_cbranch_vccnz .LBB42_18
; %bb.17:                               ;   in Loop: Header=BB42_9 Depth=1
	s_add_co_i32 s17, s34, -1
	s_mov_b32 s21, 0
	s_mov_b32 s27, s38
.LBB42_18:                              ;   in Loop: Header=BB42_9 Depth=1
	v_mad_co_u64_u32 v[6:7], null, 0x600, s34, v[3:4]
	s_mul_f32 s36, s35, 0x3fb8aa3b
	s_mul_f32 s38, s33, 0x3fb8aa3b
	s_wait_alu 0xfffe
	s_delay_alu instid0(SALU_CYCLE_1)
	s_xor_b32 s39, s36, 0x80000000
	s_rndne_f32 s40, s36
	v_ashrrev_i32_e32 v7, 31, v6
	s_fmamk_f32 s39, s35, 0x3fb8aa3b, s39
	s_xor_b32 s41, s38, 0x80000000
	s_sub_f32 s36, s36, s40
	s_rndne_f32 s42, s38
	v_lshlrev_b64_e32 v[6:7], 2, v[6:7]
	s_fmamk_f32 s35, s35, 0x32a5705f, s39
	s_fmamk_f32 s39, s33, 0x3fb8aa3b, s41
	s_sub_f32 s38, s38, s42
	s_wait_alu 0xfffe
	s_add_f32 s35, s36, s35
	v_add_co_u32 v6, vcc_lo, s24, v6
	s_wait_alu 0xfffd
	v_add_co_ci_u32_e64 v7, null, s25, v7, vcc_lo
	s_fmamk_f32 s33, s33, 0x32a5705f, s39
	s_wait_alu 0xfffe
	v_s_exp_f32 s35, s35
	s_cvt_i32_f32 s36, s40
	global_load_b32 v6, v[6:7], off
	s_add_f32 s33, s38, s33
	s_wait_alu 0xfffe
	s_delay_alu instid0(SALU_CYCLE_2) | instskip(SKIP_2) | instid1(VALU_DEP_1)
	v_s_exp_f32 s33, s33
	v_ldexp_f32 v7, s35, s36
	s_cvt_i32_f32 s35, s42
	v_cndmask_b32_e64 v7, 0, v7, s3
	s_wait_alu 0xf1fe
	s_delay_alu instid0(TRANS32_DEP_1) | instid1(SALU_CYCLE_1)
	v_ldexp_f32 v8, s33, s35
	s_delay_alu instid0(VALU_DEP_2) | instskip(NEXT) | instid1(VALU_DEP_2)
	v_cndmask_b32_e64 v7, 0x7f800000, v7, s4
	v_cndmask_b32_e64 v8, 0, v8, s0
	s_delay_alu instid0(VALU_DEP_2) | instskip(NEXT) | instid1(VALU_DEP_2)
	v_cndmask_b32_e64 v7, 0, v7, s5
	v_cndmask_b32_e64 v8, 0x7f800000, v8, s1
	s_delay_alu instid0(VALU_DEP_1) | instskip(SKIP_1) | instid1(VALU_DEP_3)
	v_cndmask_b32_e64 v8, 0, v8, s2
	s_wait_loadcnt 0x0
	v_mul_f32_e32 v6, v6, v7
	v_mul_f32_e32 v7, s37, v7
	s_delay_alu instid0(VALU_DEP_1) | instskip(NEXT) | instid1(VALU_DEP_3)
	v_fmac_f32_e32 v7, v4, v8
	v_fmac_f32_e32 v6, v5, v8
	s_cbranch_execnz .LBB42_15
.LBB42_19:                              ;   in Loop: Header=BB42_9 Depth=1
	s_wait_loadcnt 0x0
	v_dual_mov_b32 v7, v4 :: v_dual_mov_b32 v6, v5
	s_add_co_i32 s17, s34, -1
	s_mov_b32 s27, s20
	s_mov_b32 s9, s26
	s_cbranch_execz .LBB42_23
.LBB42_20:                              ;   in Loop: Header=BB42_9 Depth=1
	s_wait_loadcnt 0x0
	v_dual_mov_b32 v4, v7 :: v_dual_mov_b32 v5, v6
	s_wait_alu 0xfffe
	s_mov_b32 s20, s27
	s_mov_b32 s34, s17
	;; [unrolled: 1-line block ×3, first 2 shown]
	s_branch .LBB42_9
.LBB42_21:
                                        ; implicit-def: $sgpr20_sgpr21
	s_branch .LBB42_2
.LBB42_22:
                                        ; implicit-def: $sgpr10_sgpr11
	s_load_b96 s[12:14], s[0:1], 0x44
	s_branch .LBB42_5
.LBB42_23:
	v_div_scale_f32 v0, null, v7, v7, v6
	s_delay_alu instid0(VALU_DEP_1) | instskip(NEXT) | instid1(TRANS32_DEP_1)
	v_rcp_f32_e32 v3, v0
	v_fma_f32 v4, -v0, v3, 1.0
	s_delay_alu instid0(VALU_DEP_1) | instskip(SKIP_2) | instid1(VALU_DEP_1)
	v_fmac_f32_e32 v3, v4, v3
	v_div_scale_f32 v4, vcc_lo, v6, v7, v6
	s_wait_loadcnt 0x0
	v_mul_f32_e32 v5, v4, v3
	s_delay_alu instid0(VALU_DEP_1) | instskip(NEXT) | instid1(VALU_DEP_1)
	v_fma_f32 v8, -v0, v5, v4
	v_fmac_f32_e32 v5, v8, v3
	s_delay_alu instid0(VALU_DEP_1) | instskip(SKIP_1) | instid1(VALU_DEP_1)
	v_fma_f32 v0, -v0, v5, v4
	s_wait_alu 0xfffd
	v_div_fmas_f32 v0, v0, v3, v5
	s_delay_alu instid0(VALU_DEP_1)
	v_div_fixup_f32 v0, v0, v7, v6
	global_store_b32 v[1:2], v0, off
.LBB42_24:
	s_endpgm
	.section	.rodata,"a",@progbits
	.p2align	6, 0x0
	.amdhsa_kernel _ZL33flash_attn_stream_k_fixup_generalILi96ELi8ELi2EEvPfPK15HIP_vector_typeIfLj2EEiiiiS1_IjLj3EES5_S5_S5_
		.amdhsa_group_segment_fixed_size 0
		.amdhsa_private_segment_fixed_size 0
		.amdhsa_kernarg_size 336
		.amdhsa_user_sgpr_count 2
		.amdhsa_user_sgpr_dispatch_ptr 0
		.amdhsa_user_sgpr_queue_ptr 0
		.amdhsa_user_sgpr_kernarg_segment_ptr 1
		.amdhsa_user_sgpr_dispatch_id 0
		.amdhsa_user_sgpr_private_segment_size 0
		.amdhsa_wavefront_size32 1
		.amdhsa_uses_dynamic_stack 0
		.amdhsa_enable_private_segment 0
		.amdhsa_system_sgpr_workgroup_id_x 1
		.amdhsa_system_sgpr_workgroup_id_y 1
		.amdhsa_system_sgpr_workgroup_id_z 1
		.amdhsa_system_sgpr_workgroup_info 0
		.amdhsa_system_vgpr_workitem_id 0
		.amdhsa_next_free_vgpr 9
		.amdhsa_next_free_sgpr 44
		.amdhsa_reserve_vcc 1
		.amdhsa_float_round_mode_32 0
		.amdhsa_float_round_mode_16_64 0
		.amdhsa_float_denorm_mode_32 3
		.amdhsa_float_denorm_mode_16_64 3
		.amdhsa_fp16_overflow 0
		.amdhsa_workgroup_processor_mode 1
		.amdhsa_memory_ordered 1
		.amdhsa_forward_progress 1
		.amdhsa_inst_pref_size 28
		.amdhsa_round_robin_scheduling 0
		.amdhsa_exception_fp_ieee_invalid_op 0
		.amdhsa_exception_fp_denorm_src 0
		.amdhsa_exception_fp_ieee_div_zero 0
		.amdhsa_exception_fp_ieee_overflow 0
		.amdhsa_exception_fp_ieee_underflow 0
		.amdhsa_exception_fp_ieee_inexact 0
		.amdhsa_exception_int_div_zero 0
	.end_amdhsa_kernel
	.section	.text._ZL33flash_attn_stream_k_fixup_generalILi96ELi8ELi2EEvPfPK15HIP_vector_typeIfLj2EEiiiiS1_IjLj3EES5_S5_S5_,"axG",@progbits,_ZL33flash_attn_stream_k_fixup_generalILi96ELi8ELi2EEvPfPK15HIP_vector_typeIfLj2EEiiiiS1_IjLj3EES5_S5_S5_,comdat
.Lfunc_end42:
	.size	_ZL33flash_attn_stream_k_fixup_generalILi96ELi8ELi2EEvPfPK15HIP_vector_typeIfLj2EEiiiiS1_IjLj3EES5_S5_S5_, .Lfunc_end42-_ZL33flash_attn_stream_k_fixup_generalILi96ELi8ELi2EEvPfPK15HIP_vector_typeIfLj2EEiiiiS1_IjLj3EES5_S5_S5_
                                        ; -- End function
	.set _ZL33flash_attn_stream_k_fixup_generalILi96ELi8ELi2EEvPfPK15HIP_vector_typeIfLj2EEiiiiS1_IjLj3EES5_S5_S5_.num_vgpr, 9
	.set _ZL33flash_attn_stream_k_fixup_generalILi96ELi8ELi2EEvPfPK15HIP_vector_typeIfLj2EEiiiiS1_IjLj3EES5_S5_S5_.num_agpr, 0
	.set _ZL33flash_attn_stream_k_fixup_generalILi96ELi8ELi2EEvPfPK15HIP_vector_typeIfLj2EEiiiiS1_IjLj3EES5_S5_S5_.numbered_sgpr, 44
	.set _ZL33flash_attn_stream_k_fixup_generalILi96ELi8ELi2EEvPfPK15HIP_vector_typeIfLj2EEiiiiS1_IjLj3EES5_S5_S5_.num_named_barrier, 0
	.set _ZL33flash_attn_stream_k_fixup_generalILi96ELi8ELi2EEvPfPK15HIP_vector_typeIfLj2EEiiiiS1_IjLj3EES5_S5_S5_.private_seg_size, 0
	.set _ZL33flash_attn_stream_k_fixup_generalILi96ELi8ELi2EEvPfPK15HIP_vector_typeIfLj2EEiiiiS1_IjLj3EES5_S5_S5_.uses_vcc, 1
	.set _ZL33flash_attn_stream_k_fixup_generalILi96ELi8ELi2EEvPfPK15HIP_vector_typeIfLj2EEiiiiS1_IjLj3EES5_S5_S5_.uses_flat_scratch, 0
	.set _ZL33flash_attn_stream_k_fixup_generalILi96ELi8ELi2EEvPfPK15HIP_vector_typeIfLj2EEiiiiS1_IjLj3EES5_S5_S5_.has_dyn_sized_stack, 0
	.set _ZL33flash_attn_stream_k_fixup_generalILi96ELi8ELi2EEvPfPK15HIP_vector_typeIfLj2EEiiiiS1_IjLj3EES5_S5_S5_.has_recursion, 0
	.set _ZL33flash_attn_stream_k_fixup_generalILi96ELi8ELi2EEvPfPK15HIP_vector_typeIfLj2EEiiiiS1_IjLj3EES5_S5_S5_.has_indirect_call, 0
	.section	.AMDGPU.csdata,"",@progbits
; Kernel info:
; codeLenInByte = 3540
; TotalNumSgprs: 46
; NumVgprs: 9
; ScratchSize: 0
; MemoryBound: 0
; FloatMode: 240
; IeeeMode: 1
; LDSByteSize: 0 bytes/workgroup (compile time only)
; SGPRBlocks: 0
; VGPRBlocks: 1
; NumSGPRsForWavesPerEU: 46
; NumVGPRsForWavesPerEU: 9
; Occupancy: 16
; WaveLimiterHint : 0
; COMPUTE_PGM_RSRC2:SCRATCH_EN: 0
; COMPUTE_PGM_RSRC2:USER_SGPR: 2
; COMPUTE_PGM_RSRC2:TRAP_HANDLER: 0
; COMPUTE_PGM_RSRC2:TGID_X_EN: 1
; COMPUTE_PGM_RSRC2:TGID_Y_EN: 1
; COMPUTE_PGM_RSRC2:TGID_Z_EN: 1
; COMPUTE_PGM_RSRC2:TIDIG_COMP_CNT: 0
	.section	.text._ZL15flash_attn_tileILi96ELi96ELi4ELi2ELb0EEvPKcS1_S1_S1_S1_PKiPfP15HIP_vector_typeIfLj2EEffffjfiS5_IjLj3EEiiiiiiiiiiiliiliiiiil,"axG",@progbits,_ZL15flash_attn_tileILi96ELi96ELi4ELi2ELb0EEvPKcS1_S1_S1_S1_PKiPfP15HIP_vector_typeIfLj2EEffffjfiS5_IjLj3EEiiiiiiiiiiiliiliiiiil,comdat
	.globl	_ZL15flash_attn_tileILi96ELi96ELi4ELi2ELb0EEvPKcS1_S1_S1_S1_PKiPfP15HIP_vector_typeIfLj2EEffffjfiS5_IjLj3EEiiiiiiiiiiiliiliiiiil ; -- Begin function _ZL15flash_attn_tileILi96ELi96ELi4ELi2ELb0EEvPKcS1_S1_S1_S1_PKiPfP15HIP_vector_typeIfLj2EEffffjfiS5_IjLj3EEiiiiiiiiiiiliiliiiiil
	.p2align	8
	.type	_ZL15flash_attn_tileILi96ELi96ELi4ELi2ELb0EEvPKcS1_S1_S1_S1_PKiPfP15HIP_vector_typeIfLj2EEffffjfiS5_IjLj3EEiiiiiiiiiiiliiliiiiil,@function
_ZL15flash_attn_tileILi96ELi96ELi4ELi2ELb0EEvPKcS1_S1_S1_S1_PKiPfP15HIP_vector_typeIfLj2EEffffjfiS5_IjLj3EEiiiiiiiiiiiliiliiiiil: ; @_ZL15flash_attn_tileILi96ELi96ELi4ELi2ELb0EEvPKcS1_S1_S1_S1_PKiPfP15HIP_vector_typeIfLj2EEffffjfiS5_IjLj3EEiiiiiiiiiiiliiliiiiil
; %bb.0:
	s_clause 0x1
	s_load_b128 s[20:23], s[0:1], 0x5c
	s_load_b64 s[30:31], s[0:1], 0x80
	s_lshr_b32 s5, ttmp7, 16
	s_mov_b32 s37, 0
	s_mov_b64 s[34:35], 0
	s_wait_kmcnt 0x0
	s_lshr_b32 s2, s23, 31
	s_delay_alu instid0(SALU_CYCLE_1) | instskip(NEXT) | instid1(SALU_CYCLE_1)
	s_add_co_i32 s2, s23, s2
	s_ashr_i32 s2, s2, 1
	s_delay_alu instid0(SALU_CYCLE_1) | instskip(SKIP_1) | instid1(SALU_CYCLE_2)
	s_cvt_f32_u32 s3, s2
	s_sub_co_i32 s4, 0, s2
	v_rcp_iflag_f32_e32 v1, s3
	s_delay_alu instid0(TRANS32_DEP_1) | instskip(SKIP_2) | instid1(SALU_CYCLE_2)
	v_readfirstlane_b32 s3, v1
	s_mul_f32 s3, s3, 0x4f7ffffe
	s_wait_alu 0xfffe
	s_cvt_u32_f32 s3, s3
	s_wait_alu 0xfffe
	s_delay_alu instid0(SALU_CYCLE_2) | instskip(NEXT) | instid1(SALU_CYCLE_1)
	s_mul_i32 s4, s4, s3
	s_mul_hi_u32 s4, s3, s4
	s_delay_alu instid0(SALU_CYCLE_1)
	s_add_co_i32 s3, s3, s4
	s_wait_alu 0xfffe
	s_mul_hi_u32 s3, s5, s3
	s_wait_alu 0xfffe
	s_mul_i32 s4, s3, s2
	s_add_co_i32 s6, s3, 1
	s_sub_co_i32 s4, s5, s4
	s_delay_alu instid0(SALU_CYCLE_1)
	s_sub_co_i32 s7, s4, s2
	s_cmp_ge_u32 s4, s2
	s_cselect_b32 s3, s6, s3
	s_cselect_b32 s4, s7, s4
	s_wait_alu 0xfffe
	s_add_co_i32 s6, s3, 1
	s_cmp_ge_u32 s4, s2
	s_cselect_b32 s28, s6, s3
	s_abs_i32 s2, s31
	s_abs_i32 s6, s23
	s_wait_alu 0xfffe
	s_cvt_f32_u32 s3, s2
	s_sub_co_i32 s4, 0, s2
	s_lshl_b32 s25, s5, 1
	s_mul_i32 s26, s28, s23
	s_wait_alu 0xfffe
	v_rcp_iflag_f32_e32 v1, s3
	s_delay_alu instid0(TRANS32_DEP_1) | instskip(SKIP_2) | instid1(SALU_CYCLE_2)
	v_readfirstlane_b32 s3, v1
	s_mul_f32 s3, s3, 0x4f7ffffe
	s_wait_alu 0xfffe
	s_cvt_u32_f32 s3, s3
	s_wait_alu 0xfffe
	s_delay_alu instid0(SALU_CYCLE_2) | instskip(NEXT) | instid1(SALU_CYCLE_1)
	s_mul_i32 s4, s4, s3
	s_mul_hi_u32 s4, s3, s4
	s_delay_alu instid0(SALU_CYCLE_1)
	s_add_co_i32 s3, s3, s4
	s_xor_b32 s4, s23, s31
	s_wait_alu 0xfffe
	s_mul_hi_u32 s3, s6, s3
	s_ashr_i32 s24, s4, 31
	s_wait_alu 0xfffe
	s_mul_i32 s5, s3, s2
	s_delay_alu instid0(SALU_CYCLE_1)
	s_sub_co_i32 s4, s6, s5
	s_add_co_i32 s5, s3, 1
	s_sub_co_i32 s6, s4, s2
	s_cmp_ge_u32 s4, s2
	s_cselect_b32 s3, s5, s3
	s_cselect_b32 s4, s6, s4
	s_wait_alu 0xfffe
	s_add_co_i32 s5, s3, 1
	s_cmp_ge_u32 s4, s2
	s_cselect_b32 s2, s5, s3
	s_load_b512 s[4:19], s[0:1], 0x0
	s_xor_b32 s2, s2, s24
	s_wait_alu 0xfffe
	s_sub_co_i32 s38, s2, s24
	s_load_b64 s[2:3], s[0:1], 0xb8
	s_abs_i32 s33, s38
	s_delay_alu instid0(SALU_CYCLE_1) | instskip(NEXT) | instid1(SALU_CYCLE_3)
	s_cvt_f32_u32 s24, s33
	v_rcp_iflag_f32_e32 v1, s24
	s_wait_kmcnt 0x0
	s_cmp_eq_u64 s[10:11], 0
	s_delay_alu instid0(TRANS32_DEP_1)
	v_readfirstlane_b32 s24, v1
	s_cbranch_scc1 .LBB43_2
; %bb.1:
	s_abs_i32 s2, s2
	s_load_b64 s[34:35], s[0:1], 0xc8
	s_cvt_f32_u32 s27, s2
	s_sub_co_i32 s29, 0, s2
	s_delay_alu instid0(SALU_CYCLE_2) | instskip(NEXT) | instid1(TRANS32_DEP_1)
	v_rcp_iflag_f32_e32 v1, s27
	v_readfirstlane_b32 s27, v1
	s_mul_f32 s27, s27, 0x4f7ffffe
	s_wait_alu 0xfffe
	s_delay_alu instid0(SALU_CYCLE_2) | instskip(SKIP_1) | instid1(SALU_CYCLE_2)
	s_cvt_u32_f32 s27, s27
	s_wait_alu 0xfffe
	s_mul_i32 s29, s29, s27
	s_delay_alu instid0(SALU_CYCLE_1) | instskip(NEXT) | instid1(SALU_CYCLE_1)
	s_mul_hi_u32 s29, s27, s29
	s_add_co_i32 s27, s27, s29
	s_wait_alu 0xfffe
	s_mul_hi_u32 s27, s28, s27
	s_wait_alu 0xfffe
	s_mul_i32 s27, s27, s2
	s_wait_alu 0xfffe
	s_sub_co_i32 s27, s28, s27
	s_wait_alu 0xfffe
	s_sub_co_i32 s29, s27, s2
	s_cmp_ge_u32 s27, s2
	s_cselect_b32 s27, s29, s27
	s_wait_alu 0xfffe
	s_sub_co_i32 s29, s27, s2
	s_cmp_ge_u32 s27, s2
	s_cselect_b32 s40, s29, s27
	s_delay_alu instid0(SALU_CYCLE_1) | instskip(SKIP_2) | instid1(SALU_CYCLE_1)
	s_ashr_i32 s41, s40, 31
	s_wait_kmcnt 0x0
	s_mul_u64 s[34:35], s[34:35], s[40:41]
	s_add_nc_u64 s[34:35], s[10:11], s[34:35]
.LBB43_2:
	v_and_b32_e32 v40, 0x3ff, v0
	v_bfe_u32 v0, v0, 10, 10
	s_movk_i32 s10, 0xc0
	s_sub_co_i32 s11, s25, s26
	s_lshl_b32 s31, ttmp9, 2
	v_cmp_gt_u32_e64 s2, 24, v40
	v_mad_u32_u24 v51, v0, s10, 0xe80
	v_lshlrev_b32_e32 v54, 3, v40
	v_and_b32_e32 v52, 1, v0
	v_lshrrev_b32_e32 v53, 1, v0
	s_and_saveexec_b32 s10, s2
	s_cbranch_execz .LBB43_4
; %bb.3:
	s_delay_alu instid0(VALU_DEP_1) | instskip(SKIP_2) | instid1(VALU_DEP_2)
	v_add_nc_u32_e32 v1, s31, v53
	s_load_b96 s[40:42], s[0:1], 0x70
	v_lshlrev_b32_e32 v5, 4, v40
	v_mul_hi_u32 v2, s20, v1
	s_delay_alu instid0(VALU_DEP_1) | instskip(NEXT) | instid1(VALU_DEP_1)
	v_add_nc_u32_e32 v2, v1, v2
	v_lshrrev_b32_e32 v2, s21, v2
	s_wait_kmcnt 0x0
	s_mul_i32 s26, s11, s41
	s_ashr_i32 s45, s41, 31
	s_delay_alu instid0(VALU_DEP_1)
	v_mul_lo_u32 v2, v2, s22
	s_mov_b32 s44, s41
	s_ashr_i32 s41, s40, 31
	s_lshr_b32 s25, s45, 2
	s_lshr_b64 s[46:47], s[40:41], 2
	s_lshr_b32 s27, s41, 2
	s_wait_alu 0xfffe
	v_mul_lo_u32 v4, s25, v52
	s_mul_i32 s40, s28, s42
	v_sub_nc_u32_e32 v3, v1, v2
	s_ashr_i32 s41, s40, 31
	s_delay_alu instid0(SALU_CYCLE_1) | instskip(NEXT) | instid1(VALU_DEP_1)
	s_add_nc_u64 s[4:5], s[4:5], s[40:41]
	v_mad_co_u64_u32 v[1:2], null, s46, v3, 0
	s_lshr_b64 s[46:47], s[44:45], 2
	v_mad_co_u64_u32 v[2:3], null, s27, v3, v[2:3]
	s_wait_alu 0xfffe
	v_mul_lo_u32 v3, s46, v52
	s_ashr_i32 s27, s26, 31
	s_wait_alu 0xfffe
	s_add_nc_u64 s[4:5], s[4:5], s[26:27]
	s_delay_alu instid0(VALU_DEP_2) | instskip(NEXT) | instid1(VALU_DEP_2)
	v_lshlrev_b64_e32 v[1:2], 2, v[1:2]
	v_lshlrev_b64_e32 v[3:4], 2, v[3:4]
	s_delay_alu instid0(VALU_DEP_1) | instskip(NEXT) | instid1(VALU_DEP_1)
	v_add_co_u32 v3, vcc_lo, s4, v3
	v_add_co_ci_u32_e64 v4, null, s5, v4, vcc_lo
	s_load_b32 s4, s[0:1], 0x40
	v_add_co_u32 v1, vcc_lo, v3, v1
	s_wait_alu 0xfffd
	v_add_co_ci_u32_e64 v2, null, v4, v2, vcc_lo
	s_delay_alu instid0(VALU_DEP_2) | instskip(SKIP_1) | instid1(VALU_DEP_2)
	v_add_co_u32 v1, vcc_lo, v1, v5
	s_wait_alu 0xfffd
	v_add_co_ci_u32_e64 v2, null, 0, v2, vcc_lo
	v_add_nc_u32_e32 v5, v51, v54
	global_load_b128 v[1:4], v[1:2], off
	s_wait_loadcnt 0x0
	s_wait_kmcnt 0x0
	v_fma_mixlo_f16 v2, s4, v2, 0
	v_fma_mixlo_f16 v1, s4, v1, 0
	;; [unrolled: 1-line block ×4, first 2 shown]
	s_delay_alu instid0(VALU_DEP_4) | instskip(NEXT) | instid1(VALU_DEP_4)
	v_lshlrev_b32_e32 v2, 16, v2
	v_and_b32_e32 v1, 0xffff, v1
	s_delay_alu instid0(VALU_DEP_4) | instskip(NEXT) | instid1(VALU_DEP_4)
	v_and_b32_e32 v3, 0xffff, v3
	v_lshlrev_b32_e32 v4, 16, v4
	s_delay_alu instid0(VALU_DEP_3) | instskip(NEXT) | instid1(VALU_DEP_2)
	v_or_b32_e32 v1, v2, v1
	v_or3_b32 v2, v4, v3, 0
	s_delay_alu instid0(VALU_DEP_2)
	v_or3_b32 v1, 0, 0, v1
	ds_store_b64 v5, v[1:2]
.LBB43_4:
	s_wait_alu 0xfffe
	s_or_b32 exec_lo, exec_lo, s10
	s_cmp_eq_u64 s[14:15], 0
	s_wait_dscnt 0x0
	s_barrier_signal -1
	s_barrier_wait -1
	global_inv scope:SCOPE_SE
	s_cbranch_scc1 .LBB43_6
; %bb.5:
	s_load_b32 s4, s[0:1], 0xd0
	s_mov_b32 s5, 0
	s_wait_kmcnt 0x0
	s_mul_i32 s4, s4, s28
	s_wait_alu 0xfffe
	s_add_co_i32 s4, s4, ttmp9
	s_wait_alu 0xfffe
	s_lshl_b64 s[4:5], s[4:5], 2
	s_wait_alu 0xfffe
	s_add_nc_u64 s[4:5], s[14:15], s[4:5]
	s_load_b32 s30, s[4:5], 0x0
.LBB43_6:
	s_and_b32 s10, ttmp7, 0xffff
	v_mbcnt_lo_u32_b32 v55, -1, 0
	s_wait_alu 0xfffe
	s_lshl_b32 s14, s10, 5
	s_wait_kmcnt 0x0
	s_cmp_lt_i32 s14, s30
	s_cbranch_scc1 .LBB43_9
; %bb.7:
	v_mbcnt_lo_u32_b32 v1, -1, 0
	v_mov_b32_e32 v56, 32
	s_delay_alu instid0(VALU_DEP_2)
	v_xor_b32_e32 v61, 16, v1
	v_xor_b32_e32 v60, 8, v1
	;; [unrolled: 1-line block ×5, first 2 shown]
	s_mov_b32 s29, 0
	s_cbranch_execz .LBB43_10
; %bb.8:
	v_dual_mov_b32 v73, 0 :: v_dual_mov_b32 v50, 0xfeffffff
	v_mov_b32_e32 v75, 0
	v_mov_b32_e32 v65, 0
	s_branch .LBB43_30
.LBB43_9:
                                        ; implicit-def: $vgpr1
                                        ; implicit-def: $vgpr56
                                        ; implicit-def: $vgpr61
                                        ; implicit-def: $vgpr60
                                        ; implicit-def: $vgpr59
                                        ; implicit-def: $vgpr58
                                        ; implicit-def: $vgpr57
	s_mov_b32 s29, 0
.LBB43_10:
	v_dual_mov_b32 v65, 0 :: v_dual_add_nc_u32 v4, s31, v53
	s_mul_f32 s15, s24, 0x4f7ffffe
	s_clause 0x1
	s_load_b128 s[24:27], s[0:1], 0x98
	s_load_b64 s[4:5], s[0:1], 0x8c
	v_lshrrev_b32_e32 v1, 1, v40
	v_mul_hi_u32 v2, s20, v4
	s_cvt_u32_f32 s15, s15
	v_dual_mov_b32 v76, 0xfeffffff :: v_dual_lshlrev_b32 v5, 2, v40
	s_sub_co_i32 s40, 0, s33
	v_lshl_add_u32 v1, v0, 4, v1
	s_mul_i32 s40, s40, s15
	s_delay_alu instid0(VALU_DEP_2) | instskip(NEXT) | instid1(VALU_DEP_4)
	v_dual_mov_b32 v56, 32 :: v_dual_and_b32 v9, 4, v5
	v_dual_mov_b32 v73, 0 :: v_dual_add_nc_u32 v2, v4, v2
	s_mul_hi_u32 s40, s15, s40
	s_abs_i32 s36, s11
	s_mov_b32 s39, s37
	s_delay_alu instid0(VALU_DEP_1)
	v_lshrrev_b32_e32 v2, s21, v2
	s_ashr_i32 s43, s38, 31
	s_add_co_i32 s38, s15, s40
	v_lshrrev_b32_e32 v3, 2, v40
	s_mul_u64 s[38:39], s[36:37], s[38:39]
	v_mul_lo_u32 v11, v2, s22
	v_mul_u32_u24_e32 v7, 0x70, v1
	v_lshlrev_b32_e32 v8, 2, v9
	s_load_b64 s[40:41], s[0:1], 0xa8
	s_mul_i32 s37, s39, s33
	s_ashr_i32 s42, s11, 31
	s_sub_co_i32 s37, s36, s37
	s_ashr_i32 s15, s3, 1
	s_xor_b32 s3, s42, s43
	s_add_co_i32 s38, s39, 1
	s_wait_kmcnt 0x0
	s_ashr_i32 s26, s26, 2
	s_ashr_i32 s36, s4, 2
	s_sub_co_i32 s4, s37, s33
	v_lshl_add_u32 v6, v0, 3, v3
	v_and_b32_e32 v10, 12, v5
	v_add3_u32 v63, v7, v8, 64
	v_sub_nc_u32_e32 v7, v4, v11
	v_lshrrev_b32_e32 v8, 3, v40
	s_cmp_ge_u32 s37, s33
	v_lshlrev_b32_e32 v12, 2, v10
	s_cselect_b32 s20, s38, s39
	s_wait_alu 0xfffe
	s_cselect_b32 s4, s4, s37
	s_add_co_i32 s37, s20, 1
	v_mad_co_u64_u32 v[41:42], null, v7, s15, v[40:41]
	v_mul_u32_u24_e32 v7, 0xc0, v6
	v_lshl_add_u32 v8, v0, 2, v8
	s_wait_alu 0xfffe
	s_cmp_ge_u32 s4, s33
	v_dual_mov_b32 v74, 0 :: v_dual_and_b32 v67, 28, v5
	s_cselect_b32 s4, s37, s20
	v_cmp_gt_u32_e32 vcc_lo, 32, v1
	s_wait_alu 0xfffe
	s_xor_b32 s4, s4, s3
	v_mul_lo_u32 v1, s36, v1
	v_mul_lo_u32 v3, s36, v6
	v_lshl_add_u32 v66, v0, 6, 0x1480
	v_mul_lo_u32 v5, s26, v6
	v_or_b32_e32 v0, v7, v12
	v_mul_lo_u32 v7, s26, v8
	s_wait_alu 0xfffe
	s_sub_co_i32 s3, s4, s3
	v_lshlrev_b32_e32 v11, 2, v67
	s_mul_u64 s[24:25], s[24:25], s[28:29]
	s_wait_alu 0xfffe
	s_mul_i32 s4, s3, s5
	s_mul_u64 s[38:39], s[40:41], s[28:29]
	s_add_nc_u64 s[6:7], s[6:7], s[24:25]
	s_wait_alu 0xfffe
	s_ashr_i32 s5, s4, 31
	s_add_nc_u64 s[8:9], s[8:9], s[38:39]
	s_mul_i32 s38, s3, s27
	s_wait_alu 0xfffe
	s_add_nc_u64 s[24:25], s[6:7], s[4:5]
	v_cmp_gt_u32_e64 s3, 32, v6
	v_ashrrev_i32_e32 v2, 31, v1
	v_mad_u32_u24 v64, 0x70, v6, v12
	v_ashrrev_i32_e32 v4, 31, v3
	v_cmp_gt_u32_e64 s4, 16, v6
	v_cmp_gt_u32_e64 s5, 16, v8
	v_ashrrev_i32_e32 v6, 31, v5
	v_mad_u32_u24 v70, 0xc0, v8, v11
	v_ashrrev_i32_e32 v8, 31, v7
	v_lshlrev_b64_e32 v[42:43], 2, v[1:2]
	v_lshlrev_b64_e32 v[44:45], 2, v[3:4]
	;; [unrolled: 1-line block ×3, first 2 shown]
	v_mul_u32_u24_e32 v62, 0x70, v40
	v_lshlrev_b64_e32 v[48:49], 2, v[7:8]
	v_lshl_add_u32 v68, v40, 1, v66
	v_add_nc_u32_e32 v69, 0x80, v0
	v_xor_b32_e32 v61, 16, v55
	v_xor_b32_e32 v60, 8, v55
	;; [unrolled: 1-line block ×5, first 2 shown]
	v_lshlrev_b32_e32 v71, 2, v9
	v_lshlrev_b32_e32 v72, 2, v10
	s_ashr_i32 s39, s38, 31
	s_ashr_i32 s37, s36, 31
	s_add_nc_u64 s[38:39], s[8:9], s[38:39]
	s_ashr_i32 s27, s26, 31
	s_add_nc_u64 s[20:21], s[0:1], 0xd0
.LBB43_11:                              ; =>This Inner Loop Header: Depth=1
	s_ashr_i32 s15, s14, 31
	s_wait_alu 0xfffe
	s_mul_u64 s[6:7], s[14:15], s[36:37]
	s_wait_alu 0xfffe
	s_lshl_b64 s[6:7], s[6:7], 2
	s_wait_alu 0xfffe
	s_add_nc_u64 s[8:9], s[24:25], s[6:7]
	s_and_saveexec_b32 s7, vcc_lo
	s_cbranch_execz .LBB43_13
; %bb.12:                               ;   in Loop: Header=BB43_11 Depth=1
	s_wait_alu 0xfffe
	v_add_co_u32 v0, s6, s8, v42
	s_wait_alu 0xf1ff
	v_add_co_ci_u32_e64 v1, null, s9, v43, s6
	s_delay_alu instid0(VALU_DEP_2) | instskip(SKIP_1) | instid1(VALU_DEP_2)
	v_add_co_u32 v0, s6, v0, v71
	s_wait_alu 0xf1ff
	v_add_co_ci_u32_e64 v1, null, 0, v1, s6
	global_load_b128 v[0:3], v[0:1], off offset:64
	s_wait_loadcnt 0x0
	ds_store_b128 v63, v[0:3]
.LBB43_13:                              ;   in Loop: Header=BB43_11 Depth=1
	s_wait_alu 0xfffe
	s_or_b32 exec_lo, exec_lo, s7
	s_and_saveexec_b32 s7, s3
	s_cbranch_execz .LBB43_15
; %bb.14:                               ;   in Loop: Header=BB43_11 Depth=1
	v_add_co_u32 v0, s6, s8, v44
	s_wait_alu 0xf1ff
	v_add_co_ci_u32_e64 v1, null, s9, v45, s6
	s_delay_alu instid0(VALU_DEP_2) | instskip(SKIP_1) | instid1(VALU_DEP_2)
	v_add_co_u32 v0, s6, v0, v72
	s_wait_alu 0xf1ff
	v_add_co_ci_u32_e64 v1, null, 0, v1, s6
	global_load_b128 v[0:3], v[0:1], off
	s_wait_loadcnt 0x0
	ds_store_b128 v64, v[0:3]
.LBB43_15:                              ;   in Loop: Header=BB43_11 Depth=1
	s_wait_alu 0xfffe
	s_or_b32 exec_lo, exec_lo, s7
	s_wait_loadcnt_dscnt 0x0
	s_barrier_signal -1
	s_barrier_wait -1
	global_inv scope:SCOPE_SE
	ds_load_b128 v[1:4], v62
	ds_load_b128 v[5:8], v51
	v_mov_b32_e32 v0, 0
	s_wait_dscnt 0x0
	;;#ASMSTART
	v_dot2_f32_f16 v0, v1, v5, v0
	;;#ASMEND
	;;#ASMSTART
	v_dot2_f32_f16 v0, v2, v6, v0
	;;#ASMEND
	;;#ASMSTART
	v_dot2_f32_f16 v0, v3, v7, v0
	;;#ASMEND
	;;#ASMSTART
	v_dot2_f32_f16 v0, v4, v8, v0
	;;#ASMEND
	ds_load_b128 v[1:4], v62 offset:16
	ds_load_b128 v[5:8], v51 offset:16
	s_wait_dscnt 0x0
	;;#ASMSTART
	v_dot2_f32_f16 v0, v1, v5, v0
	;;#ASMEND
	;;#ASMSTART
	v_dot2_f32_f16 v0, v2, v6, v0
	;;#ASMEND
	;;#ASMSTART
	v_dot2_f32_f16 v0, v3, v7, v0
	;;#ASMEND
	;;#ASMSTART
	v_dot2_f32_f16 v0, v4, v8, v0
	;;#ASMEND
	ds_load_b128 v[1:4], v62 offset:32
	ds_load_b128 v[5:8], v51 offset:32
	;; [unrolled: 15-line block ×5, first 2 shown]
	s_wait_dscnt 0x0
	;;#ASMSTART
	v_dot2_f32_f16 v0, v1, v5, v0
	;;#ASMEND
	;;#ASMSTART
	v_dot2_f32_f16 v0, v2, v6, v0
	;;#ASMEND
	;; [unrolled: 3-line block ×4, first 2 shown]
	s_wait_loadcnt 0x0
	s_barrier_signal -1
	s_barrier_wait -1
	global_inv scope:SCOPE_SE
	s_and_saveexec_b32 s7, vcc_lo
	s_cbranch_execz .LBB43_17
; %bb.16:                               ;   in Loop: Header=BB43_11 Depth=1
	v_add_co_u32 v1, s6, s8, v42
	s_wait_alu 0xf1ff
	v_add_co_ci_u32_e64 v2, null, s9, v43, s6
	s_delay_alu instid0(VALU_DEP_2) | instskip(SKIP_1) | instid1(VALU_DEP_2)
	v_add_co_u32 v1, s6, v1, v71
	s_wait_alu 0xf1ff
	v_add_co_ci_u32_e64 v2, null, 0, v2, s6
	global_load_b128 v[1:4], v[1:2], off offset:160
	s_wait_loadcnt 0x0
	ds_store_b128 v63, v[1:4]
.LBB43_17:                              ;   in Loop: Header=BB43_11 Depth=1
	s_wait_alu 0xfffe
	s_or_b32 exec_lo, exec_lo, s7
	s_and_saveexec_b32 s7, s3
	s_cbranch_execz .LBB43_19
; %bb.18:                               ;   in Loop: Header=BB43_11 Depth=1
	v_add_co_u32 v1, s6, s8, v44
	s_wait_alu 0xf1ff
	v_add_co_ci_u32_e64 v2, null, s9, v45, s6
	s_delay_alu instid0(VALU_DEP_2) | instskip(SKIP_1) | instid1(VALU_DEP_2)
	v_add_co_u32 v1, s6, v1, v72
	s_wait_alu 0xf1ff
	v_add_co_ci_u32_e64 v2, null, 0, v2, s6
	global_load_b128 v[1:4], v[1:2], off offset:96
	s_wait_loadcnt 0x0
	ds_store_b128 v64, v[1:4]
.LBB43_19:                              ;   in Loop: Header=BB43_11 Depth=1
	s_wait_alu 0xfffe
	s_or_b32 exec_lo, exec_lo, s7
	s_wait_loadcnt_dscnt 0x0
	s_barrier_signal -1
	s_barrier_wait -1
	global_inv scope:SCOPE_SE
	ds_load_b128 v[1:4], v62
	ds_load_b128 v[5:8], v51 offset:96
	v_add_nc_u32_e32 v9, s14, v41
	s_wait_dscnt 0x0
	;;#ASMSTART
	v_dot2_f32_f16 v0, v1, v5, v0
	;;#ASMEND
	;;#ASMSTART
	v_dot2_f32_f16 v0, v2, v6, v0
	;;#ASMEND
	;;#ASMSTART
	v_dot2_f32_f16 v0, v3, v7, v0
	;;#ASMEND
	;;#ASMSTART
	v_dot2_f32_f16 v0, v4, v8, v0
	;;#ASMEND
	ds_load_b128 v[1:4], v62 offset:16
	ds_load_b128 v[5:8], v51 offset:112
	s_wait_dscnt 0x0
	;;#ASMSTART
	v_dot2_f32_f16 v0, v1, v5, v0
	;;#ASMEND
	;;#ASMSTART
	v_dot2_f32_f16 v0, v2, v6, v0
	;;#ASMEND
	;;#ASMSTART
	v_dot2_f32_f16 v0, v3, v7, v0
	;;#ASMEND
	;;#ASMSTART
	v_dot2_f32_f16 v0, v4, v8, v0
	;;#ASMEND
	ds_load_b128 v[1:4], v62 offset:32
	ds_load_b128 v[5:8], v51 offset:128
	;; [unrolled: 15-line block ×5, first 2 shown]
	s_wait_dscnt 0x0
	;;#ASMSTART
	v_dot2_f32_f16 v0, v1, v5, v0
	;;#ASMEND
	;;#ASMSTART
	v_dot2_f32_f16 v0, v2, v6, v0
	;;#ASMEND
	v_max_num_f32_e32 v2, v76, v76
	v_ashrrev_i32_e32 v10, 31, v9
	;;#ASMSTART
	v_dot2_f32_f16 v0, v3, v7, v0
	;;#ASMEND
	;;#ASMSTART
	v_dot2_f32_f16 v0, v4, v8, v0
	;;#ASMEND
	s_delay_alu instid0(VALU_DEP_1) | instskip(NEXT) | instid1(VALU_DEP_1)
	v_lshlrev_b64_e32 v[9:10], 1, v[9:10]
	v_add_co_u32 v9, s6, s34, v9
	s_wait_alu 0xf1ff
	s_delay_alu instid0(VALU_DEP_2)
	v_add_co_ci_u32_e64 v10, null, s35, v10, s6
	v_cmp_gt_i32_e64 s6, 32, v61
	global_load_u16 v1, v[9:10], off
	s_wait_loadcnt 0x0
	s_barrier_signal -1
	s_barrier_wait -1
	global_inv scope:SCOPE_SE
	v_cvt_f32_f16_e32 v1, v1
	s_delay_alu instid0(VALU_DEP_1) | instskip(SKIP_3) | instid1(VALU_DEP_3)
	v_add_f32_e32 v0, v0, v1
	s_wait_alu 0xf1ff
	v_cndmask_b32_e64 v1, v55, v61, s6
	v_cmp_gt_i32_e64 s6, 32, v60
	v_add_f32_e32 v3, 0x40051340, v0
	s_delay_alu instid0(VALU_DEP_1) | instskip(SKIP_1) | instid1(VALU_DEP_3)
	v_dual_max_num_f32 v2, v2, v3 :: v_dual_lshlrev_b32 v1, 2, v1
	s_wait_alu 0xf1ff
	v_cndmask_b32_e64 v3, v55, v60, s6
	v_cmp_gt_i32_e64 s6, 32, v59
	ds_bpermute_b32 v1, v1, v2
	v_lshlrev_b32_e32 v3, 2, v3
	s_wait_dscnt 0x0
	v_max_num_f32_e32 v1, v1, v1
	s_delay_alu instid0(VALU_DEP_1)
	v_max_num_f32_e32 v1, v2, v1
	ds_bpermute_b32 v2, v3, v1
	s_wait_alu 0xf1ff
	v_cndmask_b32_e64 v3, v55, v59, s6
	v_cmp_gt_i32_e64 s6, 32, v58
	s_wait_dscnt 0x0
	s_delay_alu instid0(VALU_DEP_2) | instskip(NEXT) | instid1(VALU_DEP_1)
	v_dual_max_num_f32 v2, v2, v2 :: v_dual_lshlrev_b32 v3, 2, v3
	v_max_num_f32_e32 v1, v1, v2
	ds_bpermute_b32 v2, v3, v1
	s_wait_alu 0xf1ff
	v_cndmask_b32_e64 v3, v55, v58, s6
	v_cmp_gt_i32_e64 s6, 32, v57
	s_wait_dscnt 0x0
	s_delay_alu instid0(VALU_DEP_2) | instskip(NEXT) | instid1(VALU_DEP_1)
	v_dual_max_num_f32 v2, v2, v2 :: v_dual_lshlrev_b32 v3, 2, v3
	v_max_num_f32_e32 v1, v1, v2
	ds_bpermute_b32 v2, v3, v1
	s_wait_alu 0xf1ff
	v_cndmask_b32_e64 v3, v55, v57, s6
	s_wait_dscnt 0x0
	v_max_num_f32_e32 v2, v2, v2
	s_delay_alu instid0(VALU_DEP_1) | instskip(NEXT) | instid1(VALU_DEP_3)
	v_max_num_f32_e32 v1, v1, v2
	v_lshlrev_b32_e32 v3, 2, v3
	ds_bpermute_b32 v2, v3, v1
	s_wait_dscnt 0x0
	v_max_num_f32_e32 v2, v2, v2
	s_delay_alu instid0(VALU_DEP_1) | instskip(NEXT) | instid1(VALU_DEP_1)
	v_max_num_f32_e32 v50, v1, v2
	v_sub_f32_e32 v0, v0, v50
	s_delay_alu instid0(VALU_DEP_1) | instskip(SKIP_1) | instid1(VALU_DEP_2)
	v_mul_f32_e32 v1, 0x3fb8aa3b, v0
	v_cmp_ngt_f32_e64 s6, 0xc2ce8ed0, v0
	v_fma_f32 v2, 0x3fb8aa3b, v0, -v1
	v_rndne_f32_e32 v3, v1
	s_delay_alu instid0(VALU_DEP_1) | instskip(NEXT) | instid1(VALU_DEP_1)
	v_dual_fmac_f32 v2, 0x32a5705f, v0 :: v_dual_sub_f32 v1, v1, v3
	v_add_f32_e32 v1, v1, v2
	v_cvt_i32_f32_e32 v2, v3
	s_delay_alu instid0(VALU_DEP_2) | instskip(NEXT) | instid1(TRANS32_DEP_1)
	v_exp_f32_e32 v1, v1
	v_ldexp_f32 v1, v1, v2
	s_wait_alu 0xf1ff
	s_delay_alu instid0(VALU_DEP_1) | instskip(SKIP_2) | instid1(VALU_DEP_1)
	v_cndmask_b32_e64 v1, 0, v1, s6
	v_cmp_nlt_f32_e64 s6, 0x42b17218, v0
	s_wait_alu 0xf1ff
	v_cndmask_b32_e64 v75, 0x7f800000, v1, s6
	s_mul_u64 s[6:7], s[14:15], s[26:27]
	s_wait_alu 0xfffe
	s_lshl_b64 s[6:7], s[6:7], 2
	s_delay_alu instid0(VALU_DEP_1)
	v_cvt_f16_f32_e32 v0, v75
	s_wait_alu 0xfffe
	s_add_nc_u64 s[8:9], s[38:39], s[6:7]
	ds_store_b16 v68, v0
	s_and_saveexec_b32 s7, s4
	s_cbranch_execz .LBB43_21
; %bb.20:                               ;   in Loop: Header=BB43_11 Depth=1
	s_wait_alu 0xfffe
	v_add_co_u32 v0, s6, s8, v46
	s_wait_alu 0xf1ff
	v_add_co_ci_u32_e64 v1, null, s9, v47, s6
	s_delay_alu instid0(VALU_DEP_2) | instskip(SKIP_1) | instid1(VALU_DEP_2)
	v_add_co_u32 v0, s6, v0, v72
	s_wait_alu 0xf1ff
	v_add_co_ci_u32_e64 v1, null, 0, v1, s6
	global_load_b128 v[0:3], v[0:1], off offset:128
	s_wait_loadcnt 0x0
	ds_store_b128 v69, v[0:3]
.LBB43_21:                              ;   in Loop: Header=BB43_11 Depth=1
	s_wait_alu 0xfffe
	s_or_b32 exec_lo, exec_lo, s7
	v_lshlrev_b32_e32 v79, 2, v67
	s_and_saveexec_b32 s7, s5
	s_cbranch_execz .LBB43_23
; %bb.22:                               ;   in Loop: Header=BB43_11 Depth=1
	v_add_co_u32 v0, s6, s8, v48
	s_wait_alu 0xf1ff
	v_add_co_ci_u32_e64 v1, null, s9, v49, s6
	s_delay_alu instid0(VALU_DEP_2) | instskip(SKIP_1) | instid1(VALU_DEP_2)
	v_add_co_u32 v0, s6, v0, v79
	s_wait_alu 0xf1ff
	v_add_co_ci_u32_e64 v1, null, 0, v1, s6
	global_load_b128 v[0:3], v[0:1], off
	s_wait_loadcnt 0x0
	ds_store_b128 v70, v[0:3]
.LBB43_23:                              ;   in Loop: Header=BB43_11 Depth=1
	s_wait_alu 0xfffe
	s_or_b32 exec_lo, exec_lo, s7
	v_add_nc_u32_e32 v78, 0x400, v54
	v_add_nc_u32_e32 v77, 0x800, v54
	s_wait_loadcnt_dscnt 0x0
	s_barrier_signal -1
	s_barrier_wait -1
	global_inv scope:SCOPE_SE
	ds_load_2addr_b64 v[32:35], v54 offset1:24
	ds_load_b128 v[20:23], v66
	ds_load_b128 v[0:3], v66 offset:16
	ds_load_2addr_b64 v[24:27], v54 offset0:48 offset1:72
	ds_load_2addr_b64 v[36:39], v54 offset0:96 offset1:120
	;; [unrolled: 1-line block ×7, first 2 shown]
	v_sub_f32_e32 v76, v76, v50
	s_or_b32 s6, s14, 16
	s_wait_loadcnt_dscnt 0x0
	s_wait_alu 0xfffe
	s_ashr_i32 s7, s6, 31
	s_barrier_signal -1
	s_wait_alu 0xfffe
	s_mul_u64 s[8:9], s[6:7], s[26:27]
	v_cmp_ngt_f32_e64 s6, 0xc2ce8ed0, v76
	v_cmp_nlt_f32_e64 s7, 0x42b17218, v76
	s_wait_alu 0xfffe
	s_lshl_b64 s[8:9], s[8:9], 2
	s_barrier_wait -1
	s_wait_alu 0xfffe
	s_add_nc_u64 s[40:41], s[38:39], s[8:9]
	global_inv scope:SCOPE_SE
	s_and_saveexec_b32 s9, s4
	s_cbranch_execz .LBB43_25
; %bb.24:                               ;   in Loop: Header=BB43_11 Depth=1
	s_wait_alu 0xfffe
	v_add_co_u32 v80, s8, s40, v46
	s_wait_alu 0xf1ff
	v_add_co_ci_u32_e64 v81, null, s41, v47, s8
	s_delay_alu instid0(VALU_DEP_2) | instskip(SKIP_1) | instid1(VALU_DEP_2)
	v_add_co_u32 v80, s8, v80, v72
	s_wait_alu 0xf1ff
	v_add_co_ci_u32_e64 v81, null, 0, v81, s8
	global_load_b128 v[80:83], v[80:81], off offset:128
	s_wait_loadcnt 0x0
	ds_store_b128 v69, v[80:83]
.LBB43_25:                              ;   in Loop: Header=BB43_11 Depth=1
	s_wait_alu 0xfffe
	s_or_b32 exec_lo, exec_lo, s9
	s_and_saveexec_b32 s9, s5
	s_cbranch_execz .LBB43_27
; %bb.26:                               ;   in Loop: Header=BB43_11 Depth=1
	v_add_co_u32 v80, s8, s40, v48
	s_wait_alu 0xf1ff
	v_add_co_ci_u32_e64 v81, null, s41, v49, s8
	s_delay_alu instid0(VALU_DEP_2) | instskip(SKIP_1) | instid1(VALU_DEP_2)
	v_add_co_u32 v79, s8, v80, v79
	s_wait_alu 0xf1ff
	v_add_co_ci_u32_e64 v80, null, 0, v81, s8
	global_load_b128 v[79:82], v[79:80], off
	s_wait_loadcnt 0x0
	ds_store_b128 v70, v[79:82]
.LBB43_27:                              ;   in Loop: Header=BB43_11 Depth=1
	s_wait_alu 0xfffe
	s_or_b32 exec_lo, exec_lo, s9
	v_mul_f32_e32 v79, 0x3fb8aa3b, v76
	s_wait_loadcnt_dscnt 0x0
	s_barrier_signal -1
	s_barrier_wait -1
	global_inv scope:SCOPE_SE
	v_fma_f32 v80, 0x3fb8aa3b, v76, -v79
	v_rndne_f32_e32 v81, v79
	s_delay_alu instid0(VALU_DEP_2) | instskip(NEXT) | instid1(VALU_DEP_2)
	v_fmac_f32_e32 v80, 0x32a5705f, v76
	v_sub_f32_e32 v76, v79, v81
	v_cvt_i32_f32_e32 v79, v81
	s_delay_alu instid0(VALU_DEP_2) | instskip(NEXT) | instid1(VALU_DEP_1)
	v_add_f32_e32 v76, v76, v80
	v_exp_f32_e32 v76, v76
	s_delay_alu instid0(TRANS32_DEP_1) | instskip(SKIP_2) | instid1(VALU_DEP_3)
	v_ldexp_f32 v76, v76, v79
	v_and_b32_e32 v79, 0xffff, v20
	v_lshrrev_b32_e32 v20, 16, v20
	v_cndmask_b32_e64 v76, 0, v76, s6
	s_delay_alu instid0(VALU_DEP_3) | instskip(NEXT) | instid1(VALU_DEP_3)
	v_mul_u32_u24_e32 v79, 0x10001, v79
	v_mul_u32_u24_e32 v20, 0x10001, v20
	s_delay_alu instid0(VALU_DEP_3) | instskip(NEXT) | instid1(VALU_DEP_3)
	v_cndmask_b32_e64 v76, 0x7f800000, v76, s7
	v_pk_mul_f16 v32, v32, v79
	v_pk_mul_f16 v33, v33, v79
	v_and_b32_e32 v79, 0xffff, v21
	v_lshrrev_b32_e32 v21, 16, v21
	v_cvt_f16_f32_e32 v80, v76
	v_fmac_f32_e32 v75, v74, v76
	s_delay_alu instid0(VALU_DEP_3) | instskip(NEXT) | instid1(VALU_DEP_3)
	v_mul_u32_u24_e32 v21, 0x10001, v21
	v_and_b32_e32 v80, 0xffff, v80
	s_delay_alu instid0(VALU_DEP_1) | instskip(NEXT) | instid1(VALU_DEP_1)
	v_mul_u32_u24_e32 v80, 0x10001, v80
	v_pk_fma_f16 v32, v65, v80, v32
	v_pk_fma_f16 v33, v73, v80, v33
	v_mul_u32_u24_e32 v65, 0x10001, v79
	s_delay_alu instid0(VALU_DEP_3) | instskip(NEXT) | instid1(VALU_DEP_3)
	v_pk_fma_f16 v32, v34, v20, v32
	v_pk_fma_f16 v20, v35, v20, v33
	v_and_b32_e32 v33, 0xffff, v22
	v_lshrrev_b32_e32 v22, 16, v22
	s_delay_alu instid0(VALU_DEP_4) | instskip(NEXT) | instid1(VALU_DEP_4)
	v_pk_fma_f16 v24, v24, v65, v32
	v_pk_fma_f16 v20, v25, v65, v20
	s_delay_alu instid0(VALU_DEP_4) | instskip(NEXT) | instid1(VALU_DEP_4)
	v_mul_u32_u24_e32 v25, 0x10001, v33
	v_mul_u32_u24_e32 v22, 0x10001, v22
	s_delay_alu instid0(VALU_DEP_4) | instskip(NEXT) | instid1(VALU_DEP_4)
	v_pk_fma_f16 v24, v26, v21, v24
	v_pk_fma_f16 v20, v27, v21, v20
	v_and_b32_e32 v21, 0xffff, v23
	v_lshrrev_b32_e32 v23, 16, v23
	s_delay_alu instid0(VALU_DEP_4) | instskip(NEXT) | instid1(VALU_DEP_4)
	v_pk_fma_f16 v24, v36, v25, v24
	v_pk_fma_f16 v20, v37, v25, v20
	s_delay_alu instid0(VALU_DEP_4) | instskip(NEXT) | instid1(VALU_DEP_4)
	v_mul_u32_u24_e32 v21, 0x10001, v21
	v_mul_u32_u24_e32 v23, 0x10001, v23
	s_delay_alu instid0(VALU_DEP_4) | instskip(NEXT) | instid1(VALU_DEP_4)
	v_pk_fma_f16 v24, v38, v22, v24
	v_pk_fma_f16 v20, v39, v22, v20
	v_lshrrev_b32_e32 v22, 16, v0
	v_and_b32_e32 v0, 0xffff, v0
	s_delay_alu instid0(VALU_DEP_4) | instskip(NEXT) | instid1(VALU_DEP_4)
	v_pk_fma_f16 v24, v28, v21, v24
	v_pk_fma_f16 v20, v29, v21, v20
	v_lshrrev_b32_e32 v21, 16, v1
	s_delay_alu instid0(VALU_DEP_4)
	v_mul_u32_u24_e32 v0, 0x10001, v0
	v_and_b32_e32 v1, 0xffff, v1
	v_pk_fma_f16 v24, v30, v23, v24
	v_pk_fma_f16 v20, v31, v23, v20
	v_mul_u32_u24_e32 v22, 0x10001, v22
	v_and_b32_e32 v23, 0xffff, v2
	v_mul_u32_u24_e32 v1, 0x10001, v1
	v_pk_fma_f16 v16, v16, v0, v24
	v_pk_fma_f16 v0, v17, v0, v20
	v_mul_u32_u24_e32 v21, 0x10001, v21
	s_delay_alu instid0(VALU_DEP_3) | instskip(NEXT) | instid1(VALU_DEP_3)
	v_pk_fma_f16 v20, v18, v22, v16
	v_pk_fma_f16 v0, v19, v22, v0
	ds_load_b128 v[16:19], v66 offset:32
	v_pk_fma_f16 v12, v12, v1, v20
	v_pk_fma_f16 v0, v13, v1, v0
	v_lshrrev_b32_e32 v1, 16, v2
	v_mul_u32_u24_e32 v2, 0x10001, v23
	s_delay_alu instid0(VALU_DEP_4) | instskip(NEXT) | instid1(VALU_DEP_4)
	v_pk_fma_f16 v20, v14, v21, v12
	v_pk_fma_f16 v0, v15, v21, v0
	v_and_b32_e32 v21, 0xffff, v3
	ds_load_2addr_b64 v[12:15], v54 offset1:24
	v_mul_u32_u24_e32 v22, 0x10001, v1
	v_pk_fma_f16 v8, v8, v2, v20
	v_pk_fma_f16 v9, v9, v2, v0
	v_lshrrev_b32_e32 v20, 16, v3
	v_mul_u32_u24_e32 v21, 0x10001, v21
	ds_load_b128 v[0:3], v66 offset:48
	v_pk_fma_f16 v23, v10, v22, v8
	v_pk_fma_f16 v22, v11, v22, v9
	ds_load_2addr_b64 v[8:11], v54 offset0:48 offset1:72
	v_mul_u32_u24_e32 v20, 0x10001, v20
	s_wait_dscnt 0x3
	v_and_b32_e32 v24, 0xffff, v16
	v_pk_fma_f16 v4, v4, v21, v23
	v_pk_fma_f16 v5, v5, v21, v22
	v_lshrrev_b32_e32 v16, 16, v16
	v_and_b32_e32 v23, 0xffff, v17
	v_mul_u32_u24_e32 v21, 0x10001, v24
	v_pk_fma_f16 v22, v6, v20, v4
	v_pk_fma_f16 v20, v7, v20, v5
	ds_load_2addr_b64 v[4:7], v54 offset0:96 offset1:120
	v_mul_u32_u24_e32 v16, 0x10001, v16
	v_lshrrev_b32_e32 v17, 16, v17
	s_wait_dscnt 0x3
	v_pk_fma_f16 v12, v12, v21, v22
	v_pk_fma_f16 v13, v13, v21, v20
	v_mul_u32_u24_e32 v20, 0x10001, v23
	v_and_b32_e32 v24, 0xffff, v18
	v_mul_u32_u24_e32 v17, 0x10001, v17
	v_pk_fma_f16 v21, v14, v16, v12
	v_pk_fma_f16 v16, v15, v16, v13
	ds_load_2addr_b64 v[12:15], v54 offset0:144 offset1:168
	v_and_b32_e32 v28, 0xffff, v19
	s_wait_dscnt 0x2
	v_pk_fma_f16 v8, v8, v20, v21
	v_pk_fma_f16 v9, v9, v20, v16
	v_lshrrev_b32_e32 v16, 16, v18
	v_mul_u32_u24_e32 v18, 0x10001, v24
	ds_load_2addr_b64 v[20:23], v54 offset0:192 offset1:216
	v_pk_fma_f16 v24, v10, v17, v8
	v_pk_fma_f16 v17, v11, v17, v9
	v_mul_u32_u24_e32 v16, 0x10001, v16
	ds_load_2addr_b64 v[8:11], v78 offset0:112 offset1:136
	s_wait_dscnt 0x3
	v_pk_fma_f16 v4, v4, v18, v24
	v_pk_fma_f16 v5, v5, v18, v17
	v_lshrrev_b32_e32 v17, 16, v19
	v_mul_u32_u24_e32 v18, 0x10001, v28
	v_and_b32_e32 v28, 0xffff, v0
	v_pk_fma_f16 v19, v6, v16, v4
	v_pk_fma_f16 v16, v7, v16, v5
	v_mul_u32_u24_e32 v17, 0x10001, v17
	v_lshrrev_b32_e32 v0, 16, v0
	ds_load_2addr_b64 v[24:27], v77 offset0:32 offset1:56
	s_wait_dscnt 0x3
	v_pk_fma_f16 v12, v12, v18, v19
	v_pk_fma_f16 v13, v13, v18, v16
	v_mul_u32_u24_e32 v16, 0x10001, v28
	v_mul_u32_u24_e32 v0, 0x10001, v0
	ds_load_2addr_b64 v[4:7], v77 offset0:80 offset1:104
	v_pk_fma_f16 v12, v14, v17, v12
	v_pk_fma_f16 v13, v15, v17, v13
	v_and_b32_e32 v14, 0xffff, v1
	v_lshrrev_b32_e32 v1, 16, v1
	s_wait_loadcnt_dscnt 0x0
	v_pk_fma_f16 v12, v20, v16, v12
	v_pk_fma_f16 v13, v21, v16, v13
	v_mul_u32_u24_e32 v14, 0x10001, v14
	v_mul_u32_u24_e32 v1, 0x10001, v1
	s_barrier_signal -1
	v_pk_fma_f16 v12, v22, v0, v12
	v_pk_fma_f16 v0, v23, v0, v13
	v_and_b32_e32 v13, 0xffff, v2
	s_barrier_wait -1
	global_inv scope:SCOPE_SE
	v_pk_fma_f16 v8, v8, v14, v12
	v_pk_fma_f16 v0, v9, v14, v0
	s_load_b32 s6, s[20:21], 0x4
	v_lshrrev_b32_e32 v2, 16, v2
	v_mul_u32_u24_e32 v9, 0x10001, v13
	v_pk_fma_f16 v8, v10, v1, v8
	v_pk_fma_f16 v0, v11, v1, v0
	v_and_b32_e32 v1, 0xffff, v3
	v_mul_u32_u24_e32 v2, 0x10001, v2
	v_lshrrev_b32_e32 v3, 16, v3
	v_pk_fma_f16 v8, v24, v9, v8
	v_pk_fma_f16 v0, v25, v9, v0
	v_mul_u32_u24_e32 v1, 0x10001, v1
	s_delay_alu instid0(VALU_DEP_3) | instskip(NEXT) | instid1(VALU_DEP_3)
	v_pk_fma_f16 v8, v26, v2, v8
	v_pk_fma_f16 v0, v27, v2, v0
	v_mul_u32_u24_e32 v2, 0x10001, v3
	s_delay_alu instid0(VALU_DEP_3) | instskip(NEXT) | instid1(VALU_DEP_3)
	v_pk_fma_f16 v3, v4, v1, v8
	v_pk_fma_f16 v0, v5, v1, v0
	s_wait_kmcnt 0x0
	s_lshl_b32 s6, s6, 5
	s_wait_alu 0xfffe
	s_add_co_i32 s14, s6, s14
	v_pk_fma_f16 v65, v6, v2, v3
	v_pk_fma_f16 v73, v7, v2, v0
	s_wait_alu 0xfffe
	s_cmp_ge_i32 s14, s30
	s_cbranch_scc1 .LBB43_29
; %bb.28:                               ;   in Loop: Header=BB43_11 Depth=1
	v_mov_b32_e32 v76, v50
	v_mov_b32_e32 v74, v75
	s_branch .LBB43_11
.LBB43_29:
	v_mov_b32_e32 v1, v55
.LBB43_30:
	v_cmp_lt_i32_e32 vcc_lo, v61, v56
	s_cmp_lg_u64 s[12:13], 0
	s_cselect_b32 s3, -1, 0
	s_cmp_eq_u32 s10, 0
	s_wait_alu 0xfffd
	v_cndmask_b32_e32 v0, v1, v61, vcc_lo
	v_cmp_lt_i32_e32 vcc_lo, v60, v56
	s_cselect_b32 s4, -1, 0
	s_wait_alu 0xfffe
	s_and_b32 s3, s4, s3
	s_wait_alu 0xfffd
	v_cndmask_b32_e32 v2, v1, v60, vcc_lo
	v_cmp_lt_i32_e32 vcc_lo, v59, v56
	s_wait_alu 0xfffd
	s_delay_alu instid0(VALU_DEP_2) | instskip(SKIP_1) | instid1(VALU_DEP_2)
	v_dual_cndmask_b32 v3, v1, v59 :: v_dual_lshlrev_b32 v2, 2, v2
	v_cmp_lt_i32_e32 vcc_lo, v58, v56
	v_lshlrev_b32_e32 v3, 2, v3
	v_lshlrev_b32_e32 v0, 2, v0
	ds_bpermute_b32 v0, v0, v75
	s_wait_dscnt 0x0
	v_add_f32_e32 v0, v75, v0
	ds_bpermute_b32 v2, v2, v0
	s_wait_dscnt 0x0
	v_add_f32_e32 v0, v0, v2
	ds_bpermute_b32 v2, v3, v0
	s_wait_alu 0xfffd
	v_cndmask_b32_e32 v3, v1, v58, vcc_lo
	v_cmp_lt_i32_e32 vcc_lo, v57, v56
	s_delay_alu instid0(VALU_DEP_2)
	v_lshlrev_b32_e32 v3, 2, v3
	s_wait_alu 0xfffd
	v_cndmask_b32_e32 v1, v1, v57, vcc_lo
	s_wait_alu 0xfffe
	s_and_b32 vcc_lo, exec_lo, s3
	s_wait_dscnt 0x0
	s_delay_alu instid0(VALU_DEP_1)
	v_dual_add_f32 v0, v0, v2 :: v_dual_lshlrev_b32 v1, 2, v1
	ds_bpermute_b32 v2, v3, v0
	s_wait_dscnt 0x0
	v_add_f32_e32 v0, v0, v2
	ds_bpermute_b32 v1, v1, v0
	s_wait_dscnt 0x0
	v_add_f32_e32 v51, v0, v1
	s_wait_alu 0xfffe
	s_cbranch_vccz .LBB43_32
; %bb.31:
	v_add_nc_u32_e32 v0, s11, v52
	s_delay_alu instid0(VALU_DEP_1) | instskip(NEXT) | instid1(VALU_DEP_1)
	v_ashrrev_i32_e32 v1, 31, v0
	v_lshlrev_b64_e32 v[0:1], 2, v[0:1]
	s_delay_alu instid0(VALU_DEP_1) | instskip(SKIP_1) | instid1(VALU_DEP_2)
	v_add_co_u32 v0, vcc_lo, s12, v0
	s_wait_alu 0xfffd
	v_add_co_ci_u32_e64 v1, null, s13, v1, vcc_lo
	global_load_b32 v0, v[0:1], off
	s_wait_loadcnt 0x0
	v_dual_max_num_f32 v1, v50, v50 :: v_dual_max_num_f32 v2, v0, v0
	s_delay_alu instid0(VALU_DEP_1) | instskip(NEXT) | instid1(VALU_DEP_1)
	v_max_num_f32_e32 v1, v1, v2
	v_sub_f32_e32 v0, v0, v1
	s_delay_alu instid0(VALU_DEP_1) | instskip(SKIP_2) | instid1(VALU_DEP_3)
	v_mul_f32_e32 v6, 0x3fb8aa3b, v0
	v_sub_f32_e32 v2, v50, v1
	v_mov_b32_e32 v50, v1
	v_rndne_f32_e32 v8, v6
	s_delay_alu instid0(VALU_DEP_3) | instskip(NEXT) | instid1(VALU_DEP_1)
	v_mul_f32_e32 v3, 0x3fb8aa3b, v2
	v_fma_f32 v4, 0x3fb8aa3b, v2, -v3
	v_rndne_f32_e32 v5, v3
	s_delay_alu instid0(VALU_DEP_1) | instskip(SKIP_1) | instid1(VALU_DEP_2)
	v_dual_fmac_f32 v4, 0x32a5705f, v2 :: v_dual_sub_f32 v3, v3, v5
	v_cvt_i32_f32_e32 v5, v5
	v_add_f32_e32 v3, v3, v4
	v_cmp_ngt_f32_e32 vcc_lo, 0xc2ce8ed0, v2
	v_sub_f32_e32 v4, v6, v8
	s_delay_alu instid0(VALU_DEP_3) | instskip(NEXT) | instid1(TRANS32_DEP_1)
	v_exp_f32_e32 v3, v3
	v_ldexp_f32 v3, v3, v5
	v_cvt_i32_f32_e32 v5, v8
	s_wait_alu 0xfffd
	s_delay_alu instid0(VALU_DEP_2) | instskip(SKIP_2) | instid1(VALU_DEP_2)
	v_cndmask_b32_e32 v3, 0, v3, vcc_lo
	v_fma_f32 v7, 0x3fb8aa3b, v0, -v6
	v_cmp_nlt_f32_e32 vcc_lo, 0x42b17218, v2
	v_fmac_f32_e32 v7, 0x32a5705f, v0
	s_wait_alu 0xfffd
	v_cndmask_b32_e32 v2, 0x7f800000, v3, vcc_lo
	v_cmp_ngt_f32_e32 vcc_lo, 0xc2ce8ed0, v0
	s_delay_alu instid0(VALU_DEP_3) | instskip(NEXT) | instid1(VALU_DEP_1)
	v_add_f32_e32 v4, v4, v7
	v_exp_f32_e32 v4, v4
	s_delay_alu instid0(TRANS32_DEP_1) | instskip(SKIP_1) | instid1(VALU_DEP_1)
	v_ldexp_f32 v4, v4, v5
	s_wait_alu 0xfffd
	v_cndmask_b32_e32 v3, 0, v4, vcc_lo
	v_cmp_nlt_f32_e32 vcc_lo, 0x42b17218, v0
	s_wait_alu 0xfffd
	s_delay_alu instid0(VALU_DEP_2) | instskip(NEXT) | instid1(VALU_DEP_1)
	v_cndmask_b32_e32 v0, 0x7f800000, v3, vcc_lo
	v_fmac_f32_e32 v0, v51, v2
	s_delay_alu instid0(VALU_DEP_1) | instskip(SKIP_1) | instid1(VALU_DEP_1)
	v_mov_b32_e32 v51, v0
	v_cvt_f16_f32_e32 v4, v2
	v_and_b32_e32 v3, 0xffff, v4
	s_delay_alu instid0(VALU_DEP_1) | instskip(NEXT) | instid1(VALU_DEP_1)
	v_mul_u32_u24_e32 v2, 0x10001, v3
	v_pk_mul_f16 v65, v65, v2
	v_pk_mul_f16 v73, v73, v2
.LBB43_32:
	v_add_nc_u32_e32 v0, s31, v53
	s_mov_b32 s3, exec_lo
	s_delay_alu instid0(VALU_DEP_1)
	v_cmpx_gt_i32_e64 s22, v0
	s_cbranch_execz .LBB43_37
; %bb.33:
	v_mad_co_u64_u32 v[0:1], null, s28, s22, v[0:1]
	s_load_b32 s0, s[0:1], 0xd4
	v_mul_lo_u32 v0, v0, s23
	s_delay_alu instid0(VALU_DEP_1) | instskip(SKIP_2) | instid1(VALU_DEP_1)
	v_add3_u32 v0, s11, v52, v0
	s_wait_kmcnt 0x0
	s_cmp_lg_u32 s0, 1
	v_mad_co_u64_u32 v[0:1], null, s0, v0, s[10:11]
	s_cselect_b32 s0, -1, 0
	s_and_saveexec_b32 s1, s2
	s_cbranch_execz .LBB43_35
; %bb.34:
	v_div_scale_f32 v1, null, v51, v51, 1.0
	v_div_scale_f32 v4, vcc_lo, 1.0, v51, 1.0
	v_lshrrev_b32_e32 v6, 16, v65
	s_delay_alu instid0(VALU_DEP_3) | instskip(SKIP_1) | instid1(VALU_DEP_2)
	v_rcp_f32_e32 v2, v1
	v_cvt_f32_f16_e32 v9, v65
	v_cvt_f32_f16_e32 v8, v6
	s_delay_alu instid0(TRANS32_DEP_1) | instskip(NEXT) | instid1(VALU_DEP_1)
	v_fma_f32 v3, -v1, v2, 1.0
	v_fmac_f32_e32 v2, v3, v2
	s_delay_alu instid0(VALU_DEP_1) | instskip(NEXT) | instid1(VALU_DEP_1)
	v_mul_f32_e32 v3, v4, v2
	v_fma_f32 v5, -v1, v3, v4
	s_delay_alu instid0(VALU_DEP_1) | instskip(NEXT) | instid1(VALU_DEP_1)
	v_fmac_f32_e32 v3, v5, v2
	v_fma_f32 v1, -v1, v3, v4
	v_lshrrev_b32_e32 v4, 16, v73
	s_wait_alu 0xfffd
	s_delay_alu instid0(VALU_DEP_2) | instskip(SKIP_3) | instid1(VALU_DEP_4)
	v_div_fmas_f32 v1, v1, v2, v3
	v_mul_lo_u32 v3, 0x60, v0
	v_mov_b32_e32 v2, 0
	v_cvt_f32_f16_e32 v4, v4
	v_div_fixup_f32 v5, v1, v51, 1.0
	s_delay_alu instid0(VALU_DEP_4) | instskip(SKIP_1) | instid1(VALU_DEP_2)
	v_lshl_add_u32 v1, v40, 2, v3
	s_wait_alu 0xfffe
	v_cndmask_b32_e64 v7, v5, 1.0, s0
	v_cvt_f32_f16_e32 v3, v73
	s_delay_alu instid0(VALU_DEP_3) | instskip(NEXT) | instid1(VALU_DEP_3)
	v_lshlrev_b64_e32 v[5:6], 2, v[1:2]
	v_mul_f32_e32 v4, v7, v4
	s_delay_alu instid0(VALU_DEP_3)
	v_mul_f32_e32 v3, v7, v3
	v_mul_f32_e32 v2, v7, v8
	;; [unrolled: 1-line block ×3, first 2 shown]
	v_add_co_u32 v5, vcc_lo, s16, v5
	s_wait_alu 0xfffd
	v_add_co_ci_u32_e64 v6, null, s17, v6, vcc_lo
	global_store_b128 v[5:6], v[1:4], off
.LBB43_35:
	s_wait_alu 0xfffe
	s_or_b32 exec_lo, exec_lo, s1
	v_cmp_eq_u32_e32 vcc_lo, 0, v40
	s_and_b32 s0, vcc_lo, s0
	s_wait_alu 0xfffe
	s_and_b32 exec_lo, exec_lo, s0
	s_cbranch_execz .LBB43_37
; %bb.36:
	v_ashrrev_i32_e32 v1, 31, v0
	s_delay_alu instid0(VALU_DEP_1) | instskip(NEXT) | instid1(VALU_DEP_1)
	v_lshlrev_b64_e32 v[0:1], 3, v[0:1]
	v_add_co_u32 v0, vcc_lo, s18, v0
	s_wait_alu 0xfffd
	s_delay_alu instid0(VALU_DEP_2)
	v_add_co_ci_u32_e64 v1, null, s19, v1, vcc_lo
	global_store_b64 v[0:1], v[50:51], off
.LBB43_37:
	s_endpgm
	.section	.rodata,"a",@progbits
	.p2align	6, 0x0
	.amdhsa_kernel _ZL15flash_attn_tileILi96ELi96ELi4ELi2ELb0EEvPKcS1_S1_S1_S1_PKiPfP15HIP_vector_typeIfLj2EEffffjfiS5_IjLj3EEiiiiiiiiiiiliiliiiiil
		.amdhsa_group_segment_fixed_size 5760
		.amdhsa_private_segment_fixed_size 0
		.amdhsa_kernarg_size 464
		.amdhsa_user_sgpr_count 2
		.amdhsa_user_sgpr_dispatch_ptr 0
		.amdhsa_user_sgpr_queue_ptr 0
		.amdhsa_user_sgpr_kernarg_segment_ptr 1
		.amdhsa_user_sgpr_dispatch_id 0
		.amdhsa_user_sgpr_private_segment_size 0
		.amdhsa_wavefront_size32 1
		.amdhsa_uses_dynamic_stack 0
		.amdhsa_enable_private_segment 0
		.amdhsa_system_sgpr_workgroup_id_x 1
		.amdhsa_system_sgpr_workgroup_id_y 1
		.amdhsa_system_sgpr_workgroup_id_z 1
		.amdhsa_system_sgpr_workgroup_info 0
		.amdhsa_system_vgpr_workitem_id 1
		.amdhsa_next_free_vgpr 84
		.amdhsa_next_free_sgpr 48
		.amdhsa_reserve_vcc 1
		.amdhsa_float_round_mode_32 0
		.amdhsa_float_round_mode_16_64 0
		.amdhsa_float_denorm_mode_32 3
		.amdhsa_float_denorm_mode_16_64 3
		.amdhsa_fp16_overflow 0
		.amdhsa_workgroup_processor_mode 1
		.amdhsa_memory_ordered 1
		.amdhsa_forward_progress 1
		.amdhsa_inst_pref_size 46
		.amdhsa_round_robin_scheduling 0
		.amdhsa_exception_fp_ieee_invalid_op 0
		.amdhsa_exception_fp_denorm_src 0
		.amdhsa_exception_fp_ieee_div_zero 0
		.amdhsa_exception_fp_ieee_overflow 0
		.amdhsa_exception_fp_ieee_underflow 0
		.amdhsa_exception_fp_ieee_inexact 0
		.amdhsa_exception_int_div_zero 0
	.end_amdhsa_kernel
	.section	.text._ZL15flash_attn_tileILi96ELi96ELi4ELi2ELb0EEvPKcS1_S1_S1_S1_PKiPfP15HIP_vector_typeIfLj2EEffffjfiS5_IjLj3EEiiiiiiiiiiiliiliiiiil,"axG",@progbits,_ZL15flash_attn_tileILi96ELi96ELi4ELi2ELb0EEvPKcS1_S1_S1_S1_PKiPfP15HIP_vector_typeIfLj2EEffffjfiS5_IjLj3EEiiiiiiiiiiiliiliiiiil,comdat
.Lfunc_end43:
	.size	_ZL15flash_attn_tileILi96ELi96ELi4ELi2ELb0EEvPKcS1_S1_S1_S1_PKiPfP15HIP_vector_typeIfLj2EEffffjfiS5_IjLj3EEiiiiiiiiiiiliiliiiiil, .Lfunc_end43-_ZL15flash_attn_tileILi96ELi96ELi4ELi2ELb0EEvPKcS1_S1_S1_S1_PKiPfP15HIP_vector_typeIfLj2EEffffjfiS5_IjLj3EEiiiiiiiiiiiliiliiiiil
                                        ; -- End function
	.set _ZL15flash_attn_tileILi96ELi96ELi4ELi2ELb0EEvPKcS1_S1_S1_S1_PKiPfP15HIP_vector_typeIfLj2EEffffjfiS5_IjLj3EEiiiiiiiiiiiliiliiiiil.num_vgpr, 84
	.set _ZL15flash_attn_tileILi96ELi96ELi4ELi2ELb0EEvPKcS1_S1_S1_S1_PKiPfP15HIP_vector_typeIfLj2EEffffjfiS5_IjLj3EEiiiiiiiiiiiliiliiiiil.num_agpr, 0
	.set _ZL15flash_attn_tileILi96ELi96ELi4ELi2ELb0EEvPKcS1_S1_S1_S1_PKiPfP15HIP_vector_typeIfLj2EEffffjfiS5_IjLj3EEiiiiiiiiiiiliiliiiiil.numbered_sgpr, 48
	.set _ZL15flash_attn_tileILi96ELi96ELi4ELi2ELb0EEvPKcS1_S1_S1_S1_PKiPfP15HIP_vector_typeIfLj2EEffffjfiS5_IjLj3EEiiiiiiiiiiiliiliiiiil.num_named_barrier, 0
	.set _ZL15flash_attn_tileILi96ELi96ELi4ELi2ELb0EEvPKcS1_S1_S1_S1_PKiPfP15HIP_vector_typeIfLj2EEffffjfiS5_IjLj3EEiiiiiiiiiiiliiliiiiil.private_seg_size, 0
	.set _ZL15flash_attn_tileILi96ELi96ELi4ELi2ELb0EEvPKcS1_S1_S1_S1_PKiPfP15HIP_vector_typeIfLj2EEffffjfiS5_IjLj3EEiiiiiiiiiiiliiliiiiil.uses_vcc, 1
	.set _ZL15flash_attn_tileILi96ELi96ELi4ELi2ELb0EEvPKcS1_S1_S1_S1_PKiPfP15HIP_vector_typeIfLj2EEffffjfiS5_IjLj3EEiiiiiiiiiiiliiliiiiil.uses_flat_scratch, 0
	.set _ZL15flash_attn_tileILi96ELi96ELi4ELi2ELb0EEvPKcS1_S1_S1_S1_PKiPfP15HIP_vector_typeIfLj2EEffffjfiS5_IjLj3EEiiiiiiiiiiiliiliiiiil.has_dyn_sized_stack, 0
	.set _ZL15flash_attn_tileILi96ELi96ELi4ELi2ELb0EEvPKcS1_S1_S1_S1_PKiPfP15HIP_vector_typeIfLj2EEffffjfiS5_IjLj3EEiiiiiiiiiiiliiliiiiil.has_recursion, 0
	.set _ZL15flash_attn_tileILi96ELi96ELi4ELi2ELb0EEvPKcS1_S1_S1_S1_PKiPfP15HIP_vector_typeIfLj2EEffffjfiS5_IjLj3EEiiiiiiiiiiiliiliiiiil.has_indirect_call, 0
	.section	.AMDGPU.csdata,"",@progbits
; Kernel info:
; codeLenInByte = 5808
; TotalNumSgprs: 50
; NumVgprs: 84
; ScratchSize: 0
; MemoryBound: 0
; FloatMode: 240
; IeeeMode: 1
; LDSByteSize: 5760 bytes/workgroup (compile time only)
; SGPRBlocks: 0
; VGPRBlocks: 10
; NumSGPRsForWavesPerEU: 50
; NumVGPRsForWavesPerEU: 84
; Occupancy: 16
; WaveLimiterHint : 1
; COMPUTE_PGM_RSRC2:SCRATCH_EN: 0
; COMPUTE_PGM_RSRC2:USER_SGPR: 2
; COMPUTE_PGM_RSRC2:TRAP_HANDLER: 0
; COMPUTE_PGM_RSRC2:TGID_X_EN: 1
; COMPUTE_PGM_RSRC2:TGID_Y_EN: 1
; COMPUTE_PGM_RSRC2:TGID_Z_EN: 1
; COMPUTE_PGM_RSRC2:TIDIG_COMP_CNT: 1
	.section	.text._ZL33flash_attn_stream_k_fixup_uniformILi96ELi4ELi2EEvPfPK15HIP_vector_typeIfLj2EEiiiiiiS1_IjLj3EES5_S5_,"axG",@progbits,_ZL33flash_attn_stream_k_fixup_uniformILi96ELi4ELi2EEvPfPK15HIP_vector_typeIfLj2EEiiiiiiS1_IjLj3EES5_S5_,comdat
	.globl	_ZL33flash_attn_stream_k_fixup_uniformILi96ELi4ELi2EEvPfPK15HIP_vector_typeIfLj2EEiiiiiiS1_IjLj3EES5_S5_ ; -- Begin function _ZL33flash_attn_stream_k_fixup_uniformILi96ELi4ELi2EEvPfPK15HIP_vector_typeIfLj2EEiiiiiiS1_IjLj3EES5_S5_
	.p2align	8
	.type	_ZL33flash_attn_stream_k_fixup_uniformILi96ELi4ELi2EEvPfPK15HIP_vector_typeIfLj2EEiiiiiiS1_IjLj3EES5_S5_,@function
_ZL33flash_attn_stream_k_fixup_uniformILi96ELi4ELi2EEvPfPK15HIP_vector_typeIfLj2EEiiiiiiS1_IjLj3EES5_S5_: ; @_ZL33flash_attn_stream_k_fixup_uniformILi96ELi4ELi2EEvPfPK15HIP_vector_typeIfLj2EEiiiiiiS1_IjLj3EES5_S5_
; %bb.0:
	s_clause 0x1
	s_load_b256 s[4:11], s[0:1], 0x1c
	s_load_b128 s[12:15], s[0:1], 0x3c
	s_wait_kmcnt 0x0
	s_mul_hi_u32 s2, s7, ttmp9
	s_delay_alu instid0(SALU_CYCLE_1) | instskip(NEXT) | instid1(SALU_CYCLE_1)
	s_add_co_i32 s2, ttmp9, s2
	s_lshr_b32 s2, s2, s8
	s_delay_alu instid0(SALU_CYCLE_1) | instskip(SKIP_2) | instid1(SALU_CYCLE_1)
	s_mul_i32 s3, s2, s9
	s_load_b64 s[8:9], s[0:1], 0x10
	s_sub_co_i32 s3, ttmp9, s3
	s_mul_hi_u32 s7, s3, s10
	s_delay_alu instid0(SALU_CYCLE_1) | instskip(NEXT) | instid1(SALU_CYCLE_1)
	s_add_co_i32 s7, s3, s7
	s_lshr_b32 s7, s7, s11
	s_lshr_b32 s11, ttmp7, 16
	s_mul_i32 s10, s7, s12
	s_delay_alu instid0(SALU_CYCLE_1) | instskip(NEXT) | instid1(SALU_CYCLE_1)
	s_sub_co_i32 s3, s3, s10
	s_mul_hi_u32 s10, s3, s13
	s_delay_alu instid0(SALU_CYCLE_1) | instskip(NEXT) | instid1(SALU_CYCLE_1)
	s_add_co_i32 s10, s3, s10
	s_lshr_b32 s13, s10, s14
	s_delay_alu instid0(SALU_CYCLE_1) | instskip(SKIP_4) | instid1(SALU_CYCLE_1)
	s_mul_i32 s10, s13, s15
	s_lshl_b32 s13, s13, 1
	s_sub_co_i32 s12, s3, s10
	s_and_b32 s10, ttmp7, 0xffff
	s_lshl_b32 s3, s12, 2
	s_add_co_i32 s3, s3, s10
	s_wait_kmcnt 0x0
	s_cmp_lt_i32 s3, s8
	s_cselect_b32 s3, -1, 0
	s_add_co_i32 s13, s13, s11
	s_delay_alu instid0(SALU_CYCLE_1) | instskip(SKIP_1) | instid1(SALU_CYCLE_1)
	s_cmp_lt_i32 s13, s5
	s_cselect_b32 s14, -1, 0
	s_and_b32 s3, s3, s14
	s_delay_alu instid0(SALU_CYCLE_1)
	s_and_not1_b32 vcc_lo, exec_lo, s3
	s_cbranch_vccnz .LBB44_6
; %bb.1:
	s_mul_i32 s8, s2, s8
	s_mul_i32 s7, s7, s5
	s_add_co_i32 s8, s8, s10
	s_add_co_i32 s5, s13, s7
	s_mul_i32 s8, s8, s9
	s_load_b128 s[0:3], s[0:1], 0x0
	s_mul_i32 s7, s9, s12
	s_add_co_i32 s5, s5, s8
	s_mulk_i32 s7, 0x180
	s_mulk_i32 s5, 0x60
	s_mul_i32 s8, s6, ttmp9
	v_add3_u32 v1, s5, s7, v0
	s_lshl_b32 s5, s10, 1
	s_add_co_i32 s9, s8, s6
	s_delay_alu instid0(SALU_CYCLE_1) | instskip(NEXT) | instid1(VALU_DEP_1)
	s_add_co_i32 s7, s9, -2
	v_ashrrev_i32_e32 v2, 31, v1
	s_delay_alu instid0(VALU_DEP_1) | instskip(SKIP_1) | instid1(VALU_DEP_1)
	v_lshlrev_b64_e32 v[1:2], 2, v[1:2]
	s_wait_kmcnt 0x0
	v_add_co_u32 v1, vcc_lo, s0, v1
	s_delay_alu instid0(VALU_DEP_1)
	v_add_co_ci_u32_e64 v2, null, s1, v2, vcc_lo
	s_wait_alu 0xfffe
	s_add_co_i32 s0, s5, s11
	s_lshl_b32 s1, s9, 3
	global_load_b32 v5, v[1:2], off
	s_wait_alu 0xfffe
	s_add_co_i32 s0, s0, s1
	s_wait_alu 0xfffe
	s_add_co_i32 s0, s0, -8
	s_wait_alu 0xfffe
	s_ashr_i32 s1, s0, 31
	s_wait_alu 0xfffe
	s_lshl_b64 s[0:1], s[0:1], 3
	s_cmp_lt_i32 s7, s8
	s_wait_alu 0xfffe
	s_add_nc_u64 s[0:1], s[2:3], s[0:1]
	s_load_b32 s12, s[0:1], 0x4
	s_cbranch_scc1 .LBB44_4
; %bb.2:
	s_load_b32 s0, s[0:1], 0x0
	s_add_co_i32 s1, ttmp9, 1
	s_mulk_i32 s10, 0xc0
	s_wait_alu 0xfffe
	s_mul_i32 s1, s6, s1
	s_lshl_b32 s14, s4, 5
	s_wait_alu 0xfffe
	s_lshl_b32 s13, s1, 3
	s_mulk_i32 s1, 0x300
	s_add_co_i32 s13, s11, s13
	s_mulk_i32 s11, 0x60
	s_lshl_b32 s4, s4, 3
	s_add_co_i32 s10, s11, s10
	s_ashr_i32 s15, s14, 31
	s_wait_alu 0xfffe
	s_add_co_i32 s10, s10, s1
	s_add_co_i32 s1, s13, s4
	v_add3_u32 v3, s10, v0, 0xfffffa00
	s_wait_kmcnt 0x0
	v_mov_b32_e32 v6, s12
	s_lshl_b64 s[6:7], s[14:15], 2
	s_wait_alu 0xfffe
	s_add_co_i32 s4, s1, s5
	s_add_nc_u64 s[6:7], s[2:3], s[6:7]
	s_add_co_i32 s1, s9, -1
	s_wait_alu 0xfffe
	s_add_co_i32 s4, s4, -16
.LBB44_3:                               ; =>This Inner Loop Header: Depth=1
	v_ashrrev_i32_e32 v4, 31, v3
	s_wait_alu 0xfffe
	s_ashr_i32 s5, s4, 31
	v_mov_b32_e32 v10, v6
	s_wait_alu 0xfffe
	s_lshl_b64 s[10:11], s[4:5], 3
	s_wait_loadcnt 0x0
	v_mov_b32_e32 v9, v5
	v_lshlrev_b64_e32 v[7:8], 2, v[3:4]
	s_wait_alu 0xfffe
	s_add_nc_u64 s[10:11], s[2:3], s[10:11]
	v_max_num_f32_e64 v4, s0, s0
	s_load_b64 s[10:11], s[10:11], 0x0
	v_add_nc_u32_e32 v3, 0xfffffd00, v3
	v_add_co_u32 v7, vcc_lo, s6, v7
	s_wait_alu 0xfffd
	v_add_co_ci_u32_e64 v8, null, s7, v8, vcc_lo
	v_readfirstlane_b32 s5, v4
	global_load_b32 v0, v[7:8], off
	s_wait_kmcnt 0x0
	v_max_num_f32_e64 v4, s10, s10
	s_delay_alu instid0(VALU_DEP_1) | instskip(SKIP_2) | instid1(SALU_CYCLE_2)
	v_readfirstlane_b32 s9, v4
	s_max_num_f32 s5, s5, s9
	s_wait_alu 0xfffe
	s_sub_f32 s0, s0, s5
	s_sub_f32 s9, s10, s5
	s_wait_alu 0xfffe
	s_delay_alu instid0(SALU_CYCLE_1) | instskip(NEXT) | instid1(SALU_CYCLE_1)
	s_mul_f32 s10, s0, 0x3fb8aa3b
	s_mul_f32 s12, s9, 0x3fb8aa3b
	s_wait_alu 0xfffe
	s_delay_alu instid0(SALU_CYCLE_1)
	s_xor_b32 s13, s10, 0x80000000
	s_rndne_f32 s14, s10
	s_wait_alu 0xfffe
	s_fmamk_f32 s13, s0, 0x3fb8aa3b, s13
	s_cmp_nlt_f32 s0, 0xc2ce8ed0
	s_rndne_f32 s15, s12
	s_sub_f32 s10, s10, s14
	s_wait_alu 0xfffe
	s_fmamk_f32 s13, s0, 0x32a5705f, s13
	s_cvt_i32_f32 s14, s14
	s_cselect_b32 vcc_lo, -1, 0
	s_cmp_ngt_f32 s0, 0x42b17218
	s_wait_alu 0xfffe
	s_add_f32 s10, s10, s13
	s_sub_f32 s13, s12, s15
	s_wait_alu 0xfffe
	s_delay_alu instid0(SALU_CYCLE_1) | instskip(SKIP_1) | instid1(TRANS32_DEP_1)
	v_s_exp_f32 s10, s10
	s_wait_alu 0xf1ff
	v_ldexp_f32 v4, s10, s14
	s_cvt_i32_f32 s10, s15
	s_delay_alu instid0(VALU_DEP_1) | instskip(SKIP_3) | instid1(VALU_DEP_1)
	v_cndmask_b32_e32 v4, 0, v4, vcc_lo
	s_cselect_b32 vcc_lo, -1, 0
	s_cmp_ge_f32 s0, 0xc1a00000
	s_wait_alu 0xfffe
	v_cndmask_b32_e32 v4, 0x7f800000, v4, vcc_lo
	s_cselect_b32 vcc_lo, -1, 0
	s_xor_b32 s0, s12, 0x80000000
	s_cmp_nlt_f32 s9, 0xc2ce8ed0
	s_wait_alu 0xfffe
	s_fmamk_f32 s0, s9, 0x3fb8aa3b, s0
	s_wait_alu 0xfffe
	s_delay_alu instid0(SALU_CYCLE_2) | instskip(SKIP_1) | instid1(SALU_CYCLE_2)
	s_fmamk_f32 s0, s9, 0x32a5705f, s0
	s_wait_alu 0xfffe
	s_add_f32 s0, s13, s0
	s_wait_alu 0xfffe
	s_delay_alu instid0(SALU_CYCLE_2) | instskip(SKIP_1) | instid1(TRANS32_DEP_1)
	v_s_exp_f32 s0, s0
	s_wait_alu 0xf1ff
	v_ldexp_f32 v7, s0, s10
	s_cselect_b32 s0, -1, 0
	s_cmp_ngt_f32 s9, 0x42b17218
	s_wait_alu 0xfffe
	s_delay_alu instid0(VALU_DEP_1) | instskip(SKIP_3) | instid1(VALU_DEP_1)
	v_cndmask_b32_e64 v7, 0, v7, s0
	s_cselect_b32 s0, -1, 0
	s_cmp_ge_f32 s9, 0xc1a00000
	s_wait_alu 0xfffe
	v_cndmask_b32_e64 v7, 0x7f800000, v7, s0
	s_cselect_b32 s0, -1, 0
	s_add_co_i32 s1, s1, -1
	s_add_co_i32 s4, s4, -8
	s_wait_alu 0xfffe
	s_cmp_le_i32 s1, s8
	v_cndmask_b32_e64 v7, 0, v7, s0
	s_mov_b32 s0, s5
	s_wait_loadcnt 0x0
	s_delay_alu instid0(VALU_DEP_1) | instskip(NEXT) | instid1(VALU_DEP_1)
	v_dual_mul_f32 v5, v0, v7 :: v_dual_cndmask_b32 v4, 0, v4
	v_dual_mul_f32 v8, s11, v7 :: v_dual_fmac_f32 v5, v9, v4
	s_delay_alu instid0(VALU_DEP_1) | instskip(NEXT) | instid1(VALU_DEP_1)
	v_mov_b32_e32 v6, v8
	v_fmac_f32_e32 v6, v10, v4
	s_cbranch_scc0 .LBB44_3
	s_branch .LBB44_5
.LBB44_4:
	s_wait_kmcnt 0x0
	v_mov_b32_e32 v6, s12
.LBB44_5:
	s_wait_loadcnt 0x0
	s_delay_alu instid0(VALU_DEP_1) | instskip(NEXT) | instid1(VALU_DEP_1)
	v_div_scale_f32 v0, null, v6, v6, v5
	v_rcp_f32_e32 v3, v0
	s_delay_alu instid0(TRANS32_DEP_1) | instskip(NEXT) | instid1(VALU_DEP_1)
	v_fma_f32 v4, -v0, v3, 1.0
	v_fmac_f32_e32 v3, v4, v3
	v_div_scale_f32 v4, vcc_lo, v5, v6, v5
	s_delay_alu instid0(VALU_DEP_1) | instskip(NEXT) | instid1(VALU_DEP_1)
	v_mul_f32_e32 v7, v4, v3
	v_fma_f32 v8, -v0, v7, v4
	s_delay_alu instid0(VALU_DEP_1) | instskip(NEXT) | instid1(VALU_DEP_1)
	v_fmac_f32_e32 v7, v8, v3
	v_fma_f32 v0, -v0, v7, v4
	s_wait_alu 0xfffd
	s_delay_alu instid0(VALU_DEP_1) | instskip(NEXT) | instid1(VALU_DEP_1)
	v_div_fmas_f32 v0, v0, v3, v7
	v_div_fixup_f32 v0, v0, v6, v5
	global_store_b32 v[1:2], v0, off
.LBB44_6:
	s_endpgm
	.section	.rodata,"a",@progbits
	.p2align	6, 0x0
	.amdhsa_kernel _ZL33flash_attn_stream_k_fixup_uniformILi96ELi4ELi2EEvPfPK15HIP_vector_typeIfLj2EEiiiiiiS1_IjLj3EES5_S5_
		.amdhsa_group_segment_fixed_size 0
		.amdhsa_private_segment_fixed_size 0
		.amdhsa_kernarg_size 76
		.amdhsa_user_sgpr_count 2
		.amdhsa_user_sgpr_dispatch_ptr 0
		.amdhsa_user_sgpr_queue_ptr 0
		.amdhsa_user_sgpr_kernarg_segment_ptr 1
		.amdhsa_user_sgpr_dispatch_id 0
		.amdhsa_user_sgpr_private_segment_size 0
		.amdhsa_wavefront_size32 1
		.amdhsa_uses_dynamic_stack 0
		.amdhsa_enable_private_segment 0
		.amdhsa_system_sgpr_workgroup_id_x 1
		.amdhsa_system_sgpr_workgroup_id_y 1
		.amdhsa_system_sgpr_workgroup_id_z 1
		.amdhsa_system_sgpr_workgroup_info 0
		.amdhsa_system_vgpr_workitem_id 0
		.amdhsa_next_free_vgpr 11
		.amdhsa_next_free_sgpr 16
		.amdhsa_reserve_vcc 1
		.amdhsa_float_round_mode_32 0
		.amdhsa_float_round_mode_16_64 0
		.amdhsa_float_denorm_mode_32 3
		.amdhsa_float_denorm_mode_16_64 3
		.amdhsa_fp16_overflow 0
		.amdhsa_workgroup_processor_mode 1
		.amdhsa_memory_ordered 1
		.amdhsa_forward_progress 1
		.amdhsa_inst_pref_size 9
		.amdhsa_round_robin_scheduling 0
		.amdhsa_exception_fp_ieee_invalid_op 0
		.amdhsa_exception_fp_denorm_src 0
		.amdhsa_exception_fp_ieee_div_zero 0
		.amdhsa_exception_fp_ieee_overflow 0
		.amdhsa_exception_fp_ieee_underflow 0
		.amdhsa_exception_fp_ieee_inexact 0
		.amdhsa_exception_int_div_zero 0
	.end_amdhsa_kernel
	.section	.text._ZL33flash_attn_stream_k_fixup_uniformILi96ELi4ELi2EEvPfPK15HIP_vector_typeIfLj2EEiiiiiiS1_IjLj3EES5_S5_,"axG",@progbits,_ZL33flash_attn_stream_k_fixup_uniformILi96ELi4ELi2EEvPfPK15HIP_vector_typeIfLj2EEiiiiiiS1_IjLj3EES5_S5_,comdat
.Lfunc_end44:
	.size	_ZL33flash_attn_stream_k_fixup_uniformILi96ELi4ELi2EEvPfPK15HIP_vector_typeIfLj2EEiiiiiiS1_IjLj3EES5_S5_, .Lfunc_end44-_ZL33flash_attn_stream_k_fixup_uniformILi96ELi4ELi2EEvPfPK15HIP_vector_typeIfLj2EEiiiiiiS1_IjLj3EES5_S5_
                                        ; -- End function
	.set _ZL33flash_attn_stream_k_fixup_uniformILi96ELi4ELi2EEvPfPK15HIP_vector_typeIfLj2EEiiiiiiS1_IjLj3EES5_S5_.num_vgpr, 11
	.set _ZL33flash_attn_stream_k_fixup_uniformILi96ELi4ELi2EEvPfPK15HIP_vector_typeIfLj2EEiiiiiiS1_IjLj3EES5_S5_.num_agpr, 0
	.set _ZL33flash_attn_stream_k_fixup_uniformILi96ELi4ELi2EEvPfPK15HIP_vector_typeIfLj2EEiiiiiiS1_IjLj3EES5_S5_.numbered_sgpr, 16
	.set _ZL33flash_attn_stream_k_fixup_uniformILi96ELi4ELi2EEvPfPK15HIP_vector_typeIfLj2EEiiiiiiS1_IjLj3EES5_S5_.num_named_barrier, 0
	.set _ZL33flash_attn_stream_k_fixup_uniformILi96ELi4ELi2EEvPfPK15HIP_vector_typeIfLj2EEiiiiiiS1_IjLj3EES5_S5_.private_seg_size, 0
	.set _ZL33flash_attn_stream_k_fixup_uniformILi96ELi4ELi2EEvPfPK15HIP_vector_typeIfLj2EEiiiiiiS1_IjLj3EES5_S5_.uses_vcc, 1
	.set _ZL33flash_attn_stream_k_fixup_uniformILi96ELi4ELi2EEvPfPK15HIP_vector_typeIfLj2EEiiiiiiS1_IjLj3EES5_S5_.uses_flat_scratch, 0
	.set _ZL33flash_attn_stream_k_fixup_uniformILi96ELi4ELi2EEvPfPK15HIP_vector_typeIfLj2EEiiiiiiS1_IjLj3EES5_S5_.has_dyn_sized_stack, 0
	.set _ZL33flash_attn_stream_k_fixup_uniformILi96ELi4ELi2EEvPfPK15HIP_vector_typeIfLj2EEiiiiiiS1_IjLj3EES5_S5_.has_recursion, 0
	.set _ZL33flash_attn_stream_k_fixup_uniformILi96ELi4ELi2EEvPfPK15HIP_vector_typeIfLj2EEiiiiiiS1_IjLj3EES5_S5_.has_indirect_call, 0
	.section	.AMDGPU.csdata,"",@progbits
; Kernel info:
; codeLenInByte = 1148
; TotalNumSgprs: 18
; NumVgprs: 11
; ScratchSize: 0
; MemoryBound: 0
; FloatMode: 240
; IeeeMode: 1
; LDSByteSize: 0 bytes/workgroup (compile time only)
; SGPRBlocks: 0
; VGPRBlocks: 1
; NumSGPRsForWavesPerEU: 18
; NumVGPRsForWavesPerEU: 11
; Occupancy: 16
; WaveLimiterHint : 0
; COMPUTE_PGM_RSRC2:SCRATCH_EN: 0
; COMPUTE_PGM_RSRC2:USER_SGPR: 2
; COMPUTE_PGM_RSRC2:TRAP_HANDLER: 0
; COMPUTE_PGM_RSRC2:TGID_X_EN: 1
; COMPUTE_PGM_RSRC2:TGID_Y_EN: 1
; COMPUTE_PGM_RSRC2:TGID_Z_EN: 1
; COMPUTE_PGM_RSRC2:TIDIG_COMP_CNT: 0
	.section	.text._ZL33flash_attn_stream_k_fixup_generalILi96ELi4ELi2EEvPfPK15HIP_vector_typeIfLj2EEiiiiS1_IjLj3EES5_S5_S5_,"axG",@progbits,_ZL33flash_attn_stream_k_fixup_generalILi96ELi4ELi2EEvPfPK15HIP_vector_typeIfLj2EEiiiiS1_IjLj3EES5_S5_S5_,comdat
	.globl	_ZL33flash_attn_stream_k_fixup_generalILi96ELi4ELi2EEvPfPK15HIP_vector_typeIfLj2EEiiiiS1_IjLj3EES5_S5_S5_ ; -- Begin function _ZL33flash_attn_stream_k_fixup_generalILi96ELi4ELi2EEvPfPK15HIP_vector_typeIfLj2EEiiiiS1_IjLj3EES5_S5_S5_
	.p2align	8
	.type	_ZL33flash_attn_stream_k_fixup_generalILi96ELi4ELi2EEvPfPK15HIP_vector_typeIfLj2EEiiiiS1_IjLj3EES5_S5_S5_,@function
_ZL33flash_attn_stream_k_fixup_generalILi96ELi4ELi2EEvPfPK15HIP_vector_typeIfLj2EEiiiiS1_IjLj3EES5_S5_S5_: ; @_ZL33flash_attn_stream_k_fixup_generalILi96ELi4ELi2EEvPfPK15HIP_vector_typeIfLj2EEiiiiS1_IjLj3EES5_S5_S5_
; %bb.0:
	s_clause 0x1
	s_load_b128 s[4:7], s[0:1], 0x10
	s_load_b32 s16, s[0:1], 0x50
	s_mov_b32 s2, ttmp9
	s_ashr_i32 s3, ttmp9, 31
	s_mov_b32 s17, 0
	s_delay_alu instid0(SALU_CYCLE_1) | instskip(SKIP_3) | instid1(SALU_CYCLE_1)
	s_mov_b32 s8, s17
	s_wait_kmcnt 0x0
	s_ashr_i32 s19, s7, 31
	s_mov_b32 s18, s7
	s_mul_u64 s[2:3], s[18:19], s[2:3]
	s_delay_alu instid0(SALU_CYCLE_1) | instskip(NEXT) | instid1(SALU_CYCLE_1)
	s_mov_b32 s9, s3
	s_cmp_lg_u64 s[8:9], 0
	s_cbranch_scc0 .LBB45_21
; %bb.1:
	s_add_nc_u64 s[8:9], s[16:17], 0
	s_mov_b32 s15, s17
	s_xor_b64 s[8:9], s[8:9], 0
	s_mov_b32 s23, s17
	s_cvt_f32_u32 s7, s8
	s_cvt_f32_u32 s10, s9
	s_sub_nc_u64 s[12:13], 0, s[8:9]
	s_delay_alu instid0(SALU_CYCLE_2) | instskip(NEXT) | instid1(SALU_CYCLE_3)
	s_fmamk_f32 s7, s10, 0x4f800000, s7
	v_s_rcp_f32 s7, s7
	s_delay_alu instid0(TRANS32_DEP_1) | instskip(SKIP_1) | instid1(SALU_CYCLE_2)
	s_mul_f32 s7, s7, 0x5f7ffffc
	s_wait_alu 0xfffe
	s_mul_f32 s10, s7, 0x2f800000
	s_delay_alu instid0(SALU_CYCLE_3) | instskip(NEXT) | instid1(SALU_CYCLE_3)
	s_trunc_f32 s10, s10
	s_fmamk_f32 s7, s10, 0xcf800000, s7
	s_cvt_u32_f32 s11, s10
	s_wait_alu 0xfffe
	s_delay_alu instid0(SALU_CYCLE_1) | instskip(NEXT) | instid1(SALU_CYCLE_3)
	s_cvt_u32_f32 s10, s7
	s_mul_u64 s[20:21], s[12:13], s[10:11]
	s_delay_alu instid0(SALU_CYCLE_1)
	s_mul_hi_u32 s25, s10, s21
	s_mul_i32 s24, s10, s21
	s_mul_hi_u32 s14, s10, s20
	s_mul_i32 s22, s11, s20
	s_add_nc_u64 s[14:15], s[14:15], s[24:25]
	s_mul_hi_u32 s7, s11, s20
	s_mul_hi_u32 s26, s11, s21
	s_add_co_u32 s14, s14, s22
	s_wait_alu 0xfffe
	s_add_co_ci_u32 s22, s15, s7
	s_mul_i32 s20, s11, s21
	s_add_co_ci_u32 s21, s26, 0
	s_delay_alu instid0(SALU_CYCLE_1)
	s_add_nc_u64 s[14:15], s[22:23], s[20:21]
	s_mov_b32 s21, s17
	s_add_co_u32 s10, s10, s14
	s_cselect_b32 s7, -1, 0
	s_wait_alu 0xfffe
	s_cmp_lg_u32 s7, 0
	s_add_co_ci_u32 s11, s11, s15
	s_mov_b32 s15, s17
	s_mul_u64 s[12:13], s[12:13], s[10:11]
	s_delay_alu instid0(SALU_CYCLE_1)
	s_mul_hi_u32 s23, s10, s13
	s_mul_i32 s22, s10, s13
	s_mul_hi_u32 s14, s10, s12
	s_mul_i32 s20, s11, s12
	s_add_nc_u64 s[14:15], s[14:15], s[22:23]
	s_mul_hi_u32 s7, s11, s12
	s_mul_hi_u32 s24, s11, s13
	s_mul_i32 s12, s11, s13
	s_add_co_u32 s13, s14, s20
	s_wait_alu 0xfffe
	s_add_co_ci_u32 s20, s15, s7
	s_add_co_ci_u32 s13, s24, 0
	s_mov_b32 s15, s17
	s_add_nc_u64 s[12:13], s[20:21], s[12:13]
	s_delay_alu instid0(SALU_CYCLE_1) | instskip(SKIP_1) | instid1(SALU_CYCLE_1)
	s_add_co_u32 s7, s10, s12
	s_cselect_b32 s10, -1, 0
	s_cmp_lg_u32 s10, 0
	s_add_co_ci_u32 s20, s11, s13
	s_ashr_i32 s10, s3, 31
	s_delay_alu instid0(SALU_CYCLE_1) | instskip(NEXT) | instid1(SALU_CYCLE_1)
	s_mov_b32 s11, s10
	s_add_nc_u64 s[12:13], s[2:3], s[10:11]
	s_delay_alu instid0(SALU_CYCLE_1) | instskip(NEXT) | instid1(SALU_CYCLE_1)
	s_xor_b64 s[12:13], s[12:13], s[10:11]
	s_mul_hi_u32 s23, s12, s20
	s_mul_i32 s22, s12, s20
	s_wait_alu 0xfffe
	s_mul_hi_u32 s14, s12, s7
	s_mul_hi_u32 s24, s13, s7
	s_mul_i32 s7, s13, s7
	s_add_nc_u64 s[14:15], s[14:15], s[22:23]
	s_mul_hi_u32 s3, s13, s20
	s_wait_alu 0xfffe
	s_add_co_u32 s7, s14, s7
	s_mul_i32 s22, s13, s20
	s_add_co_ci_u32 s20, s15, s24
	s_add_co_ci_u32 s23, s3, 0
	s_delay_alu instid0(SALU_CYCLE_1) | instskip(NEXT) | instid1(SALU_CYCLE_1)
	s_add_nc_u64 s[14:15], s[20:21], s[22:23]
	s_mul_u64 s[20:21], s[8:9], s[14:15]
	s_delay_alu instid0(SALU_CYCLE_1)
	s_sub_co_u32 s3, s12, s20
	s_cselect_b32 s7, -1, 0
	s_sub_co_i32 s12, s13, s21
	s_wait_alu 0xfffe
	s_cmp_lg_u32 s7, 0
	s_sub_co_ci_u32 s12, s12, s9
	s_sub_co_u32 s20, s3, s8
	s_cselect_b32 s22, -1, 0
	s_delay_alu instid0(SALU_CYCLE_1) | instskip(SKIP_2) | instid1(SALU_CYCLE_1)
	s_cmp_lg_u32 s22, 0
	s_add_nc_u64 s[22:23], s[14:15], 1
	s_sub_co_ci_u32 s12, s12, 0
	s_cmp_ge_u32 s12, s9
	s_cselect_b32 s24, -1, 0
	s_cmp_ge_u32 s20, s8
	s_cselect_b32 s20, -1, 0
	s_cmp_eq_u32 s12, s9
	s_cselect_b32 s12, s20, s24
	s_add_nc_u64 s[24:25], s[14:15], 2
	s_cmp_lg_u32 s12, 0
	s_cselect_b32 s12, s24, s22
	s_cselect_b32 s20, s25, s23
	s_cmp_lg_u32 s7, 0
	s_sub_co_ci_u32 s7, s13, s21
	s_wait_alu 0xfffe
	s_cmp_ge_u32 s7, s9
	s_cselect_b32 s13, -1, 0
	s_cmp_ge_u32 s3, s8
	s_cselect_b32 s3, -1, 0
	s_cmp_eq_u32 s7, s9
	s_cselect_b32 s3, s3, s13
	s_delay_alu instid0(SALU_CYCLE_1) | instskip(SKIP_4) | instid1(SALU_CYCLE_1)
	s_cmp_lg_u32 s3, 0
	s_mov_b32 s3, s17
	s_cselect_b32 s9, s20, s15
	s_cselect_b32 s8, s12, s14
	s_xor_b64 s[10:11], s[10:11], 0
	s_xor_b64 s[8:9], s[8:9], s[10:11]
	s_delay_alu instid0(SALU_CYCLE_1)
	s_sub_nc_u64 s[20:21], s[8:9], s[10:11]
	s_and_not1_b32 vcc_lo, exec_lo, s3
	s_cbranch_vccnz .LBB45_3
.LBB45_2:
	v_cvt_f32_u32_e32 v1, s16
	s_sub_co_i32 s7, 0, s16
	s_delay_alu instid0(VALU_DEP_1) | instskip(NEXT) | instid1(TRANS32_DEP_1)
	v_rcp_iflag_f32_e32 v1, v1
	v_mul_f32_e32 v1, 0x4f7ffffe, v1
	s_delay_alu instid0(VALU_DEP_1) | instskip(NEXT) | instid1(VALU_DEP_1)
	v_cvt_u32_f32_e32 v1, v1
	v_readfirstlane_b32 s3, v1
	s_wait_alu 0xfffe
	s_mul_i32 s7, s7, s3
	s_wait_alu 0xfffe
	s_mul_hi_u32 s7, s3, s7
	s_wait_alu 0xfffe
	s_add_co_i32 s3, s3, s7
	s_delay_alu instid0(SALU_CYCLE_1) | instskip(NEXT) | instid1(SALU_CYCLE_1)
	s_mul_hi_u32 s3, s2, s3
	s_mul_i32 s7, s3, s16
	s_wait_alu 0xfffe
	s_sub_co_i32 s2, s2, s7
	s_add_co_i32 s7, s3, 1
	s_sub_co_i32 s8, s2, s16
	s_cmp_ge_u32 s2, s16
	s_wait_alu 0xfffe
	s_cselect_b32 s3, s7, s3
	s_cselect_b32 s2, s8, s2
	s_add_co_i32 s7, s3, 1
	s_cmp_ge_u32 s2, s16
	s_wait_alu 0xfffe
	s_cselect_b32 s20, s7, s3
.LBB45_3:
	s_add_co_i32 s2, ttmp9, 1
	s_mov_b32 s8, 0
	s_ashr_i32 s3, s2, 31
	s_delay_alu instid0(SALU_CYCLE_1) | instskip(NEXT) | instid1(SALU_CYCLE_1)
	s_mul_u64 s[2:3], s[18:19], s[2:3]
	s_mov_b32 s9, s3
	s_delay_alu instid0(SALU_CYCLE_1)
	s_cmp_lg_u64 s[8:9], 0
	s_cbranch_scc0 .LBB45_22
; %bb.4:
	s_add_nc_u64 s[10:11], s[16:17], 0
	s_mov_b32 s23, s8
	s_xor_b64 s[10:11], s[10:11], 0
	s_mov_b32 s27, s8
	s_cvt_f32_u32 s7, s10
	s_cvt_f32_u32 s9, s11
	s_sub_nc_u64 s[14:15], 0, s[10:11]
	s_wait_alu 0xfffe
	s_delay_alu instid0(SALU_CYCLE_1) | instskip(SKIP_1) | instid1(SALU_CYCLE_2)
	s_fmamk_f32 s7, s9, 0x4f800000, s7
	s_wait_alu 0xfffe
	v_s_rcp_f32 s7, s7
	s_delay_alu instid0(TRANS32_DEP_1) | instskip(SKIP_1) | instid1(SALU_CYCLE_2)
	s_mul_f32 s7, s7, 0x5f7ffffc
	s_wait_alu 0xfffe
	s_mul_f32 s9, s7, 0x2f800000
	s_delay_alu instid0(SALU_CYCLE_3) | instskip(NEXT) | instid1(SALU_CYCLE_3)
	s_trunc_f32 s9, s9
	s_fmamk_f32 s7, s9, 0xcf800000, s7
	s_cvt_u32_f32 s13, s9
	s_wait_alu 0xfffe
	s_delay_alu instid0(SALU_CYCLE_1) | instskip(NEXT) | instid1(SALU_CYCLE_3)
	s_cvt_u32_f32 s12, s7
	s_mul_u64 s[24:25], s[14:15], s[12:13]
	s_delay_alu instid0(SALU_CYCLE_1)
	s_mul_hi_u32 s29, s12, s25
	s_mul_i32 s28, s12, s25
	s_mul_hi_u32 s22, s12, s24
	s_mul_i32 s9, s13, s24
	s_add_nc_u64 s[22:23], s[22:23], s[28:29]
	s_mul_hi_u32 s7, s13, s24
	s_mul_hi_u32 s21, s13, s25
	s_add_co_u32 s9, s22, s9
	s_wait_alu 0xfffe
	s_add_co_ci_u32 s26, s23, s7
	s_mul_i32 s24, s13, s25
	s_add_co_ci_u32 s25, s21, 0
	s_delay_alu instid0(SALU_CYCLE_1)
	s_add_nc_u64 s[22:23], s[26:27], s[24:25]
	s_mov_b32 s25, s8
	s_add_co_u32 s12, s12, s22
	s_cselect_b32 s7, -1, 0
	s_wait_alu 0xfffe
	s_cmp_lg_u32 s7, 0
	s_add_co_ci_u32 s13, s13, s23
	s_mov_b32 s23, s8
	s_mul_u64 s[14:15], s[14:15], s[12:13]
	s_delay_alu instid0(SALU_CYCLE_1)
	s_mul_hi_u32 s27, s12, s15
	s_mul_i32 s26, s12, s15
	s_mul_hi_u32 s22, s12, s14
	s_mul_i32 s9, s13, s14
	s_add_nc_u64 s[22:23], s[22:23], s[26:27]
	s_mul_hi_u32 s7, s13, s14
	s_mul_hi_u32 s21, s13, s15
	s_add_co_u32 s9, s22, s9
	s_wait_alu 0xfffe
	s_add_co_ci_u32 s24, s23, s7
	s_mul_i32 s14, s13, s15
	s_add_co_ci_u32 s15, s21, 0
	s_mov_b32 s23, s8
	s_add_nc_u64 s[14:15], s[24:25], s[14:15]
	s_delay_alu instid0(SALU_CYCLE_1) | instskip(SKIP_1) | instid1(SALU_CYCLE_1)
	s_add_co_u32 s7, s12, s14
	s_cselect_b32 s9, -1, 0
	s_cmp_lg_u32 s9, 0
	s_add_co_ci_u32 s9, s13, s15
	s_ashr_i32 s12, s3, 31
	s_delay_alu instid0(SALU_CYCLE_1) | instskip(NEXT) | instid1(SALU_CYCLE_1)
	s_mov_b32 s13, s12
	s_add_nc_u64 s[14:15], s[2:3], s[12:13]
	s_delay_alu instid0(SALU_CYCLE_1) | instskip(NEXT) | instid1(SALU_CYCLE_1)
	s_xor_b64 s[14:15], s[14:15], s[12:13]
	s_mul_hi_u32 s27, s14, s9
	s_mul_i32 s26, s14, s9
	s_wait_alu 0xfffe
	s_mul_hi_u32 s22, s14, s7
	s_mul_hi_u32 s21, s15, s7
	s_mul_i32 s7, s15, s7
	s_add_nc_u64 s[22:23], s[22:23], s[26:27]
	s_mul_hi_u32 s3, s15, s9
	s_wait_alu 0xfffe
	s_add_co_u32 s7, s22, s7
	s_add_co_ci_u32 s24, s23, s21
	s_mul_i32 s26, s15, s9
	s_add_co_ci_u32 s27, s3, 0
	s_delay_alu instid0(SALU_CYCLE_1) | instskip(NEXT) | instid1(SALU_CYCLE_1)
	s_add_nc_u64 s[22:23], s[24:25], s[26:27]
	s_mul_u64 s[24:25], s[10:11], s[22:23]
	s_add_nc_u64 s[26:27], s[22:23], 1
	s_sub_co_u32 s3, s14, s24
	s_cselect_b32 s7, -1, 0
	s_sub_co_i32 s9, s15, s25
	s_wait_alu 0xfffe
	s_cmp_lg_u32 s7, 0
	s_add_nc_u64 s[28:29], s[22:23], 2
	s_sub_co_ci_u32 s9, s9, s11
	s_sub_co_u32 s14, s3, s10
	s_cselect_b32 s21, -1, 0
	s_delay_alu instid0(SALU_CYCLE_1) | instskip(SKIP_1) | instid1(SALU_CYCLE_1)
	s_cmp_lg_u32 s21, 0
	s_sub_co_ci_u32 s9, s9, 0
	s_cmp_ge_u32 s9, s11
	s_cselect_b32 s21, -1, 0
	s_cmp_ge_u32 s14, s10
	s_cselect_b32 s14, -1, 0
	s_cmp_eq_u32 s9, s11
	s_cselect_b32 s9, s14, s21
	s_delay_alu instid0(SALU_CYCLE_1)
	s_cmp_lg_u32 s9, 0
	s_cselect_b32 s9, s28, s26
	s_cselect_b32 s14, s29, s27
	s_cmp_lg_u32 s7, 0
	s_sub_co_ci_u32 s7, s15, s25
	s_wait_alu 0xfffe
	s_cmp_ge_u32 s7, s11
	s_cselect_b32 s15, -1, 0
	s_cmp_ge_u32 s3, s10
	s_cselect_b32 s3, -1, 0
	s_cmp_eq_u32 s7, s11
	s_cselect_b32 s3, s3, s15
	s_delay_alu instid0(SALU_CYCLE_1) | instskip(SKIP_3) | instid1(SALU_CYCLE_1)
	s_cmp_lg_u32 s3, 0
	s_cselect_b32 s11, s14, s23
	s_cselect_b32 s10, s9, s22
	s_xor_b64 s[12:13], s[12:13], 0
	s_xor_b64 s[10:11], s[10:11], s[12:13]
	s_delay_alu instid0(SALU_CYCLE_1)
	s_sub_nc_u64 s[10:11], s[10:11], s[12:13]
	s_load_b96 s[12:14], s[0:1], 0x44
	s_and_not1_b32 vcc_lo, exec_lo, s8
	s_cbranch_vccnz .LBB45_6
.LBB45_5:
	v_cvt_f32_u32_e32 v1, s16
	s_sub_co_i32 s7, 0, s16
	s_delay_alu instid0(VALU_DEP_1) | instskip(NEXT) | instid1(TRANS32_DEP_1)
	v_rcp_iflag_f32_e32 v1, v1
	v_mul_f32_e32 v1, 0x4f7ffffe, v1
	s_delay_alu instid0(VALU_DEP_1) | instskip(NEXT) | instid1(VALU_DEP_1)
	v_cvt_u32_f32_e32 v1, v1
	v_readfirstlane_b32 s3, v1
	s_wait_alu 0xfffe
	s_mul_i32 s7, s7, s3
	s_wait_alu 0xfffe
	s_mul_hi_u32 s7, s3, s7
	s_wait_alu 0xfffe
	s_add_co_i32 s3, s3, s7
	s_delay_alu instid0(SALU_CYCLE_1) | instskip(NEXT) | instid1(SALU_CYCLE_1)
	s_mul_hi_u32 s3, s2, s3
	s_mul_i32 s7, s3, s16
	s_wait_alu 0xfffe
	s_sub_co_i32 s2, s2, s7
	s_add_co_i32 s7, s3, 1
	s_sub_co_i32 s8, s2, s16
	s_cmp_ge_u32 s2, s16
	s_wait_alu 0xfffe
	s_cselect_b32 s3, s7, s3
	s_cselect_b32 s2, s8, s2
	s_add_co_i32 s7, s3, 1
	s_cmp_ge_u32 s2, s16
	s_wait_alu 0xfffe
	s_cselect_b32 s10, s7, s3
.LBB45_6:
	s_mov_b32 s21, 0
	s_wait_kmcnt 0x0
	s_mov_b32 s22, s12
	s_mov_b32 s23, s21
	s_cmp_eq_u32 s20, s10
	s_mul_u64 s[2:3], s[20:21], s[22:23]
	s_cselect_b32 s7, -1, 0
	s_add_co_i32 s2, s3, s20
	s_mov_b32 s11, s21
	s_lshr_b32 s12, s2, s13
	s_mul_u64 s[2:3], s[10:11], s[22:23]
	s_mul_i32 s2, s12, s14
	s_delay_alu instid0(SALU_CYCLE_1) | instskip(SKIP_2) | instid1(SALU_CYCLE_1)
	s_cmp_eq_u32 s2, s20
	s_cselect_b32 s2, -1, 0
	s_add_co_i32 s3, s3, s10
	s_lshr_b32 s3, s3, s13
	s_delay_alu instid0(SALU_CYCLE_1)
	s_cmp_eq_u32 s12, s3
	s_mul_i32 s3, s3, s14
	s_cselect_b32 s8, -1, 0
	s_cmp_lg_u32 s3, s10
	s_cselect_b32 s3, -1, 0
	s_wait_alu 0xfffe
	s_or_b32 s2, s7, s2
	s_and_b32 s3, s8, s3
	s_delay_alu instid0(SALU_CYCLE_1) | instskip(NEXT) | instid1(SALU_CYCLE_1)
	s_or_b32 s2, s2, s3
	s_and_b32 vcc_lo, exec_lo, s2
	s_cbranch_vccnz .LBB45_24
; %bb.7:
	s_load_b256 s[24:31], s[0:1], 0x20
	s_mov_b32 s3, s21
	s_wait_kmcnt 0x0
	s_mov_b32 s2, s24
	s_delay_alu instid0(SALU_CYCLE_1) | instskip(NEXT) | instid1(SALU_CYCLE_1)
	s_mul_u64 s[2:3], s[20:21], s[2:3]
	s_add_co_i32 s2, s3, s20
	s_delay_alu instid0(SALU_CYCLE_1) | instskip(SKIP_2) | instid1(SALU_CYCLE_1)
	s_lshr_b32 s7, s2, s25
	s_load_b32 s2, s[0:1], 0x40
	s_mul_i32 s3, s7, s26
	s_sub_co_i32 s3, s20, s3
	s_delay_alu instid0(SALU_CYCLE_1) | instskip(NEXT) | instid1(SALU_CYCLE_1)
	s_mul_hi_u32 s8, s3, s27
	s_add_co_i32 s8, s3, s8
	s_delay_alu instid0(SALU_CYCLE_1) | instskip(NEXT) | instid1(SALU_CYCLE_1)
	s_lshr_b32 s15, s8, s28
	s_mul_i32 s8, s15, s29
	s_delay_alu instid0(SALU_CYCLE_1) | instskip(NEXT) | instid1(SALU_CYCLE_1)
	s_sub_co_i32 s8, s3, s8
	s_mul_hi_u32 s3, s8, s30
	s_delay_alu instid0(SALU_CYCLE_1) | instskip(NEXT) | instid1(SALU_CYCLE_1)
	s_add_co_i32 s3, s8, s3
	s_lshr_b32 s10, s3, s31
	s_mov_b32 s3, s21
	s_wait_kmcnt 0x0
	s_mul_i32 s2, s10, s2
	s_lshl_b32 s24, s10, 1
	s_sub_co_i32 s2, s8, s2
	s_delay_alu instid0(SALU_CYCLE_1) | instskip(SKIP_2) | instid1(SALU_CYCLE_1)
	s_mul_u64 s[8:9], s[2:3], s[22:23]
	s_lshr_b32 s3, ttmp7, 16
	s_add_co_i32 s2, s2, s9
	s_lshr_b32 s21, s2, s13
	s_and_b32 s2, ttmp7, 0xffff
	s_lshl_b32 s8, s21, 2
	s_delay_alu instid0(SALU_CYCLE_1) | instskip(NEXT) | instid1(SALU_CYCLE_1)
	s_add_co_i32 s8, s8, s2
	s_cmp_lt_i32 s8, s4
	s_cselect_b32 s8, -1, 0
	s_add_co_i32 s24, s24, s3
	s_delay_alu instid0(SALU_CYCLE_1) | instskip(SKIP_1) | instid1(SALU_CYCLE_1)
	s_cmp_lt_i32 s24, s6
	s_cselect_b32 s9, -1, 0
	s_and_b32 s8, s8, s9
	s_delay_alu instid0(SALU_CYCLE_1)
	s_and_not1_b32 vcc_lo, exec_lo, s8
	s_cbranch_vccnz .LBB45_24
; %bb.8:
	s_mul_i32 s4, s7, s4
	s_load_b128 s[8:11], s[0:1], 0x0
	s_add_co_i32 s0, s4, s2
	s_mul_i32 s15, s15, s6
	s_mul_i32 s0, s0, s5
	s_add_co_i32 s1, s24, s15
	s_mul_i32 s4, s5, s21
	s_add_co_i32 s0, s1, s0
	s_mulk_i32 s4, 0x180
	s_mulk_i32 s0, 0x60
	s_lshl_b32 s15, s2, 1
	v_add3_u32 v1, s4, s0, v0
	s_add_nc_u64 s[0:1], s[16:17], 0
	s_add_co_i32 s15, s15, s3
	s_wait_alu 0xfffe
	s_xor_b64 s[6:7], s[0:1], 0
	s_lshl_b32 s0, ttmp9, 3
	v_ashrrev_i32_e32 v2, 31, v1
	s_wait_alu 0xfffe
	s_cvt_f32_u32 s1, s6
	s_cvt_f32_u32 s2, s7
	s_add_co_i32 s0, s15, s0
	v_cvt_f32_u32_e32 v3, s16
	v_lshlrev_b64_e32 v[1:2], 2, v[1:2]
	s_wait_alu 0xfffe
	s_fmamk_f32 s2, s2, 0x4f800000, s1
	s_ashr_i32 s1, s0, 31
	s_add_co_i32 s34, ttmp9, -1
	s_wait_alu 0xfffe
	s_lshl_b64 s[0:1], s[0:1], 3
	v_s_rcp_f32 s2, s2
	s_wait_kmcnt 0x0
	v_add_co_u32 v1, vcc_lo, s8, v1
	s_delay_alu instid0(VALU_DEP_1)
	v_add_co_ci_u32_e64 v2, null, s9, v2, vcc_lo
	s_wait_alu 0xfffe
	s_add_nc_u64 s[0:1], s[10:11], s[0:1]
	v_rcp_iflag_f32_e32 v3, v3
	s_load_b64 s[26:27], s[0:1], 0x0
	global_load_b32 v5, v[1:2], off
	s_mul_f32 s2, s2, 0x5f7ffffc
	s_mov_b32 s8, 0
	s_lshl_b32 s0, s16, 5
	s_wait_alu 0xfffe
	s_mov_b32 s1, s8
	s_mul_f32 s3, s2, 0x2f800000
	s_wait_alu 0xfffe
	s_lshl_b64 s[0:1], s[0:1], 2
	s_sub_nc_u64 s[30:31], 0, s[6:7]
	v_mul_f32_e32 v6, 0x4f7ffffe, v3
	s_trunc_f32 s3, s3
	s_wait_alu 0xfffe
	s_add_nc_u64 s[24:25], s[10:11], s[0:1]
	v_mad_co_u64_u32 v[3:4], null, 0x60, s15, v[0:1]
	s_fmamk_f32 s0, s3, 0xcf800000, s2
	v_cvt_u32_f32_e32 v0, v6
	s_cvt_u32_f32 s29, s3
	s_wait_alu 0xfffe
	s_cvt_u32_f32 s28, s0
	s_wait_kmcnt 0x0
	v_mov_b32_e32 v4, s27
.LBB45_9:                               ; =>This Inner Loop Header: Depth=1
	s_wait_alu 0xfffe
	s_ashr_i32 s35, s34, 31
	s_mov_b32 s2, -1
	s_wait_alu 0xfffe
	s_mul_u64 s[0:1], s[34:35], s[18:19]
                                        ; implicit-def: $sgpr38_sgpr39
	s_wait_alu 0xfffe
	s_mov_b32 s9, s1
	s_wait_alu 0xfffe
	s_cmp_lg_u64 s[8:9], 0
	s_cbranch_scc0 .LBB45_11
; %bb.10:                               ;   in Loop: Header=BB45_9 Depth=1
	s_mul_u64 s[2:3], s[30:31], s[28:29]
	s_mov_b32 s37, s8
	s_wait_alu 0xfffe
	s_mul_hi_u32 s5, s28, s3
	s_mul_i32 s4, s28, s3
	s_mul_hi_u32 s36, s28, s2
	s_mul_hi_u32 s9, s29, s2
	s_wait_alu 0xfffe
	s_add_nc_u64 s[4:5], s[36:37], s[4:5]
	s_mul_i32 s2, s29, s2
	s_mul_hi_u32 s17, s29, s3
	s_wait_alu 0xfffe
	s_add_co_u32 s2, s4, s2
	s_add_co_ci_u32 s2, s5, s9
	s_add_co_ci_u32 s5, s17, 0
	s_mul_i32 s4, s29, s3
	s_mov_b32 s3, s8
	s_mov_b32 s39, s8
	s_wait_alu 0xfffe
	s_add_nc_u64 s[2:3], s[2:3], s[4:5]
	s_wait_alu 0xfffe
	s_add_co_u32 s2, s28, s2
	s_cselect_b32 s4, -1, 0
	s_wait_alu 0xfffe
	s_cmp_lg_u32 s4, 0
	s_add_co_ci_u32 s3, s29, s3
	s_wait_alu 0xfffe
	s_mul_u64 s[4:5], s[30:31], s[2:3]
	s_wait_alu 0xfffe
	s_mul_hi_u32 s37, s2, s5
	s_mul_i32 s36, s2, s5
	s_mul_hi_u32 s38, s2, s4
	s_mul_hi_u32 s9, s3, s4
	s_mul_i32 s4, s3, s4
	s_wait_alu 0xfffe
	s_add_nc_u64 s[36:37], s[38:39], s[36:37]
	s_mul_hi_u32 s17, s3, s5
	s_wait_alu 0xfffe
	s_add_co_u32 s4, s36, s4
	s_add_co_ci_u32 s4, s37, s9
	s_add_co_ci_u32 s37, s17, 0
	s_mul_i32 s36, s3, s5
	s_mov_b32 s5, s8
	s_wait_alu 0xfffe
	s_add_nc_u64 s[4:5], s[4:5], s[36:37]
	s_mov_b32 s37, s8
	s_wait_alu 0xfffe
	s_add_co_u32 s9, s2, s4
	s_cselect_b32 s2, -1, 0
	s_wait_alu 0xfffe
	s_cmp_lg_u32 s2, 0
	s_add_co_ci_u32 s17, s3, s5
	s_ashr_i32 s2, s1, 31
	s_wait_alu 0xfffe
	s_mov_b32 s3, s2
	s_wait_alu 0xfffe
	s_add_nc_u64 s[4:5], s[0:1], s[2:3]
	s_wait_alu 0xfffe
	s_xor_b64 s[4:5], s[4:5], s[2:3]
	s_wait_alu 0xfffe
	s_mul_hi_u32 s39, s4, s17
	s_mul_i32 s38, s4, s17
	s_mul_hi_u32 s36, s4, s9
	s_mul_i32 s21, s5, s9
	s_wait_alu 0xfffe
	s_add_nc_u64 s[36:37], s[36:37], s[38:39]
	s_mul_hi_u32 s9, s5, s9
	s_mul_hi_u32 s1, s5, s17
	s_wait_alu 0xfffe
	s_add_co_u32 s21, s36, s21
	s_add_co_ci_u32 s36, s37, s9
	s_add_co_ci_u32 s39, s1, 0
	s_mul_i32 s38, s5, s17
	s_mov_b32 s37, s8
	s_wait_alu 0xfffe
	s_add_nc_u64 s[36:37], s[36:37], s[38:39]
	s_wait_alu 0xfffe
	s_mul_u64 s[38:39], s[6:7], s[36:37]
	s_add_nc_u64 s[40:41], s[36:37], 1
	s_sub_co_u32 s1, s4, s38
	s_cselect_b32 s4, -1, 0
	s_sub_co_i32 s9, s5, s39
	s_wait_alu 0xfffe
	s_cmp_lg_u32 s4, 0
	s_add_nc_u64 s[42:43], s[36:37], 2
	s_sub_co_ci_u32 s9, s9, s7
	s_sub_co_u32 s17, s1, s6
	s_cselect_b32 s21, -1, 0
	s_delay_alu instid0(SALU_CYCLE_1)
	s_cmp_lg_u32 s21, 0
	s_wait_alu 0xfffe
	s_sub_co_ci_u32 s9, s9, 0
	s_wait_alu 0xfffe
	s_cmp_ge_u32 s9, s7
	s_cselect_b32 s21, -1, 0
	s_cmp_ge_u32 s17, s6
	s_cselect_b32 s17, -1, 0
	s_cmp_eq_u32 s9, s7
	s_wait_alu 0xfffe
	s_cselect_b32 s9, s17, s21
	s_wait_alu 0xfffe
	s_cmp_lg_u32 s9, 0
	s_cselect_b32 s9, s42, s40
	s_cselect_b32 s17, s43, s41
	s_cmp_lg_u32 s4, 0
	s_sub_co_ci_u32 s4, s5, s39
	s_wait_alu 0xfffe
	s_cmp_ge_u32 s4, s7
	s_cselect_b32 s5, -1, 0
	s_cmp_ge_u32 s1, s6
	s_cselect_b32 s1, -1, 0
	s_cmp_eq_u32 s4, s7
	s_wait_alu 0xfffe
	s_cselect_b32 s1, s1, s5
	s_wait_alu 0xfffe
	s_cmp_lg_u32 s1, 0
	s_cselect_b32 s5, s17, s37
	s_cselect_b32 s4, s9, s36
	s_xor_b64 s[2:3], s[2:3], 0
	s_wait_alu 0xfffe
	s_xor_b64 s[4:5], s[4:5], s[2:3]
	s_wait_alu 0xfffe
	s_sub_nc_u64 s[38:39], s[4:5], s[2:3]
	s_mov_b32 s2, 0
.LBB45_11:                              ;   in Loop: Header=BB45_9 Depth=1
	s_wait_alu 0xfffe
	s_and_not1_b32 vcc_lo, exec_lo, s2
	s_wait_alu 0xfffe
	s_cbranch_vccnz .LBB45_13
; %bb.12:                               ;   in Loop: Header=BB45_9 Depth=1
	v_readfirstlane_b32 s1, v0
	s_sub_co_i32 s2, 0, s16
	s_wait_alu 0xfffe
	s_mul_i32 s2, s2, s1
	s_wait_alu 0xfffe
	s_mul_hi_u32 s2, s1, s2
	s_wait_alu 0xfffe
	s_add_co_i32 s1, s1, s2
	s_wait_alu 0xfffe
	s_mul_hi_u32 s1, s0, s1
	s_wait_alu 0xfffe
	s_mul_i32 s2, s1, s16
	s_wait_alu 0xfffe
	s_sub_co_i32 s0, s0, s2
	s_add_co_i32 s2, s1, 1
	s_wait_alu 0xfffe
	s_sub_co_i32 s3, s0, s16
	s_cmp_ge_u32 s0, s16
	s_cselect_b32 s1, s2, s1
	s_wait_alu 0xfffe
	s_cselect_b32 s0, s3, s0
	s_add_co_i32 s2, s1, 1
	s_wait_alu 0xfffe
	s_cmp_ge_u32 s0, s16
	s_cselect_b32 s38, s2, s1
.LBB45_13:                              ;   in Loop: Header=BB45_9 Depth=1
	v_readfirstlane_b32 s9, v0
	s_cmp_lg_u32 s20, s38
	s_mov_b32 s0, -1
                                        ; implicit-def: $sgpr21
                                        ; implicit-def: $vgpr6
                                        ; implicit-def: $vgpr7
                                        ; implicit-def: $sgpr17
                                        ; implicit-def: $sgpr27
	s_cbranch_scc1 .LBB45_16
; %bb.14:                               ;   in Loop: Header=BB45_9 Depth=1
	s_wait_alu 0xfffe
	s_and_not1_b32 vcc_lo, exec_lo, s0
	s_wait_alu 0xfffe
	s_cbranch_vccz .LBB45_19
.LBB45_15:                              ;   in Loop: Header=BB45_9 Depth=1
	s_and_not1_b32 vcc_lo, exec_lo, s21
	s_wait_alu 0xfffe
	s_cbranch_vccnz .LBB45_20
	s_branch .LBB45_23
.LBB45_16:                              ;   in Loop: Header=BB45_9 Depth=1
	s_add_co_i32 s0, s34, s16
	s_mov_b32 s1, s8
	s_wait_alu 0xfffe
	s_lshl_b32 s0, s0, 3
	v_max_num_f32_e64 v6, s26, s26
	s_wait_alu 0xfffe
	s_add_co_i32 s0, s0, s15
	s_mov_b32 s39, s8
	s_wait_alu 0xfffe
	s_lshl_b64 s[0:1], s[0:1], 3
	s_mul_u64 s[40:41], s[38:39], s[22:23]
	s_wait_alu 0xfffe
	s_add_nc_u64 s[0:1], s[10:11], s[0:1]
	s_mov_b32 s27, s20
	s_load_b64 s[36:37], s[0:1], 0x0
	v_readfirstlane_b32 s0, v6
	s_wait_kmcnt 0x0
	v_max_num_f32_e64 v7, s36, s36
	s_delay_alu instid0(VALU_DEP_1) | instskip(SKIP_2) | instid1(SALU_CYCLE_2)
	v_readfirstlane_b32 s1, v7
	s_max_num_f32 s9, s0, s1
	s_wait_alu 0xfffe
	s_sub_f32 s33, s26, s9
	s_sub_f32 s35, s36, s9
	s_wait_alu 0xfffe
	s_delay_alu instid0(SALU_CYCLE_1)
	s_cmp_nlt_f32 s33, 0xc2ce8ed0
	s_cselect_b32 s0, -1, 0
	s_cmp_ngt_f32 s33, 0x42b17218
	s_cselect_b32 s1, -1, 0
	s_cmp_ge_f32 s33, 0xc1a00000
	s_cselect_b32 s2, -1, 0
	s_cmp_nlt_f32 s35, 0xc2ce8ed0
	s_cselect_b32 s3, -1, 0
	s_cmp_ngt_f32 s35, 0x42b17218
	s_cselect_b32 s4, -1, 0
	s_cmp_ge_f32 s35, 0xc1a00000
	s_cselect_b32 s5, -1, 0
	s_add_co_i32 s17, s41, s38
	s_wait_alu 0xfffe
	s_lshr_b32 s17, s17, s13
	s_wait_alu 0xfffe
	s_mul_i32 s21, s17, s14
	s_delay_alu instid0(SALU_CYCLE_1)
	s_cmp_eq_u32 s21, s38
	s_cselect_b32 s21, -1, 0
	s_cmp_lt_u32 s17, s12
	s_cselect_b32 s17, -1, 0
	s_wait_alu 0xfffe
	s_or_b32 s17, s17, s21
	s_mov_b32 s21, -1
	s_wait_alu 0xfffe
	s_and_b32 vcc_lo, exec_lo, s17
	s_mov_b32 s17, s34
	s_wait_alu 0xfffe
	s_cbranch_vccnz .LBB45_18
; %bb.17:                               ;   in Loop: Header=BB45_9 Depth=1
	s_add_co_i32 s17, s34, -1
	s_mov_b32 s21, 0
	s_mov_b32 s27, s38
.LBB45_18:                              ;   in Loop: Header=BB45_9 Depth=1
	v_mad_co_u64_u32 v[6:7], null, 0x300, s34, v[3:4]
	s_mul_f32 s36, s35, 0x3fb8aa3b
	s_mul_f32 s38, s33, 0x3fb8aa3b
	s_wait_alu 0xfffe
	s_delay_alu instid0(SALU_CYCLE_1)
	s_xor_b32 s39, s36, 0x80000000
	s_rndne_f32 s40, s36
	v_ashrrev_i32_e32 v7, 31, v6
	s_fmamk_f32 s39, s35, 0x3fb8aa3b, s39
	s_xor_b32 s41, s38, 0x80000000
	s_sub_f32 s36, s36, s40
	s_rndne_f32 s42, s38
	v_lshlrev_b64_e32 v[6:7], 2, v[6:7]
	s_fmamk_f32 s35, s35, 0x32a5705f, s39
	s_fmamk_f32 s39, s33, 0x3fb8aa3b, s41
	s_sub_f32 s38, s38, s42
	s_wait_alu 0xfffe
	s_add_f32 s35, s36, s35
	v_add_co_u32 v6, vcc_lo, s24, v6
	s_wait_alu 0xfffd
	v_add_co_ci_u32_e64 v7, null, s25, v7, vcc_lo
	s_fmamk_f32 s33, s33, 0x32a5705f, s39
	s_wait_alu 0xfffe
	v_s_exp_f32 s35, s35
	s_cvt_i32_f32 s36, s40
	global_load_b32 v6, v[6:7], off
	s_add_f32 s33, s38, s33
	s_wait_alu 0xfffe
	s_delay_alu instid0(SALU_CYCLE_2) | instskip(SKIP_2) | instid1(VALU_DEP_1)
	v_s_exp_f32 s33, s33
	v_ldexp_f32 v7, s35, s36
	s_cvt_i32_f32 s35, s42
	v_cndmask_b32_e64 v7, 0, v7, s3
	s_wait_alu 0xf1fe
	s_delay_alu instid0(TRANS32_DEP_1) | instid1(SALU_CYCLE_1)
	v_ldexp_f32 v8, s33, s35
	s_delay_alu instid0(VALU_DEP_2) | instskip(NEXT) | instid1(VALU_DEP_2)
	v_cndmask_b32_e64 v7, 0x7f800000, v7, s4
	v_cndmask_b32_e64 v8, 0, v8, s0
	s_delay_alu instid0(VALU_DEP_2) | instskip(NEXT) | instid1(VALU_DEP_2)
	v_cndmask_b32_e64 v7, 0, v7, s5
	v_cndmask_b32_e64 v8, 0x7f800000, v8, s1
	s_delay_alu instid0(VALU_DEP_1) | instskip(SKIP_1) | instid1(VALU_DEP_3)
	v_cndmask_b32_e64 v8, 0, v8, s2
	s_wait_loadcnt 0x0
	v_mul_f32_e32 v6, v6, v7
	v_mul_f32_e32 v7, s37, v7
	s_delay_alu instid0(VALU_DEP_1) | instskip(NEXT) | instid1(VALU_DEP_3)
	v_fmac_f32_e32 v7, v4, v8
	v_fmac_f32_e32 v6, v5, v8
	s_cbranch_execnz .LBB45_15
.LBB45_19:                              ;   in Loop: Header=BB45_9 Depth=1
	s_wait_loadcnt 0x0
	v_dual_mov_b32 v7, v4 :: v_dual_mov_b32 v6, v5
	s_add_co_i32 s17, s34, -1
	s_mov_b32 s27, s20
	s_mov_b32 s9, s26
	s_cbranch_execz .LBB45_23
.LBB45_20:                              ;   in Loop: Header=BB45_9 Depth=1
	s_wait_loadcnt 0x0
	v_dual_mov_b32 v4, v7 :: v_dual_mov_b32 v5, v6
	s_wait_alu 0xfffe
	s_mov_b32 s20, s27
	s_mov_b32 s34, s17
	;; [unrolled: 1-line block ×3, first 2 shown]
	s_branch .LBB45_9
.LBB45_21:
                                        ; implicit-def: $sgpr20_sgpr21
	s_branch .LBB45_2
.LBB45_22:
                                        ; implicit-def: $sgpr10_sgpr11
	s_load_b96 s[12:14], s[0:1], 0x44
	s_branch .LBB45_5
.LBB45_23:
	v_div_scale_f32 v0, null, v7, v7, v6
	s_delay_alu instid0(VALU_DEP_1) | instskip(NEXT) | instid1(TRANS32_DEP_1)
	v_rcp_f32_e32 v3, v0
	v_fma_f32 v4, -v0, v3, 1.0
	s_delay_alu instid0(VALU_DEP_1) | instskip(SKIP_2) | instid1(VALU_DEP_1)
	v_fmac_f32_e32 v3, v4, v3
	v_div_scale_f32 v4, vcc_lo, v6, v7, v6
	s_wait_loadcnt 0x0
	v_mul_f32_e32 v5, v4, v3
	s_delay_alu instid0(VALU_DEP_1) | instskip(NEXT) | instid1(VALU_DEP_1)
	v_fma_f32 v8, -v0, v5, v4
	v_fmac_f32_e32 v5, v8, v3
	s_delay_alu instid0(VALU_DEP_1) | instskip(SKIP_1) | instid1(VALU_DEP_1)
	v_fma_f32 v0, -v0, v5, v4
	s_wait_alu 0xfffd
	v_div_fmas_f32 v0, v0, v3, v5
	s_delay_alu instid0(VALU_DEP_1)
	v_div_fixup_f32 v0, v0, v7, v6
	global_store_b32 v[1:2], v0, off
.LBB45_24:
	s_endpgm
	.section	.rodata,"a",@progbits
	.p2align	6, 0x0
	.amdhsa_kernel _ZL33flash_attn_stream_k_fixup_generalILi96ELi4ELi2EEvPfPK15HIP_vector_typeIfLj2EEiiiiS1_IjLj3EES5_S5_S5_
		.amdhsa_group_segment_fixed_size 0
		.amdhsa_private_segment_fixed_size 0
		.amdhsa_kernarg_size 336
		.amdhsa_user_sgpr_count 2
		.amdhsa_user_sgpr_dispatch_ptr 0
		.amdhsa_user_sgpr_queue_ptr 0
		.amdhsa_user_sgpr_kernarg_segment_ptr 1
		.amdhsa_user_sgpr_dispatch_id 0
		.amdhsa_user_sgpr_private_segment_size 0
		.amdhsa_wavefront_size32 1
		.amdhsa_uses_dynamic_stack 0
		.amdhsa_enable_private_segment 0
		.amdhsa_system_sgpr_workgroup_id_x 1
		.amdhsa_system_sgpr_workgroup_id_y 1
		.amdhsa_system_sgpr_workgroup_id_z 1
		.amdhsa_system_sgpr_workgroup_info 0
		.amdhsa_system_vgpr_workitem_id 0
		.amdhsa_next_free_vgpr 9
		.amdhsa_next_free_sgpr 44
		.amdhsa_reserve_vcc 1
		.amdhsa_float_round_mode_32 0
		.amdhsa_float_round_mode_16_64 0
		.amdhsa_float_denorm_mode_32 3
		.amdhsa_float_denorm_mode_16_64 3
		.amdhsa_fp16_overflow 0
		.amdhsa_workgroup_processor_mode 1
		.amdhsa_memory_ordered 1
		.amdhsa_forward_progress 1
		.amdhsa_inst_pref_size 28
		.amdhsa_round_robin_scheduling 0
		.amdhsa_exception_fp_ieee_invalid_op 0
		.amdhsa_exception_fp_denorm_src 0
		.amdhsa_exception_fp_ieee_div_zero 0
		.amdhsa_exception_fp_ieee_overflow 0
		.amdhsa_exception_fp_ieee_underflow 0
		.amdhsa_exception_fp_ieee_inexact 0
		.amdhsa_exception_int_div_zero 0
	.end_amdhsa_kernel
	.section	.text._ZL33flash_attn_stream_k_fixup_generalILi96ELi4ELi2EEvPfPK15HIP_vector_typeIfLj2EEiiiiS1_IjLj3EES5_S5_S5_,"axG",@progbits,_ZL33flash_attn_stream_k_fixup_generalILi96ELi4ELi2EEvPfPK15HIP_vector_typeIfLj2EEiiiiS1_IjLj3EES5_S5_S5_,comdat
.Lfunc_end45:
	.size	_ZL33flash_attn_stream_k_fixup_generalILi96ELi4ELi2EEvPfPK15HIP_vector_typeIfLj2EEiiiiS1_IjLj3EES5_S5_S5_, .Lfunc_end45-_ZL33flash_attn_stream_k_fixup_generalILi96ELi4ELi2EEvPfPK15HIP_vector_typeIfLj2EEiiiiS1_IjLj3EES5_S5_S5_
                                        ; -- End function
	.set _ZL33flash_attn_stream_k_fixup_generalILi96ELi4ELi2EEvPfPK15HIP_vector_typeIfLj2EEiiiiS1_IjLj3EES5_S5_S5_.num_vgpr, 9
	.set _ZL33flash_attn_stream_k_fixup_generalILi96ELi4ELi2EEvPfPK15HIP_vector_typeIfLj2EEiiiiS1_IjLj3EES5_S5_S5_.num_agpr, 0
	.set _ZL33flash_attn_stream_k_fixup_generalILi96ELi4ELi2EEvPfPK15HIP_vector_typeIfLj2EEiiiiS1_IjLj3EES5_S5_S5_.numbered_sgpr, 44
	.set _ZL33flash_attn_stream_k_fixup_generalILi96ELi4ELi2EEvPfPK15HIP_vector_typeIfLj2EEiiiiS1_IjLj3EES5_S5_S5_.num_named_barrier, 0
	.set _ZL33flash_attn_stream_k_fixup_generalILi96ELi4ELi2EEvPfPK15HIP_vector_typeIfLj2EEiiiiS1_IjLj3EES5_S5_S5_.private_seg_size, 0
	.set _ZL33flash_attn_stream_k_fixup_generalILi96ELi4ELi2EEvPfPK15HIP_vector_typeIfLj2EEiiiiS1_IjLj3EES5_S5_S5_.uses_vcc, 1
	.set _ZL33flash_attn_stream_k_fixup_generalILi96ELi4ELi2EEvPfPK15HIP_vector_typeIfLj2EEiiiiS1_IjLj3EES5_S5_S5_.uses_flat_scratch, 0
	.set _ZL33flash_attn_stream_k_fixup_generalILi96ELi4ELi2EEvPfPK15HIP_vector_typeIfLj2EEiiiiS1_IjLj3EES5_S5_S5_.has_dyn_sized_stack, 0
	.set _ZL33flash_attn_stream_k_fixup_generalILi96ELi4ELi2EEvPfPK15HIP_vector_typeIfLj2EEiiiiS1_IjLj3EES5_S5_S5_.has_recursion, 0
	.set _ZL33flash_attn_stream_k_fixup_generalILi96ELi4ELi2EEvPfPK15HIP_vector_typeIfLj2EEiiiiS1_IjLj3EES5_S5_S5_.has_indirect_call, 0
	.section	.AMDGPU.csdata,"",@progbits
; Kernel info:
; codeLenInByte = 3540
; TotalNumSgprs: 46
; NumVgprs: 9
; ScratchSize: 0
; MemoryBound: 0
; FloatMode: 240
; IeeeMode: 1
; LDSByteSize: 0 bytes/workgroup (compile time only)
; SGPRBlocks: 0
; VGPRBlocks: 1
; NumSGPRsForWavesPerEU: 46
; NumVGPRsForWavesPerEU: 9
; Occupancy: 16
; WaveLimiterHint : 0
; COMPUTE_PGM_RSRC2:SCRATCH_EN: 0
; COMPUTE_PGM_RSRC2:USER_SGPR: 2
; COMPUTE_PGM_RSRC2:TRAP_HANDLER: 0
; COMPUTE_PGM_RSRC2:TGID_X_EN: 1
; COMPUTE_PGM_RSRC2:TGID_Y_EN: 1
; COMPUTE_PGM_RSRC2:TGID_Z_EN: 1
; COMPUTE_PGM_RSRC2:TIDIG_COMP_CNT: 0
	.section	.text._ZL15flash_attn_tileILi96ELi96ELi2ELi2ELb0EEvPKcS1_S1_S1_S1_PKiPfP15HIP_vector_typeIfLj2EEffffjfiS5_IjLj3EEiiiiiiiiiiiliiliiiiil,"axG",@progbits,_ZL15flash_attn_tileILi96ELi96ELi2ELi2ELb0EEvPKcS1_S1_S1_S1_PKiPfP15HIP_vector_typeIfLj2EEffffjfiS5_IjLj3EEiiiiiiiiiiiliiliiiiil,comdat
	.globl	_ZL15flash_attn_tileILi96ELi96ELi2ELi2ELb0EEvPKcS1_S1_S1_S1_PKiPfP15HIP_vector_typeIfLj2EEffffjfiS5_IjLj3EEiiiiiiiiiiiliiliiiiil ; -- Begin function _ZL15flash_attn_tileILi96ELi96ELi2ELi2ELb0EEvPKcS1_S1_S1_S1_PKiPfP15HIP_vector_typeIfLj2EEffffjfiS5_IjLj3EEiiiiiiiiiiiliiliiiiil
	.p2align	8
	.type	_ZL15flash_attn_tileILi96ELi96ELi2ELi2ELb0EEvPKcS1_S1_S1_S1_PKiPfP15HIP_vector_typeIfLj2EEffffjfiS5_IjLj3EEiiiiiiiiiiiliiliiiiil,@function
_ZL15flash_attn_tileILi96ELi96ELi2ELi2ELb0EEvPKcS1_S1_S1_S1_PKiPfP15HIP_vector_typeIfLj2EEffffjfiS5_IjLj3EEiiiiiiiiiiiliiliiiiil: ; @_ZL15flash_attn_tileILi96ELi96ELi2ELi2ELb0EEvPKcS1_S1_S1_S1_PKiPfP15HIP_vector_typeIfLj2EEffffjfiS5_IjLj3EEiiiiiiiiiiiliiliiiiil
; %bb.0:
	s_clause 0x1
	s_load_b128 s[20:23], s[0:1], 0x5c
	s_load_b64 s[30:31], s[0:1], 0x80
	s_lshr_b32 s5, ttmp7, 16
	s_mov_b32 s37, 0
	s_mov_b64 s[34:35], 0
	s_wait_kmcnt 0x0
	s_lshr_b32 s2, s23, 31
	s_delay_alu instid0(SALU_CYCLE_1) | instskip(NEXT) | instid1(SALU_CYCLE_1)
	s_add_co_i32 s2, s23, s2
	s_ashr_i32 s2, s2, 1
	s_delay_alu instid0(SALU_CYCLE_1) | instskip(SKIP_1) | instid1(SALU_CYCLE_2)
	s_cvt_f32_u32 s3, s2
	s_sub_co_i32 s4, 0, s2
	v_rcp_iflag_f32_e32 v1, s3
	s_delay_alu instid0(TRANS32_DEP_1) | instskip(SKIP_2) | instid1(SALU_CYCLE_2)
	v_readfirstlane_b32 s3, v1
	s_mul_f32 s3, s3, 0x4f7ffffe
	s_wait_alu 0xfffe
	s_cvt_u32_f32 s3, s3
	s_wait_alu 0xfffe
	s_delay_alu instid0(SALU_CYCLE_2) | instskip(NEXT) | instid1(SALU_CYCLE_1)
	s_mul_i32 s4, s4, s3
	s_mul_hi_u32 s4, s3, s4
	s_delay_alu instid0(SALU_CYCLE_1)
	s_add_co_i32 s3, s3, s4
	s_wait_alu 0xfffe
	s_mul_hi_u32 s3, s5, s3
	s_wait_alu 0xfffe
	s_mul_i32 s4, s3, s2
	s_add_co_i32 s6, s3, 1
	s_sub_co_i32 s4, s5, s4
	s_delay_alu instid0(SALU_CYCLE_1)
	s_sub_co_i32 s7, s4, s2
	s_cmp_ge_u32 s4, s2
	s_cselect_b32 s3, s6, s3
	s_cselect_b32 s4, s7, s4
	s_wait_alu 0xfffe
	s_add_co_i32 s6, s3, 1
	s_cmp_ge_u32 s4, s2
	s_cselect_b32 s28, s6, s3
	s_abs_i32 s2, s31
	s_abs_i32 s6, s23
	s_wait_alu 0xfffe
	s_cvt_f32_u32 s3, s2
	s_sub_co_i32 s4, 0, s2
	s_lshl_b32 s25, s5, 1
	s_mul_i32 s26, s28, s23
	s_wait_alu 0xfffe
	v_rcp_iflag_f32_e32 v1, s3
	s_delay_alu instid0(TRANS32_DEP_1) | instskip(SKIP_2) | instid1(SALU_CYCLE_2)
	v_readfirstlane_b32 s3, v1
	s_mul_f32 s3, s3, 0x4f7ffffe
	s_wait_alu 0xfffe
	s_cvt_u32_f32 s3, s3
	s_wait_alu 0xfffe
	s_delay_alu instid0(SALU_CYCLE_2) | instskip(NEXT) | instid1(SALU_CYCLE_1)
	s_mul_i32 s4, s4, s3
	s_mul_hi_u32 s4, s3, s4
	s_delay_alu instid0(SALU_CYCLE_1)
	s_add_co_i32 s3, s3, s4
	s_xor_b32 s4, s23, s31
	s_wait_alu 0xfffe
	s_mul_hi_u32 s3, s6, s3
	s_ashr_i32 s24, s4, 31
	s_wait_alu 0xfffe
	s_mul_i32 s5, s3, s2
	s_delay_alu instid0(SALU_CYCLE_1)
	s_sub_co_i32 s4, s6, s5
	s_add_co_i32 s5, s3, 1
	s_sub_co_i32 s6, s4, s2
	s_cmp_ge_u32 s4, s2
	s_cselect_b32 s3, s5, s3
	s_cselect_b32 s4, s6, s4
	s_wait_alu 0xfffe
	s_add_co_i32 s5, s3, 1
	s_cmp_ge_u32 s4, s2
	s_cselect_b32 s2, s5, s3
	s_load_b512 s[4:19], s[0:1], 0x0
	s_xor_b32 s2, s2, s24
	s_wait_alu 0xfffe
	s_sub_co_i32 s38, s2, s24
	s_load_b64 s[2:3], s[0:1], 0xb8
	s_abs_i32 s33, s38
	s_delay_alu instid0(SALU_CYCLE_1) | instskip(NEXT) | instid1(SALU_CYCLE_3)
	s_cvt_f32_u32 s24, s33
	v_rcp_iflag_f32_e32 v1, s24
	s_wait_kmcnt 0x0
	s_cmp_eq_u64 s[10:11], 0
	s_delay_alu instid0(TRANS32_DEP_1)
	v_readfirstlane_b32 s24, v1
	s_cbranch_scc1 .LBB46_2
; %bb.1:
	s_abs_i32 s2, s2
	s_load_b64 s[34:35], s[0:1], 0xc8
	s_cvt_f32_u32 s27, s2
	s_sub_co_i32 s29, 0, s2
	s_delay_alu instid0(SALU_CYCLE_2) | instskip(NEXT) | instid1(TRANS32_DEP_1)
	v_rcp_iflag_f32_e32 v1, s27
	v_readfirstlane_b32 s27, v1
	s_mul_f32 s27, s27, 0x4f7ffffe
	s_wait_alu 0xfffe
	s_delay_alu instid0(SALU_CYCLE_2) | instskip(SKIP_1) | instid1(SALU_CYCLE_2)
	s_cvt_u32_f32 s27, s27
	s_wait_alu 0xfffe
	s_mul_i32 s29, s29, s27
	s_delay_alu instid0(SALU_CYCLE_1) | instskip(NEXT) | instid1(SALU_CYCLE_1)
	s_mul_hi_u32 s29, s27, s29
	s_add_co_i32 s27, s27, s29
	s_wait_alu 0xfffe
	s_mul_hi_u32 s27, s28, s27
	s_wait_alu 0xfffe
	s_mul_i32 s27, s27, s2
	s_wait_alu 0xfffe
	s_sub_co_i32 s27, s28, s27
	s_wait_alu 0xfffe
	s_sub_co_i32 s29, s27, s2
	s_cmp_ge_u32 s27, s2
	s_cselect_b32 s27, s29, s27
	s_wait_alu 0xfffe
	s_sub_co_i32 s29, s27, s2
	s_cmp_ge_u32 s27, s2
	s_cselect_b32 s40, s29, s27
	s_delay_alu instid0(SALU_CYCLE_1) | instskip(SKIP_2) | instid1(SALU_CYCLE_1)
	s_ashr_i32 s41, s40, 31
	s_wait_kmcnt 0x0
	s_mul_u64 s[34:35], s[34:35], s[40:41]
	s_add_nc_u64 s[34:35], s[10:11], s[34:35]
.LBB46_2:
	v_and_b32_e32 v40, 0x3ff, v0
	v_bfe_u32 v0, v0, 10, 10
	s_movk_i32 s10, 0xc0
	s_sub_co_i32 s11, s25, s26
	s_lshl_b32 s31, ttmp9, 1
	v_cmp_gt_u32_e64 s2, 24, v40
	v_mad_u32_u24 v51, v0, s10, 0xe80
	v_lshlrev_b32_e32 v54, 3, v40
	v_and_b32_e32 v52, 1, v0
	v_lshrrev_b32_e32 v53, 1, v0
	s_and_saveexec_b32 s10, s2
	s_cbranch_execz .LBB46_4
; %bb.3:
	s_delay_alu instid0(VALU_DEP_1) | instskip(SKIP_2) | instid1(VALU_DEP_2)
	v_add_nc_u32_e32 v1, s31, v53
	s_load_b96 s[40:42], s[0:1], 0x70
	v_lshlrev_b32_e32 v5, 4, v40
	v_mul_hi_u32 v2, s20, v1
	s_delay_alu instid0(VALU_DEP_1) | instskip(NEXT) | instid1(VALU_DEP_1)
	v_add_nc_u32_e32 v2, v1, v2
	v_lshrrev_b32_e32 v2, s21, v2
	s_wait_kmcnt 0x0
	s_mul_i32 s26, s11, s41
	s_ashr_i32 s45, s41, 31
	s_delay_alu instid0(VALU_DEP_1)
	v_mul_lo_u32 v2, v2, s22
	s_mov_b32 s44, s41
	s_ashr_i32 s41, s40, 31
	s_lshr_b32 s25, s45, 2
	s_lshr_b64 s[46:47], s[40:41], 2
	s_lshr_b32 s27, s41, 2
	s_wait_alu 0xfffe
	v_mul_lo_u32 v4, s25, v52
	s_mul_i32 s40, s28, s42
	v_sub_nc_u32_e32 v3, v1, v2
	s_ashr_i32 s41, s40, 31
	s_delay_alu instid0(SALU_CYCLE_1) | instskip(NEXT) | instid1(VALU_DEP_1)
	s_add_nc_u64 s[4:5], s[4:5], s[40:41]
	v_mad_co_u64_u32 v[1:2], null, s46, v3, 0
	s_lshr_b64 s[46:47], s[44:45], 2
	v_mad_co_u64_u32 v[2:3], null, s27, v3, v[2:3]
	s_wait_alu 0xfffe
	v_mul_lo_u32 v3, s46, v52
	s_ashr_i32 s27, s26, 31
	s_wait_alu 0xfffe
	s_add_nc_u64 s[4:5], s[4:5], s[26:27]
	s_delay_alu instid0(VALU_DEP_2) | instskip(NEXT) | instid1(VALU_DEP_2)
	v_lshlrev_b64_e32 v[1:2], 2, v[1:2]
	v_lshlrev_b64_e32 v[3:4], 2, v[3:4]
	s_delay_alu instid0(VALU_DEP_1) | instskip(NEXT) | instid1(VALU_DEP_1)
	v_add_co_u32 v3, vcc_lo, s4, v3
	v_add_co_ci_u32_e64 v4, null, s5, v4, vcc_lo
	s_load_b32 s4, s[0:1], 0x40
	v_add_co_u32 v1, vcc_lo, v3, v1
	s_wait_alu 0xfffd
	v_add_co_ci_u32_e64 v2, null, v4, v2, vcc_lo
	s_delay_alu instid0(VALU_DEP_2) | instskip(SKIP_1) | instid1(VALU_DEP_2)
	v_add_co_u32 v1, vcc_lo, v1, v5
	s_wait_alu 0xfffd
	v_add_co_ci_u32_e64 v2, null, 0, v2, vcc_lo
	v_add_nc_u32_e32 v5, v51, v54
	global_load_b128 v[1:4], v[1:2], off
	s_wait_loadcnt 0x0
	s_wait_kmcnt 0x0
	v_fma_mixlo_f16 v2, s4, v2, 0
	v_fma_mixlo_f16 v1, s4, v1, 0
	;; [unrolled: 1-line block ×4, first 2 shown]
	s_delay_alu instid0(VALU_DEP_4) | instskip(NEXT) | instid1(VALU_DEP_4)
	v_lshlrev_b32_e32 v2, 16, v2
	v_and_b32_e32 v1, 0xffff, v1
	s_delay_alu instid0(VALU_DEP_4) | instskip(NEXT) | instid1(VALU_DEP_4)
	v_and_b32_e32 v3, 0xffff, v3
	v_lshlrev_b32_e32 v4, 16, v4
	s_delay_alu instid0(VALU_DEP_3) | instskip(NEXT) | instid1(VALU_DEP_2)
	v_or_b32_e32 v1, v2, v1
	v_or3_b32 v2, v4, v3, 0
	s_delay_alu instid0(VALU_DEP_2)
	v_or3_b32 v1, 0, 0, v1
	ds_store_b64 v5, v[1:2]
.LBB46_4:
	s_wait_alu 0xfffe
	s_or_b32 exec_lo, exec_lo, s10
	s_cmp_eq_u64 s[14:15], 0
	s_wait_dscnt 0x0
	s_barrier_signal -1
	s_barrier_wait -1
	global_inv scope:SCOPE_SE
	s_cbranch_scc1 .LBB46_6
; %bb.5:
	s_load_b32 s4, s[0:1], 0xd0
	s_mov_b32 s5, 0
	s_wait_kmcnt 0x0
	s_mul_i32 s4, s4, s28
	s_wait_alu 0xfffe
	s_add_co_i32 s4, s4, ttmp9
	s_wait_alu 0xfffe
	s_lshl_b64 s[4:5], s[4:5], 2
	s_wait_alu 0xfffe
	s_add_nc_u64 s[4:5], s[14:15], s[4:5]
	s_load_b32 s30, s[4:5], 0x0
.LBB46_6:
	s_and_b32 s10, ttmp7, 0xffff
	v_mbcnt_lo_u32_b32 v55, -1, 0
	s_wait_alu 0xfffe
	s_lshl_b32 s14, s10, 5
	s_wait_kmcnt 0x0
	s_cmp_lt_i32 s14, s30
	s_cbranch_scc1 .LBB46_9
; %bb.7:
	v_mbcnt_lo_u32_b32 v1, -1, 0
	v_mov_b32_e32 v56, 32
	s_delay_alu instid0(VALU_DEP_2)
	v_xor_b32_e32 v61, 16, v1
	v_xor_b32_e32 v60, 8, v1
	v_xor_b32_e32 v59, 4, v1
	v_xor_b32_e32 v58, 2, v1
	v_xor_b32_e32 v57, 1, v1
	s_mov_b32 s29, 0
	s_cbranch_execz .LBB46_10
; %bb.8:
	v_dual_mov_b32 v70, 0 :: v_dual_mov_b32 v75, 0
	v_mov_b32_e32 v50, 0xfeffffff
	v_mov_b32_e32 v62, 0
	s_branch .LBB46_22
.LBB46_9:
                                        ; implicit-def: $vgpr1
                                        ; implicit-def: $vgpr56
                                        ; implicit-def: $vgpr61
                                        ; implicit-def: $vgpr60
                                        ; implicit-def: $vgpr59
                                        ; implicit-def: $vgpr58
                                        ; implicit-def: $vgpr57
	s_mov_b32 s29, 0
.LBB46_10:
	s_mul_f32 s15, s24, 0x4f7ffffe
	s_clause 0x1
	s_load_b128 s[24:27], s[0:1], 0x98
	s_load_b64 s[4:5], s[0:1], 0x8c
	v_dual_mov_b32 v62, 0 :: v_dual_add_nc_u32 v5, s31, v53
	s_cvt_u32_f32 s15, s15
	s_sub_co_i32 s40, 0, s33
	v_lshrrev_b32_e32 v1, 1, v40
	s_delay_alu instid0(VALU_DEP_2)
	v_mul_hi_u32 v2, s20, v5
	s_mul_i32 s40, s40, s15
	s_abs_i32 s36, s11
	s_mul_hi_u32 s40, s15, s40
	s_mov_b32 s39, s37
	s_ashr_i32 s43, s38, 31
	s_add_co_i32 s38, s15, s40
	v_lshl_add_u32 v4, v0, 4, v1
	v_dual_mov_b32 v56, 32 :: v_dual_add_nc_u32 v1, v5, v2
	s_mul_u64 s[38:39], s[36:37], s[38:39]
	v_lshlrev_b32_e32 v6, 2, v40
	v_lshrrev_b32_e32 v3, 2, v40
	s_mul_i32 s37, s39, s33
	v_lshrrev_b32_e32 v2, s21, v1
	s_sub_co_i32 s37, s36, s37
	s_wait_kmcnt 0x0
	s_ashr_i32 s36, s4, 2
	v_lshl_add_u32 v8, v0, 3, v3
	v_cmp_gt_u32_e32 vcc_lo, 32, v4
	v_dual_mov_b32 v70, 0 :: v_dual_and_b32 v11, 4, v6
	v_mul_u32_u24_e32 v7, 0x70, v4
	v_mul_lo_u32 v3, s36, v4
	v_lshrrev_b32_e32 v4, 3, v40
	s_load_b64 s[40:41], s[0:1], 0xa8
	v_mul_lo_u32 v12, v2, s22
	v_dual_mov_b32 v74, 0 :: v_dual_lshlrev_b32 v13, 2, v11
	s_delay_alu instid0(VALU_DEP_3)
	v_lshl_add_u32 v14, v0, 2, v4
	s_ashr_i32 s42, s11, 31
	s_ashr_i32 s26, s26, 2
	v_dual_mov_b32 v76, 0xfeffffff :: v_dual_and_b32 v9, 12, v6
	s_ashr_i32 s3, s3, 1
	s_xor_b32 s15, s42, s43
	s_add_co_i32 s38, s39, 1
	s_sub_co_i32 s4, s37, s33
	s_cmp_ge_u32 s37, s33
	v_mul_lo_u32 v1, s36, v8
	v_add3_u32 v65, v7, v13, 64
	v_sub_nc_u32_e32 v12, v5, v12
	s_wait_alu 0xfffe
	v_mul_lo_u32 v5, s26, v14
	v_mul_lo_u32 v7, s26, v8
	s_cselect_b32 s38, s38, s39
	s_cselect_b32 s4, s4, s37
	v_lshlrev_b32_e32 v10, 2, v9
	s_add_co_i32 s37, s38, 1
	v_lshl_add_u32 v66, v0, 6, 0x1180
	v_mul_u32_u24_e32 v0, 0xc0, v8
	v_and_b32_e32 v13, 28, v6
	s_wait_alu 0xfffe
	s_cmp_ge_u32 s4, s33
	v_mad_u32_u24 v63, 0x70, v8, v10
	s_cselect_b32 s4, s37, s38
	v_ashrrev_i32_e32 v2, 31, v1
	v_ashrrev_i32_e32 v4, 31, v3
	v_mad_co_u64_u32 v[41:42], null, v12, s3, v[40:41]
	v_cmp_gt_u32_e64 s3, 16, v8
	v_ashrrev_i32_e32 v6, 31, v5
	v_ashrrev_i32_e32 v8, 31, v7
	s_wait_alu 0xfffe
	s_xor_b32 s4, s4, s15
	v_or_b32_e32 v0, v0, v10
	v_lshlrev_b32_e32 v10, 2, v13
	s_mul_u64 s[24:25], s[24:25], s[28:29]
	s_wait_kmcnt 0x0
	s_mul_u64 s[38:39], s[40:41], s[28:29]
	s_wait_alu 0xfffe
	s_sub_co_i32 s15, s4, s15
	s_add_nc_u64 s[6:7], s[6:7], s[24:25]
	s_mul_i32 s4, s15, s5
	s_add_nc_u64 s[24:25], s[8:9], s[38:39]
	s_mul_i32 s38, s15, s27
	v_lshlrev_b64_e32 v[42:43], 2, v[3:4]
	v_lshlrev_b64_e32 v[44:45], 2, v[1:2]
	;; [unrolled: 1-line block ×4, first 2 shown]
	v_mul_u32_u24_e32 v64, 0x70, v40
	v_lshl_add_u32 v67, v40, 1, v66
	v_add_nc_u32_e32 v68, 0x80, v0
	v_mad_u32_u24 v69, 0xc0, v14, v10
	v_lshlrev_b32_e32 v71, 2, v9
	v_xor_b32_e32 v61, 16, v55
	v_xor_b32_e32 v60, 8, v55
	;; [unrolled: 1-line block ×5, first 2 shown]
	v_lshlrev_b32_e32 v72, 2, v13
	v_lshlrev_b32_e32 v73, 2, v11
	s_wait_alu 0xfffe
	s_ashr_i32 s5, s4, 31
	s_ashr_i32 s39, s38, 31
	s_wait_alu 0xfffe
	s_add_nc_u64 s[8:9], s[6:7], s[4:5]
	s_add_nc_u64 s[24:25], s[24:25], s[38:39]
	s_ashr_i32 s37, s36, 31
	s_ashr_i32 s27, s26, 31
	s_add_nc_u64 s[20:21], s[0:1], 0xd0
.LBB46_11:                              ; =>This Inner Loop Header: Depth=1
	s_ashr_i32 s15, s14, 31
	s_wait_alu 0xfffe
	s_mul_u64 s[4:5], s[14:15], s[36:37]
	s_wait_alu 0xfffe
	s_lshl_b64 s[4:5], s[4:5], 2
	s_wait_alu 0xfffe
	s_add_nc_u64 s[6:7], s[8:9], s[4:5]
	s_and_saveexec_b32 s5, vcc_lo
	s_cbranch_execz .LBB46_13
; %bb.12:                               ;   in Loop: Header=BB46_11 Depth=1
	s_wait_alu 0xfffe
	v_add_co_u32 v0, s4, s6, v42
	s_wait_alu 0xf1ff
	v_add_co_ci_u32_e64 v1, null, s7, v43, s4
	s_delay_alu instid0(VALU_DEP_2) | instskip(SKIP_1) | instid1(VALU_DEP_2)
	v_add_co_u32 v0, s4, v0, v73
	s_wait_alu 0xf1ff
	v_add_co_ci_u32_e64 v1, null, 0, v1, s4
	global_load_b128 v[0:3], v[0:1], off offset:64
	s_wait_loadcnt 0x0
	ds_store_b128 v65, v[0:3]
.LBB46_13:                              ;   in Loop: Header=BB46_11 Depth=1
	s_wait_alu 0xfffe
	s_or_b32 exec_lo, exec_lo, s5
	v_add_co_u32 v0, s4, s6, v44
	s_wait_alu 0xf1ff
	v_add_co_ci_u32_e64 v1, null, s7, v45, s4
	s_delay_alu instid0(VALU_DEP_2) | instskip(SKIP_1) | instid1(VALU_DEP_2)
	v_add_co_u32 v0, s4, v0, v71
	s_wait_alu 0xf1ff
	v_add_co_ci_u32_e64 v1, null, 0, v1, s4
	global_load_b128 v[2:5], v[0:1], off
	s_wait_loadcnt 0x0
	ds_store_b128 v63, v[2:5]
	s_wait_dscnt 0x0
	s_barrier_signal -1
	s_barrier_wait -1
	global_inv scope:SCOPE_SE
	ds_load_b128 v[3:6], v64
	ds_load_b128 v[7:10], v51
	v_mov_b32_e32 v2, 0
	s_wait_dscnt 0x0
	;;#ASMSTART
	v_dot2_f32_f16 v2, v3, v7, v2
	;;#ASMEND
	;;#ASMSTART
	v_dot2_f32_f16 v2, v4, v8, v2
	;;#ASMEND
	;;#ASMSTART
	v_dot2_f32_f16 v2, v5, v9, v2
	;;#ASMEND
	;;#ASMSTART
	v_dot2_f32_f16 v2, v6, v10, v2
	;;#ASMEND
	ds_load_b128 v[3:6], v64 offset:16
	ds_load_b128 v[7:10], v51 offset:16
	s_wait_dscnt 0x0
	;;#ASMSTART
	v_dot2_f32_f16 v2, v3, v7, v2
	;;#ASMEND
	;;#ASMSTART
	v_dot2_f32_f16 v2, v4, v8, v2
	;;#ASMEND
	;;#ASMSTART
	v_dot2_f32_f16 v2, v5, v9, v2
	;;#ASMEND
	;;#ASMSTART
	v_dot2_f32_f16 v2, v6, v10, v2
	;;#ASMEND
	ds_load_b128 v[3:6], v64 offset:32
	ds_load_b128 v[7:10], v51 offset:32
	;; [unrolled: 15-line block ×5, first 2 shown]
	s_wait_dscnt 0x0
	;;#ASMSTART
	v_dot2_f32_f16 v2, v3, v7, v2
	;;#ASMEND
	;;#ASMSTART
	v_dot2_f32_f16 v2, v4, v8, v2
	;;#ASMEND
	;; [unrolled: 3-line block ×4, first 2 shown]
	s_wait_loadcnt 0x0
	s_barrier_signal -1
	s_barrier_wait -1
	global_inv scope:SCOPE_SE
	s_and_saveexec_b32 s5, vcc_lo
	s_cbranch_execz .LBB46_15
; %bb.14:                               ;   in Loop: Header=BB46_11 Depth=1
	v_add_co_u32 v3, s4, s6, v42
	s_wait_alu 0xf1ff
	v_add_co_ci_u32_e64 v4, null, s7, v43, s4
	s_delay_alu instid0(VALU_DEP_2) | instskip(SKIP_1) | instid1(VALU_DEP_2)
	v_add_co_u32 v3, s4, v3, v73
	s_wait_alu 0xf1ff
	v_add_co_ci_u32_e64 v4, null, 0, v4, s4
	global_load_b128 v[3:6], v[3:4], off offset:160
	s_wait_loadcnt 0x0
	ds_store_b128 v65, v[3:6]
.LBB46_15:                              ;   in Loop: Header=BB46_11 Depth=1
	s_wait_alu 0xfffe
	s_or_b32 exec_lo, exec_lo, s5
	global_load_b128 v[3:6], v[0:1], off offset:96
	v_add_nc_u32_e32 v0, s14, v41
	s_delay_alu instid0(VALU_DEP_1) | instskip(NEXT) | instid1(VALU_DEP_1)
	v_ashrrev_i32_e32 v1, 31, v0
	v_lshlrev_b64_e32 v[0:1], 1, v[0:1]
	s_delay_alu instid0(VALU_DEP_1) | instskip(SKIP_1) | instid1(VALU_DEP_2)
	v_add_co_u32 v0, s4, s34, v0
	s_wait_alu 0xf1ff
	v_add_co_ci_u32_e64 v1, null, s35, v1, s4
	v_cmp_gt_i32_e64 s4, 32, v61
	s_wait_loadcnt 0x0
	ds_store_b128 v63, v[3:6]
	s_wait_dscnt 0x0
	s_barrier_signal -1
	s_barrier_wait -1
	global_inv scope:SCOPE_SE
	ds_load_b128 v[3:6], v64
	ds_load_b128 v[7:10], v51 offset:96
	s_wait_dscnt 0x0
	;;#ASMSTART
	v_dot2_f32_f16 v2, v3, v7, v2
	;;#ASMEND
	;;#ASMSTART
	v_dot2_f32_f16 v2, v4, v8, v2
	;;#ASMEND
	;;#ASMSTART
	v_dot2_f32_f16 v2, v5, v9, v2
	;;#ASMEND
	;;#ASMSTART
	v_dot2_f32_f16 v2, v6, v10, v2
	;;#ASMEND
	ds_load_b128 v[3:6], v64 offset:16
	ds_load_b128 v[7:10], v51 offset:112
	s_wait_dscnt 0x0
	;;#ASMSTART
	v_dot2_f32_f16 v2, v3, v7, v2
	;;#ASMEND
	;;#ASMSTART
	v_dot2_f32_f16 v2, v4, v8, v2
	;;#ASMEND
	;;#ASMSTART
	v_dot2_f32_f16 v2, v5, v9, v2
	;;#ASMEND
	;;#ASMSTART
	v_dot2_f32_f16 v2, v6, v10, v2
	;;#ASMEND
	ds_load_b128 v[3:6], v64 offset:32
	ds_load_b128 v[7:10], v51 offset:128
	s_wait_dscnt 0x0
	;;#ASMSTART
	v_dot2_f32_f16 v2, v3, v7, v2
	;;#ASMEND
	;;#ASMSTART
	v_dot2_f32_f16 v2, v4, v8, v2
	;;#ASMEND
	;;#ASMSTART
	v_dot2_f32_f16 v2, v5, v9, v2
	;;#ASMEND
	;;#ASMSTART
	v_dot2_f32_f16 v2, v6, v10, v2
	;;#ASMEND
	ds_load_b128 v[3:6], v64 offset:48
	ds_load_b128 v[7:10], v51 offset:144
	s_wait_dscnt 0x0
	;;#ASMSTART
	v_dot2_f32_f16 v2, v3, v7, v2
	;;#ASMEND
	;;#ASMSTART
	v_dot2_f32_f16 v2, v4, v8, v2
	;;#ASMEND
	;;#ASMSTART
	v_dot2_f32_f16 v2, v5, v9, v2
	;;#ASMEND
	;;#ASMSTART
	v_dot2_f32_f16 v2, v6, v10, v2
	;;#ASMEND
	ds_load_b128 v[3:6], v64 offset:64
	ds_load_b128 v[7:10], v51 offset:160
	s_wait_dscnt 0x0
	;;#ASMSTART
	v_dot2_f32_f16 v2, v3, v7, v2
	;;#ASMEND
	;;#ASMSTART
	v_dot2_f32_f16 v2, v4, v8, v2
	;;#ASMEND
	;;#ASMSTART
	v_dot2_f32_f16 v2, v5, v9, v2
	;;#ASMEND
	;;#ASMSTART
	v_dot2_f32_f16 v2, v6, v10, v2
	;;#ASMEND
	ds_load_b128 v[3:6], v64 offset:80
	ds_load_b128 v[7:10], v51 offset:176
	s_wait_dscnt 0x0
	;;#ASMSTART
	v_dot2_f32_f16 v2, v3, v7, v2
	;;#ASMEND
	;;#ASMSTART
	v_dot2_f32_f16 v2, v4, v8, v2
	;;#ASMEND
	;; [unrolled: 3-line block ×4, first 2 shown]
	global_load_u16 v0, v[0:1], off
	s_wait_alu 0xf1ff
	v_cndmask_b32_e64 v1, v55, v61, s4
	v_cmp_gt_i32_e64 s4, 32, v60
	s_wait_loadcnt 0x0
	s_barrier_signal -1
	s_barrier_wait -1
	global_inv scope:SCOPE_SE
	v_lshlrev_b32_e32 v1, 2, v1
	v_cvt_f32_f16_e32 v0, v0
	s_delay_alu instid0(VALU_DEP_1) | instskip(SKIP_1) | instid1(VALU_DEP_2)
	v_add_f32_e32 v0, v2, v0
	v_max_num_f32_e32 v2, v76, v76
	v_add_f32_e32 v3, 0x40051340, v0
	s_delay_alu instid0(VALU_DEP_1)
	v_max_num_f32_e32 v2, v2, v3
	s_wait_alu 0xf1ff
	v_cndmask_b32_e64 v3, v55, v60, s4
	v_cmp_gt_i32_e64 s4, 32, v59
	ds_bpermute_b32 v1, v1, v2
	v_lshlrev_b32_e32 v3, 2, v3
	s_wait_dscnt 0x0
	v_max_num_f32_e32 v1, v1, v1
	s_delay_alu instid0(VALU_DEP_1)
	v_max_num_f32_e32 v1, v2, v1
	ds_bpermute_b32 v2, v3, v1
	s_wait_alu 0xf1ff
	v_cndmask_b32_e64 v3, v55, v59, s4
	v_cmp_gt_i32_e64 s4, 32, v58
	s_wait_dscnt 0x0
	s_delay_alu instid0(VALU_DEP_2) | instskip(NEXT) | instid1(VALU_DEP_1)
	v_dual_max_num_f32 v2, v2, v2 :: v_dual_lshlrev_b32 v3, 2, v3
	v_max_num_f32_e32 v1, v1, v2
	ds_bpermute_b32 v2, v3, v1
	s_wait_alu 0xf1ff
	v_cndmask_b32_e64 v3, v55, v58, s4
	v_cmp_gt_i32_e64 s4, 32, v57
	s_wait_dscnt 0x0
	s_delay_alu instid0(VALU_DEP_2) | instskip(NEXT) | instid1(VALU_DEP_1)
	v_dual_max_num_f32 v2, v2, v2 :: v_dual_lshlrev_b32 v3, 2, v3
	v_max_num_f32_e32 v1, v1, v2
	ds_bpermute_b32 v2, v3, v1
	s_wait_alu 0xf1ff
	v_cndmask_b32_e64 v3, v55, v57, s4
	s_wait_dscnt 0x0
	v_max_num_f32_e32 v2, v2, v2
	s_delay_alu instid0(VALU_DEP_1) | instskip(NEXT) | instid1(VALU_DEP_3)
	v_max_num_f32_e32 v1, v1, v2
	v_lshlrev_b32_e32 v3, 2, v3
	ds_bpermute_b32 v2, v3, v1
	s_wait_dscnt 0x0
	v_max_num_f32_e32 v2, v2, v2
	s_delay_alu instid0(VALU_DEP_1) | instskip(NEXT) | instid1(VALU_DEP_1)
	v_max_num_f32_e32 v50, v1, v2
	v_sub_f32_e32 v0, v0, v50
	s_delay_alu instid0(VALU_DEP_1) | instskip(SKIP_1) | instid1(VALU_DEP_2)
	v_mul_f32_e32 v1, 0x3fb8aa3b, v0
	v_cmp_ngt_f32_e64 s4, 0xc2ce8ed0, v0
	v_fma_f32 v2, 0x3fb8aa3b, v0, -v1
	v_rndne_f32_e32 v3, v1
	s_delay_alu instid0(VALU_DEP_1) | instskip(NEXT) | instid1(VALU_DEP_1)
	v_dual_fmac_f32 v2, 0x32a5705f, v0 :: v_dual_sub_f32 v1, v1, v3
	v_add_f32_e32 v1, v1, v2
	v_cvt_i32_f32_e32 v2, v3
	s_delay_alu instid0(VALU_DEP_2) | instskip(NEXT) | instid1(TRANS32_DEP_1)
	v_exp_f32_e32 v1, v1
	v_ldexp_f32 v1, v1, v2
	s_wait_alu 0xf1ff
	s_delay_alu instid0(VALU_DEP_1) | instskip(SKIP_2) | instid1(VALU_DEP_1)
	v_cndmask_b32_e64 v1, 0, v1, s4
	v_cmp_nlt_f32_e64 s4, 0x42b17218, v0
	s_wait_alu 0xf1ff
	v_cndmask_b32_e64 v75, 0x7f800000, v1, s4
	s_mul_u64 s[4:5], s[14:15], s[26:27]
	s_wait_alu 0xfffe
	s_lshl_b64 s[4:5], s[4:5], 2
	s_delay_alu instid0(VALU_DEP_1)
	v_cvt_f16_f32_e32 v0, v75
	s_wait_alu 0xfffe
	s_add_nc_u64 s[6:7], s[24:25], s[4:5]
	ds_store_b16 v67, v0
	s_and_saveexec_b32 s5, s3
	s_cbranch_execz .LBB46_17
; %bb.16:                               ;   in Loop: Header=BB46_11 Depth=1
	s_wait_alu 0xfffe
	v_add_co_u32 v0, s4, s6, v46
	s_wait_alu 0xf1ff
	v_add_co_ci_u32_e64 v1, null, s7, v47, s4
	s_delay_alu instid0(VALU_DEP_2) | instskip(SKIP_1) | instid1(VALU_DEP_2)
	v_add_co_u32 v0, s4, v0, v71
	s_wait_alu 0xf1ff
	v_add_co_ci_u32_e64 v1, null, 0, v1, s4
	global_load_b128 v[0:3], v[0:1], off offset:128
	s_wait_loadcnt 0x0
	ds_store_b128 v68, v[0:3]
.LBB46_17:                              ;   in Loop: Header=BB46_11 Depth=1
	s_wait_alu 0xfffe
	s_or_b32 exec_lo, exec_lo, s5
	v_add_co_u32 v0, s4, s6, v48
	s_wait_alu 0xf1ff
	v_add_co_ci_u32_e64 v1, null, s7, v49, s4
	v_add_nc_u32_e32 v78, 0x400, v54
	s_delay_alu instid0(VALU_DEP_3) | instskip(SKIP_1) | instid1(VALU_DEP_3)
	v_add_co_u32 v0, s4, v0, v72
	s_wait_alu 0xf1ff
	v_add_co_ci_u32_e64 v1, null, 0, v1, s4
	v_add_nc_u32_e32 v77, 0x800, v54
	v_sub_f32_e32 v76, v76, v50
	s_or_b32 s4, s14, 16
	global_load_b128 v[0:3], v[0:1], off
	s_wait_alu 0xfffe
	s_ashr_i32 s5, s4, 31
	s_wait_alu 0xfffe
	s_mul_u64 s[6:7], s[4:5], s[26:27]
	v_cmp_ngt_f32_e64 s4, 0xc2ce8ed0, v76
	v_cmp_nlt_f32_e64 s5, 0x42b17218, v76
	s_wait_alu 0xfffe
	s_lshl_b64 s[6:7], s[6:7], 2
	s_wait_alu 0xfffe
	s_add_nc_u64 s[38:39], s[24:25], s[6:7]
	s_wait_loadcnt 0x0
	ds_store_b128 v69, v[0:3]
	s_wait_dscnt 0x0
	s_barrier_signal -1
	s_barrier_wait -1
	global_inv scope:SCOPE_SE
	ds_load_2addr_b64 v[36:39], v54 offset1:24
	ds_load_b128 v[28:31], v66
	ds_load_b128 v[4:7], v66 offset:16
	ds_load_2addr_b64 v[32:35], v54 offset0:48 offset1:72
	ds_load_2addr_b64 v[24:27], v54 offset0:96 offset1:120
	;; [unrolled: 1-line block ×7, first 2 shown]
	s_wait_loadcnt_dscnt 0x0
	s_barrier_signal -1
	s_barrier_wait -1
	global_inv scope:SCOPE_SE
	s_and_saveexec_b32 s7, s3
	s_cbranch_execz .LBB46_19
; %bb.18:                               ;   in Loop: Header=BB46_11 Depth=1
	s_wait_alu 0xfffe
	v_add_co_u32 v79, s6, s38, v46
	s_wait_alu 0xf1ff
	v_add_co_ci_u32_e64 v80, null, s39, v47, s6
	s_delay_alu instid0(VALU_DEP_2) | instskip(SKIP_1) | instid1(VALU_DEP_2)
	v_add_co_u32 v79, s6, v79, v71
	s_wait_alu 0xf1ff
	v_add_co_ci_u32_e64 v80, null, 0, v80, s6
	global_load_b128 v[79:82], v[79:80], off offset:128
	s_wait_loadcnt 0x0
	ds_store_b128 v68, v[79:82]
.LBB46_19:                              ;   in Loop: Header=BB46_11 Depth=1
	s_wait_alu 0xfffe
	s_or_b32 exec_lo, exec_lo, s7
	v_add_co_u32 v79, s6, s38, v48
	s_wait_alu 0xf1ff
	v_add_co_ci_u32_e64 v80, null, s39, v49, s6
	v_mul_f32_e32 v83, 0x3fb8aa3b, v76
	s_delay_alu instid0(VALU_DEP_3) | instskip(SKIP_1) | instid1(VALU_DEP_3)
	v_add_co_u32 v79, s6, v79, v72
	s_wait_alu 0xf1ff
	v_add_co_ci_u32_e64 v80, null, 0, v80, s6
	s_delay_alu instid0(VALU_DEP_3)
	v_fma_f32 v84, 0x3fb8aa3b, v76, -v83
	v_rndne_f32_e32 v85, v83
	global_load_b128 v[79:82], v[79:80], off
	v_fmac_f32_e32 v84, 0x32a5705f, v76
	v_sub_f32_e32 v76, v83, v85
	v_cvt_i32_f32_e32 v83, v85
	v_and_b32_e32 v85, 0xffff, v29
	v_lshrrev_b32_e32 v29, 16, v29
	s_delay_alu instid0(VALU_DEP_4) | instskip(NEXT) | instid1(VALU_DEP_2)
	v_add_f32_e32 v76, v76, v84
	v_mul_u32_u24_e32 v29, 0x10001, v29
	s_delay_alu instid0(VALU_DEP_2) | instskip(NEXT) | instid1(TRANS32_DEP_1)
	v_exp_f32_e32 v76, v76
	v_ldexp_f32 v76, v76, v83
	v_and_b32_e32 v83, 0xffff, v28
	v_lshrrev_b32_e32 v28, 16, v28
	s_delay_alu instid0(VALU_DEP_3) | instskip(NEXT) | instid1(VALU_DEP_3)
	v_cndmask_b32_e64 v76, 0, v76, s4
	v_mul_u32_u24_e32 v83, 0x10001, v83
	s_delay_alu instid0(VALU_DEP_3) | instskip(NEXT) | instid1(VALU_DEP_3)
	v_mul_u32_u24_e32 v28, 0x10001, v28
	v_cndmask_b32_e64 v76, 0x7f800000, v76, s5
	s_delay_alu instid0(VALU_DEP_3) | instskip(SKIP_1) | instid1(VALU_DEP_3)
	v_pk_mul_f16 v36, v36, v83
	v_pk_mul_f16 v37, v37, v83
	v_cvt_f16_f32_e32 v84, v76
	v_fmac_f32_e32 v75, v74, v76
	s_delay_alu instid0(VALU_DEP_2) | instskip(NEXT) | instid1(VALU_DEP_1)
	v_and_b32_e32 v84, 0xffff, v84
	v_mul_u32_u24_e32 v84, 0x10001, v84
	s_delay_alu instid0(VALU_DEP_1) | instskip(SKIP_2) | instid1(VALU_DEP_3)
	v_pk_fma_f16 v36, v62, v84, v36
	v_pk_fma_f16 v37, v70, v84, v37
	v_mul_u32_u24_e32 v62, 0x10001, v85
	v_pk_fma_f16 v36, v38, v28, v36
	s_delay_alu instid0(VALU_DEP_3) | instskip(SKIP_2) | instid1(VALU_DEP_4)
	v_pk_fma_f16 v28, v39, v28, v37
	v_and_b32_e32 v38, 0xffff, v30
	v_lshrrev_b32_e32 v30, 16, v30
	v_pk_fma_f16 v32, v32, v62, v36
	s_delay_alu instid0(VALU_DEP_4) | instskip(NEXT) | instid1(VALU_DEP_4)
	v_pk_fma_f16 v28, v33, v62, v28
	v_mul_u32_u24_e32 v36, 0x10001, v38
	v_and_b32_e32 v33, 0xffff, v31
	v_mul_u32_u24_e32 v30, 0x10001, v30
	v_pk_fma_f16 v32, v34, v29, v32
	v_pk_fma_f16 v28, v35, v29, v28
	v_lshrrev_b32_e32 v29, 16, v31
	v_mul_u32_u24_e32 v31, 0x10001, v33
	s_delay_alu instid0(VALU_DEP_4) | instskip(NEXT) | instid1(VALU_DEP_4)
	v_pk_fma_f16 v24, v24, v36, v32
	v_pk_fma_f16 v25, v25, v36, v28
	s_delay_alu instid0(VALU_DEP_4) | instskip(NEXT) | instid1(VALU_DEP_3)
	v_mul_u32_u24_e32 v28, 0x10001, v29
	v_pk_fma_f16 v24, v26, v30, v24
	s_delay_alu instid0(VALU_DEP_3) | instskip(SKIP_2) | instid1(VALU_DEP_4)
	v_pk_fma_f16 v25, v27, v30, v25
	v_and_b32_e32 v26, 0xffff, v4
	v_lshrrev_b32_e32 v4, 16, v4
	v_pk_fma_f16 v20, v20, v31, v24
	s_delay_alu instid0(VALU_DEP_4) | instskip(NEXT) | instid1(VALU_DEP_4)
	v_pk_fma_f16 v21, v21, v31, v25
	v_mul_u32_u24_e32 v24, 0x10001, v26
	s_delay_alu instid0(VALU_DEP_4) | instskip(NEXT) | instid1(VALU_DEP_4)
	v_mul_u32_u24_e32 v4, 0x10001, v4
	v_pk_fma_f16 v20, v22, v28, v20
	s_delay_alu instid0(VALU_DEP_4) | instskip(SKIP_2) | instid1(VALU_DEP_4)
	v_pk_fma_f16 v21, v23, v28, v21
	v_and_b32_e32 v22, 0xffff, v5
	v_lshrrev_b32_e32 v5, 16, v5
	v_pk_fma_f16 v16, v16, v24, v20
	s_delay_alu instid0(VALU_DEP_4) | instskip(NEXT) | instid1(VALU_DEP_4)
	v_pk_fma_f16 v17, v17, v24, v21
	v_mul_u32_u24_e32 v22, 0x10001, v22
	v_and_b32_e32 v20, 0xffff, v6
	v_mul_u32_u24_e32 v5, 0x10001, v5
	v_pk_fma_f16 v16, v18, v4, v16
	v_pk_fma_f16 v4, v19, v4, v17
	v_lshrrev_b32_e32 v6, 16, v6
	v_mul_u32_u24_e32 v20, 0x10001, v20
	s_delay_alu instid0(VALU_DEP_4) | instskip(NEXT) | instid1(VALU_DEP_4)
	v_pk_fma_f16 v12, v12, v22, v16
	v_pk_fma_f16 v4, v13, v22, v4
	v_and_b32_e32 v13, 0xffff, v7
	s_delay_alu instid0(VALU_DEP_3) | instskip(NEXT) | instid1(VALU_DEP_3)
	v_pk_fma_f16 v12, v14, v5, v12
	v_pk_fma_f16 v15, v15, v5, v4
	v_mul_u32_u24_e32 v14, 0x10001, v6
	s_delay_alu instid0(VALU_DEP_4) | instskip(NEXT) | instid1(VALU_DEP_4)
	v_mul_u32_u24_e32 v21, 0x10001, v13
	v_pk_fma_f16 v8, v8, v20, v12
	v_lshrrev_b32_e32 v12, 16, v7
	v_pk_fma_f16 v9, v9, v20, v15
	s_delay_alu instid0(VALU_DEP_3) | instskip(NEXT) | instid1(VALU_DEP_3)
	v_pk_fma_f16 v8, v10, v14, v8
	v_mul_u32_u24_e32 v20, 0x10001, v12
	s_delay_alu instid0(VALU_DEP_3) | instskip(NEXT) | instid1(VALU_DEP_3)
	v_pk_fma_f16 v22, v11, v14, v9
	v_pk_fma_f16 v0, v0, v21, v8
	s_delay_alu instid0(VALU_DEP_2) | instskip(NEXT) | instid1(VALU_DEP_2)
	v_pk_fma_f16 v1, v1, v21, v22
	v_pk_fma_f16 v21, v2, v20, v0
	s_delay_alu instid0(VALU_DEP_2)
	v_pk_fma_f16 v20, v3, v20, v1
	s_wait_loadcnt 0x0
	ds_store_b128 v69, v[79:82]
	s_wait_dscnt 0x0
	s_barrier_signal -1
	s_barrier_wait -1
	global_inv scope:SCOPE_SE
	ds_load_b128 v[16:19], v66 offset:32
	ds_load_2addr_b64 v[4:7], v54 offset1:24
	ds_load_b128 v[8:11], v66 offset:48
	ds_load_2addr_b64 v[12:15], v54 offset0:48 offset1:72
	ds_load_2addr_b64 v[0:3], v54 offset0:96 offset1:120
	s_wait_dscnt 0x4
	v_and_b32_e32 v23, 0xffff, v16
	v_lshrrev_b32_e32 v16, 16, v16
	v_and_b32_e32 v24, 0xffff, v18
	v_and_b32_e32 v28, 0xffff, v19
	s_delay_alu instid0(VALU_DEP_4)
	v_mul_u32_u24_e32 v22, 0x10001, v23
	v_and_b32_e32 v23, 0xffff, v17
	v_mul_u32_u24_e32 v16, 0x10001, v16
	v_lshrrev_b32_e32 v17, 16, v17
	s_wait_dscnt 0x3
	v_pk_fma_f16 v4, v4, v22, v21
	v_pk_fma_f16 v5, v5, v22, v20
	v_mul_u32_u24_e32 v20, 0x10001, v23
	v_mul_u32_u24_e32 v17, 0x10001, v17
	s_delay_alu instid0(VALU_DEP_4) | instskip(NEXT) | instid1(VALU_DEP_4)
	v_pk_fma_f16 v21, v6, v16, v4
	v_pk_fma_f16 v16, v7, v16, v5
	ds_load_2addr_b64 v[4:7], v54 offset0:144 offset1:168
	s_wait_dscnt 0x2
	v_pk_fma_f16 v12, v12, v20, v21
	v_pk_fma_f16 v13, v13, v20, v16
	v_lshrrev_b32_e32 v16, 16, v18
	v_mul_u32_u24_e32 v18, 0x10001, v24
	ds_load_2addr_b64 v[20:23], v54 offset0:192 offset1:216
	v_pk_fma_f16 v24, v14, v17, v12
	v_pk_fma_f16 v17, v15, v17, v13
	v_mul_u32_u24_e32 v16, 0x10001, v16
	ds_load_2addr_b64 v[12:15], v78 offset0:112 offset1:136
	s_wait_dscnt 0x3
	v_pk_fma_f16 v0, v0, v18, v24
	v_pk_fma_f16 v1, v1, v18, v17
	v_lshrrev_b32_e32 v17, 16, v19
	v_mul_u32_u24_e32 v18, 0x10001, v28
	v_and_b32_e32 v28, 0xffff, v8
	v_pk_fma_f16 v19, v2, v16, v0
	v_pk_fma_f16 v16, v3, v16, v1
	v_mul_u32_u24_e32 v17, 0x10001, v17
	v_lshrrev_b32_e32 v8, 16, v8
	ds_load_2addr_b64 v[24:27], v77 offset0:32 offset1:56
	s_wait_dscnt 0x3
	v_pk_fma_f16 v4, v4, v18, v19
	v_pk_fma_f16 v5, v5, v18, v16
	v_mul_u32_u24_e32 v16, 0x10001, v28
	ds_load_2addr_b64 v[0:3], v77 offset0:80 offset1:104
	s_wait_loadcnt_dscnt 0x0
	v_pk_fma_f16 v4, v6, v17, v4
	v_pk_fma_f16 v5, v7, v17, v5
	v_and_b32_e32 v6, 0xffff, v9
	v_mul_u32_u24_e32 v7, 0x10001, v8
	v_lshrrev_b32_e32 v8, 16, v9
	v_pk_fma_f16 v4, v20, v16, v4
	v_pk_fma_f16 v5, v21, v16, v5
	v_mul_u32_u24_e32 v6, 0x10001, v6
	s_barrier_signal -1
	v_mul_u32_u24_e32 v8, 0x10001, v8
	v_pk_fma_f16 v4, v22, v7, v4
	v_pk_fma_f16 v5, v23, v7, v5
	v_and_b32_e32 v7, 0xffff, v10
	s_barrier_wait -1
	global_inv scope:SCOPE_SE
	v_pk_fma_f16 v4, v12, v6, v4
	v_pk_fma_f16 v5, v13, v6, v5
	s_load_b32 s4, s[20:21], 0x4
	v_lshrrev_b32_e32 v6, 16, v10
	v_mul_u32_u24_e32 v7, 0x10001, v7
	v_pk_fma_f16 v4, v14, v8, v4
	v_pk_fma_f16 v5, v15, v8, v5
	v_and_b32_e32 v8, 0xffff, v11
	v_mul_u32_u24_e32 v6, 0x10001, v6
	s_delay_alu instid0(VALU_DEP_4) | instskip(NEXT) | instid1(VALU_DEP_4)
	v_pk_fma_f16 v4, v24, v7, v4
	v_pk_fma_f16 v5, v25, v7, v5
	v_lshrrev_b32_e32 v7, 16, v11
	v_mul_u32_u24_e32 v8, 0x10001, v8
	s_delay_alu instid0(VALU_DEP_4) | instskip(NEXT) | instid1(VALU_DEP_4)
	v_pk_fma_f16 v4, v26, v6, v4
	v_pk_fma_f16 v5, v27, v6, v5
	s_delay_alu instid0(VALU_DEP_4) | instskip(NEXT) | instid1(VALU_DEP_3)
	v_mul_u32_u24_e32 v6, 0x10001, v7
	v_pk_fma_f16 v0, v0, v8, v4
	s_delay_alu instid0(VALU_DEP_3)
	v_pk_fma_f16 v1, v1, v8, v5
	s_wait_kmcnt 0x0
	s_lshl_b32 s4, s4, 5
	s_wait_alu 0xfffe
	s_add_co_i32 s14, s4, s14
	v_pk_fma_f16 v62, v2, v6, v0
	v_pk_fma_f16 v70, v3, v6, v1
	s_wait_alu 0xfffe
	s_cmp_ge_i32 s14, s30
	s_cbranch_scc1 .LBB46_21
; %bb.20:                               ;   in Loop: Header=BB46_11 Depth=1
	v_mov_b32_e32 v76, v50
	v_mov_b32_e32 v74, v75
	s_branch .LBB46_11
.LBB46_21:
	v_mov_b32_e32 v1, v55
.LBB46_22:
	v_cmp_lt_i32_e32 vcc_lo, v61, v56
	s_cmp_lg_u64 s[12:13], 0
	s_cselect_b32 s3, -1, 0
	s_cmp_eq_u32 s10, 0
	s_wait_alu 0xfffd
	v_cndmask_b32_e32 v0, v1, v61, vcc_lo
	v_cmp_lt_i32_e32 vcc_lo, v60, v56
	s_cselect_b32 s4, -1, 0
	s_wait_alu 0xfffe
	s_and_b32 s3, s4, s3
	s_wait_alu 0xfffd
	v_cndmask_b32_e32 v2, v1, v60, vcc_lo
	v_cmp_lt_i32_e32 vcc_lo, v59, v56
	s_wait_alu 0xfffd
	s_delay_alu instid0(VALU_DEP_2) | instskip(SKIP_1) | instid1(VALU_DEP_2)
	v_dual_cndmask_b32 v3, v1, v59 :: v_dual_lshlrev_b32 v2, 2, v2
	v_cmp_lt_i32_e32 vcc_lo, v58, v56
	v_lshlrev_b32_e32 v3, 2, v3
	v_lshlrev_b32_e32 v0, 2, v0
	ds_bpermute_b32 v0, v0, v75
	s_wait_dscnt 0x0
	v_add_f32_e32 v0, v75, v0
	ds_bpermute_b32 v2, v2, v0
	s_wait_dscnt 0x0
	v_add_f32_e32 v0, v0, v2
	ds_bpermute_b32 v2, v3, v0
	s_wait_alu 0xfffd
	v_cndmask_b32_e32 v3, v1, v58, vcc_lo
	v_cmp_lt_i32_e32 vcc_lo, v57, v56
	s_delay_alu instid0(VALU_DEP_2)
	v_lshlrev_b32_e32 v3, 2, v3
	s_wait_alu 0xfffd
	v_cndmask_b32_e32 v1, v1, v57, vcc_lo
	s_wait_alu 0xfffe
	s_and_b32 vcc_lo, exec_lo, s3
	s_wait_dscnt 0x0
	s_delay_alu instid0(VALU_DEP_1)
	v_dual_add_f32 v0, v0, v2 :: v_dual_lshlrev_b32 v1, 2, v1
	ds_bpermute_b32 v2, v3, v0
	s_wait_dscnt 0x0
	v_add_f32_e32 v0, v0, v2
	ds_bpermute_b32 v1, v1, v0
	s_wait_dscnt 0x0
	v_add_f32_e32 v51, v0, v1
	s_wait_alu 0xfffe
	s_cbranch_vccz .LBB46_24
; %bb.23:
	v_add_nc_u32_e32 v0, s11, v52
	s_delay_alu instid0(VALU_DEP_1) | instskip(NEXT) | instid1(VALU_DEP_1)
	v_ashrrev_i32_e32 v1, 31, v0
	v_lshlrev_b64_e32 v[0:1], 2, v[0:1]
	s_delay_alu instid0(VALU_DEP_1) | instskip(SKIP_1) | instid1(VALU_DEP_2)
	v_add_co_u32 v0, vcc_lo, s12, v0
	s_wait_alu 0xfffd
	v_add_co_ci_u32_e64 v1, null, s13, v1, vcc_lo
	global_load_b32 v0, v[0:1], off
	s_wait_loadcnt 0x0
	v_dual_max_num_f32 v1, v50, v50 :: v_dual_max_num_f32 v2, v0, v0
	s_delay_alu instid0(VALU_DEP_1) | instskip(NEXT) | instid1(VALU_DEP_1)
	v_max_num_f32_e32 v1, v1, v2
	v_sub_f32_e32 v0, v0, v1
	s_delay_alu instid0(VALU_DEP_1) | instskip(SKIP_2) | instid1(VALU_DEP_3)
	v_mul_f32_e32 v6, 0x3fb8aa3b, v0
	v_sub_f32_e32 v2, v50, v1
	v_mov_b32_e32 v50, v1
	v_rndne_f32_e32 v8, v6
	s_delay_alu instid0(VALU_DEP_3) | instskip(NEXT) | instid1(VALU_DEP_1)
	v_mul_f32_e32 v3, 0x3fb8aa3b, v2
	v_fma_f32 v4, 0x3fb8aa3b, v2, -v3
	v_rndne_f32_e32 v5, v3
	s_delay_alu instid0(VALU_DEP_1) | instskip(SKIP_1) | instid1(VALU_DEP_2)
	v_dual_fmac_f32 v4, 0x32a5705f, v2 :: v_dual_sub_f32 v3, v3, v5
	v_cvt_i32_f32_e32 v5, v5
	v_add_f32_e32 v3, v3, v4
	v_cmp_ngt_f32_e32 vcc_lo, 0xc2ce8ed0, v2
	v_sub_f32_e32 v4, v6, v8
	s_delay_alu instid0(VALU_DEP_3) | instskip(NEXT) | instid1(TRANS32_DEP_1)
	v_exp_f32_e32 v3, v3
	v_ldexp_f32 v3, v3, v5
	v_cvt_i32_f32_e32 v5, v8
	s_wait_alu 0xfffd
	s_delay_alu instid0(VALU_DEP_2) | instskip(SKIP_2) | instid1(VALU_DEP_2)
	v_cndmask_b32_e32 v3, 0, v3, vcc_lo
	v_fma_f32 v7, 0x3fb8aa3b, v0, -v6
	v_cmp_nlt_f32_e32 vcc_lo, 0x42b17218, v2
	v_fmac_f32_e32 v7, 0x32a5705f, v0
	s_wait_alu 0xfffd
	v_cndmask_b32_e32 v2, 0x7f800000, v3, vcc_lo
	v_cmp_ngt_f32_e32 vcc_lo, 0xc2ce8ed0, v0
	s_delay_alu instid0(VALU_DEP_3) | instskip(NEXT) | instid1(VALU_DEP_1)
	v_add_f32_e32 v4, v4, v7
	v_exp_f32_e32 v4, v4
	s_delay_alu instid0(TRANS32_DEP_1) | instskip(SKIP_1) | instid1(VALU_DEP_1)
	v_ldexp_f32 v4, v4, v5
	s_wait_alu 0xfffd
	v_cndmask_b32_e32 v3, 0, v4, vcc_lo
	v_cmp_nlt_f32_e32 vcc_lo, 0x42b17218, v0
	s_wait_alu 0xfffd
	s_delay_alu instid0(VALU_DEP_2) | instskip(NEXT) | instid1(VALU_DEP_1)
	v_cndmask_b32_e32 v0, 0x7f800000, v3, vcc_lo
	v_fmac_f32_e32 v0, v51, v2
	s_delay_alu instid0(VALU_DEP_1) | instskip(SKIP_1) | instid1(VALU_DEP_1)
	v_mov_b32_e32 v51, v0
	v_cvt_f16_f32_e32 v4, v2
	v_and_b32_e32 v3, 0xffff, v4
	s_delay_alu instid0(VALU_DEP_1) | instskip(NEXT) | instid1(VALU_DEP_1)
	v_mul_u32_u24_e32 v2, 0x10001, v3
	v_pk_mul_f16 v62, v62, v2
	v_pk_mul_f16 v70, v70, v2
.LBB46_24:
	v_add_nc_u32_e32 v0, s31, v53
	s_mov_b32 s3, exec_lo
	s_delay_alu instid0(VALU_DEP_1)
	v_cmpx_gt_i32_e64 s22, v0
	s_cbranch_execz .LBB46_29
; %bb.25:
	v_mad_co_u64_u32 v[0:1], null, s28, s22, v[0:1]
	s_load_b32 s0, s[0:1], 0xd4
	v_mul_lo_u32 v0, v0, s23
	s_delay_alu instid0(VALU_DEP_1) | instskip(SKIP_2) | instid1(VALU_DEP_1)
	v_add3_u32 v0, s11, v52, v0
	s_wait_kmcnt 0x0
	s_cmp_lg_u32 s0, 1
	v_mad_co_u64_u32 v[0:1], null, s0, v0, s[10:11]
	s_cselect_b32 s0, -1, 0
	s_and_saveexec_b32 s1, s2
	s_cbranch_execz .LBB46_27
; %bb.26:
	v_div_scale_f32 v1, null, v51, v51, 1.0
	v_div_scale_f32 v4, vcc_lo, 1.0, v51, 1.0
	v_lshrrev_b32_e32 v6, 16, v62
	s_delay_alu instid0(VALU_DEP_3) | instskip(SKIP_1) | instid1(VALU_DEP_2)
	v_rcp_f32_e32 v2, v1
	v_cvt_f32_f16_e32 v9, v62
	v_cvt_f32_f16_e32 v8, v6
	s_delay_alu instid0(TRANS32_DEP_1) | instskip(NEXT) | instid1(VALU_DEP_1)
	v_fma_f32 v3, -v1, v2, 1.0
	v_fmac_f32_e32 v2, v3, v2
	s_delay_alu instid0(VALU_DEP_1) | instskip(NEXT) | instid1(VALU_DEP_1)
	v_mul_f32_e32 v3, v4, v2
	v_fma_f32 v5, -v1, v3, v4
	s_delay_alu instid0(VALU_DEP_1) | instskip(NEXT) | instid1(VALU_DEP_1)
	v_fmac_f32_e32 v3, v5, v2
	v_fma_f32 v1, -v1, v3, v4
	v_lshrrev_b32_e32 v4, 16, v70
	s_wait_alu 0xfffd
	s_delay_alu instid0(VALU_DEP_2) | instskip(SKIP_3) | instid1(VALU_DEP_4)
	v_div_fmas_f32 v1, v1, v2, v3
	v_mul_lo_u32 v3, 0x60, v0
	v_mov_b32_e32 v2, 0
	v_cvt_f32_f16_e32 v4, v4
	v_div_fixup_f32 v5, v1, v51, 1.0
	s_delay_alu instid0(VALU_DEP_4) | instskip(SKIP_1) | instid1(VALU_DEP_2)
	v_lshl_add_u32 v1, v40, 2, v3
	s_wait_alu 0xfffe
	v_cndmask_b32_e64 v7, v5, 1.0, s0
	v_cvt_f32_f16_e32 v3, v70
	s_delay_alu instid0(VALU_DEP_3) | instskip(NEXT) | instid1(VALU_DEP_3)
	v_lshlrev_b64_e32 v[5:6], 2, v[1:2]
	v_mul_f32_e32 v4, v7, v4
	s_delay_alu instid0(VALU_DEP_3)
	v_mul_f32_e32 v3, v7, v3
	v_mul_f32_e32 v2, v7, v8
	;; [unrolled: 1-line block ×3, first 2 shown]
	v_add_co_u32 v5, vcc_lo, s16, v5
	s_wait_alu 0xfffd
	v_add_co_ci_u32_e64 v6, null, s17, v6, vcc_lo
	global_store_b128 v[5:6], v[1:4], off
.LBB46_27:
	s_wait_alu 0xfffe
	s_or_b32 exec_lo, exec_lo, s1
	v_cmp_eq_u32_e32 vcc_lo, 0, v40
	s_and_b32 s0, vcc_lo, s0
	s_wait_alu 0xfffe
	s_and_b32 exec_lo, exec_lo, s0
	s_cbranch_execz .LBB46_29
; %bb.28:
	v_ashrrev_i32_e32 v1, 31, v0
	s_delay_alu instid0(VALU_DEP_1) | instskip(NEXT) | instid1(VALU_DEP_1)
	v_lshlrev_b64_e32 v[0:1], 3, v[0:1]
	v_add_co_u32 v0, vcc_lo, s18, v0
	s_wait_alu 0xfffd
	s_delay_alu instid0(VALU_DEP_2)
	v_add_co_ci_u32_e64 v1, null, s19, v1, vcc_lo
	global_store_b64 v[0:1], v[50:51], off
.LBB46_29:
	s_endpgm
	.section	.rodata,"a",@progbits
	.p2align	6, 0x0
	.amdhsa_kernel _ZL15flash_attn_tileILi96ELi96ELi2ELi2ELb0EEvPKcS1_S1_S1_S1_PKiPfP15HIP_vector_typeIfLj2EEffffjfiS5_IjLj3EEiiiiiiiiiiiliiliiiiil
		.amdhsa_group_segment_fixed_size 4736
		.amdhsa_private_segment_fixed_size 0
		.amdhsa_kernarg_size 464
		.amdhsa_user_sgpr_count 2
		.amdhsa_user_sgpr_dispatch_ptr 0
		.amdhsa_user_sgpr_queue_ptr 0
		.amdhsa_user_sgpr_kernarg_segment_ptr 1
		.amdhsa_user_sgpr_dispatch_id 0
		.amdhsa_user_sgpr_private_segment_size 0
		.amdhsa_wavefront_size32 1
		.amdhsa_uses_dynamic_stack 0
		.amdhsa_enable_private_segment 0
		.amdhsa_system_sgpr_workgroup_id_x 1
		.amdhsa_system_sgpr_workgroup_id_y 1
		.amdhsa_system_sgpr_workgroup_id_z 1
		.amdhsa_system_sgpr_workgroup_info 0
		.amdhsa_system_vgpr_workitem_id 1
		.amdhsa_next_free_vgpr 86
		.amdhsa_next_free_sgpr 48
		.amdhsa_reserve_vcc 1
		.amdhsa_float_round_mode_32 0
		.amdhsa_float_round_mode_16_64 0
		.amdhsa_float_denorm_mode_32 3
		.amdhsa_float_denorm_mode_16_64 3
		.amdhsa_fp16_overflow 0
		.amdhsa_workgroup_processor_mode 1
		.amdhsa_memory_ordered 1
		.amdhsa_forward_progress 1
		.amdhsa_inst_pref_size 45
		.amdhsa_round_robin_scheduling 0
		.amdhsa_exception_fp_ieee_invalid_op 0
		.amdhsa_exception_fp_denorm_src 0
		.amdhsa_exception_fp_ieee_div_zero 0
		.amdhsa_exception_fp_ieee_overflow 0
		.amdhsa_exception_fp_ieee_underflow 0
		.amdhsa_exception_fp_ieee_inexact 0
		.amdhsa_exception_int_div_zero 0
	.end_amdhsa_kernel
	.section	.text._ZL15flash_attn_tileILi96ELi96ELi2ELi2ELb0EEvPKcS1_S1_S1_S1_PKiPfP15HIP_vector_typeIfLj2EEffffjfiS5_IjLj3EEiiiiiiiiiiiliiliiiiil,"axG",@progbits,_ZL15flash_attn_tileILi96ELi96ELi2ELi2ELb0EEvPKcS1_S1_S1_S1_PKiPfP15HIP_vector_typeIfLj2EEffffjfiS5_IjLj3EEiiiiiiiiiiiliiliiiiil,comdat
.Lfunc_end46:
	.size	_ZL15flash_attn_tileILi96ELi96ELi2ELi2ELb0EEvPKcS1_S1_S1_S1_PKiPfP15HIP_vector_typeIfLj2EEffffjfiS5_IjLj3EEiiiiiiiiiiiliiliiiiil, .Lfunc_end46-_ZL15flash_attn_tileILi96ELi96ELi2ELi2ELb0EEvPKcS1_S1_S1_S1_PKiPfP15HIP_vector_typeIfLj2EEffffjfiS5_IjLj3EEiiiiiiiiiiiliiliiiiil
                                        ; -- End function
	.set _ZL15flash_attn_tileILi96ELi96ELi2ELi2ELb0EEvPKcS1_S1_S1_S1_PKiPfP15HIP_vector_typeIfLj2EEffffjfiS5_IjLj3EEiiiiiiiiiiiliiliiiiil.num_vgpr, 86
	.set _ZL15flash_attn_tileILi96ELi96ELi2ELi2ELb0EEvPKcS1_S1_S1_S1_PKiPfP15HIP_vector_typeIfLj2EEffffjfiS5_IjLj3EEiiiiiiiiiiiliiliiiiil.num_agpr, 0
	.set _ZL15flash_attn_tileILi96ELi96ELi2ELi2ELb0EEvPKcS1_S1_S1_S1_PKiPfP15HIP_vector_typeIfLj2EEffffjfiS5_IjLj3EEiiiiiiiiiiiliiliiiiil.numbered_sgpr, 48
	.set _ZL15flash_attn_tileILi96ELi96ELi2ELi2ELb0EEvPKcS1_S1_S1_S1_PKiPfP15HIP_vector_typeIfLj2EEffffjfiS5_IjLj3EEiiiiiiiiiiiliiliiiiil.num_named_barrier, 0
	.set _ZL15flash_attn_tileILi96ELi96ELi2ELi2ELb0EEvPKcS1_S1_S1_S1_PKiPfP15HIP_vector_typeIfLj2EEffffjfiS5_IjLj3EEiiiiiiiiiiiliiliiiiil.private_seg_size, 0
	.set _ZL15flash_attn_tileILi96ELi96ELi2ELi2ELb0EEvPKcS1_S1_S1_S1_PKiPfP15HIP_vector_typeIfLj2EEffffjfiS5_IjLj3EEiiiiiiiiiiiliiliiiiil.uses_vcc, 1
	.set _ZL15flash_attn_tileILi96ELi96ELi2ELi2ELb0EEvPKcS1_S1_S1_S1_PKiPfP15HIP_vector_typeIfLj2EEffffjfiS5_IjLj3EEiiiiiiiiiiiliiliiiiil.uses_flat_scratch, 0
	.set _ZL15flash_attn_tileILi96ELi96ELi2ELi2ELb0EEvPKcS1_S1_S1_S1_PKiPfP15HIP_vector_typeIfLj2EEffffjfiS5_IjLj3EEiiiiiiiiiiiliiliiiiil.has_dyn_sized_stack, 0
	.set _ZL15flash_attn_tileILi96ELi96ELi2ELi2ELb0EEvPKcS1_S1_S1_S1_PKiPfP15HIP_vector_typeIfLj2EEffffjfiS5_IjLj3EEiiiiiiiiiiiliiliiiiil.has_recursion, 0
	.set _ZL15flash_attn_tileILi96ELi96ELi2ELi2ELb0EEvPKcS1_S1_S1_S1_PKiPfP15HIP_vector_typeIfLj2EEffffjfiS5_IjLj3EEiiiiiiiiiiiliiliiiiil.has_indirect_call, 0
	.section	.AMDGPU.csdata,"",@progbits
; Kernel info:
; codeLenInByte = 5724
; TotalNumSgprs: 50
; NumVgprs: 86
; ScratchSize: 0
; MemoryBound: 0
; FloatMode: 240
; IeeeMode: 1
; LDSByteSize: 4736 bytes/workgroup (compile time only)
; SGPRBlocks: 0
; VGPRBlocks: 10
; NumSGPRsForWavesPerEU: 50
; NumVGPRsForWavesPerEU: 86
; Occupancy: 16
; WaveLimiterHint : 1
; COMPUTE_PGM_RSRC2:SCRATCH_EN: 0
; COMPUTE_PGM_RSRC2:USER_SGPR: 2
; COMPUTE_PGM_RSRC2:TRAP_HANDLER: 0
; COMPUTE_PGM_RSRC2:TGID_X_EN: 1
; COMPUTE_PGM_RSRC2:TGID_Y_EN: 1
; COMPUTE_PGM_RSRC2:TGID_Z_EN: 1
; COMPUTE_PGM_RSRC2:TIDIG_COMP_CNT: 1
	.section	.text._ZL33flash_attn_stream_k_fixup_uniformILi96ELi2ELi2EEvPfPK15HIP_vector_typeIfLj2EEiiiiiiS1_IjLj3EES5_S5_,"axG",@progbits,_ZL33flash_attn_stream_k_fixup_uniformILi96ELi2ELi2EEvPfPK15HIP_vector_typeIfLj2EEiiiiiiS1_IjLj3EES5_S5_,comdat
	.globl	_ZL33flash_attn_stream_k_fixup_uniformILi96ELi2ELi2EEvPfPK15HIP_vector_typeIfLj2EEiiiiiiS1_IjLj3EES5_S5_ ; -- Begin function _ZL33flash_attn_stream_k_fixup_uniformILi96ELi2ELi2EEvPfPK15HIP_vector_typeIfLj2EEiiiiiiS1_IjLj3EES5_S5_
	.p2align	8
	.type	_ZL33flash_attn_stream_k_fixup_uniformILi96ELi2ELi2EEvPfPK15HIP_vector_typeIfLj2EEiiiiiiS1_IjLj3EES5_S5_,@function
_ZL33flash_attn_stream_k_fixup_uniformILi96ELi2ELi2EEvPfPK15HIP_vector_typeIfLj2EEiiiiiiS1_IjLj3EES5_S5_: ; @_ZL33flash_attn_stream_k_fixup_uniformILi96ELi2ELi2EEvPfPK15HIP_vector_typeIfLj2EEiiiiiiS1_IjLj3EES5_S5_
; %bb.0:
	s_clause 0x1
	s_load_b256 s[4:11], s[0:1], 0x1c
	s_load_b128 s[12:15], s[0:1], 0x3c
	s_wait_kmcnt 0x0
	s_mul_hi_u32 s2, s7, ttmp9
	s_delay_alu instid0(SALU_CYCLE_1) | instskip(NEXT) | instid1(SALU_CYCLE_1)
	s_add_co_i32 s2, ttmp9, s2
	s_lshr_b32 s2, s2, s8
	s_delay_alu instid0(SALU_CYCLE_1) | instskip(SKIP_2) | instid1(SALU_CYCLE_1)
	s_mul_i32 s3, s2, s9
	s_load_b64 s[8:9], s[0:1], 0x10
	s_sub_co_i32 s3, ttmp9, s3
	s_mul_hi_u32 s7, s3, s10
	s_delay_alu instid0(SALU_CYCLE_1) | instskip(NEXT) | instid1(SALU_CYCLE_1)
	s_add_co_i32 s7, s3, s7
	s_lshr_b32 s7, s7, s11
	s_lshr_b32 s11, ttmp7, 16
	s_mul_i32 s10, s7, s12
	s_delay_alu instid0(SALU_CYCLE_1) | instskip(NEXT) | instid1(SALU_CYCLE_1)
	s_sub_co_i32 s3, s3, s10
	s_mul_hi_u32 s10, s3, s13
	s_delay_alu instid0(SALU_CYCLE_1) | instskip(NEXT) | instid1(SALU_CYCLE_1)
	s_add_co_i32 s10, s3, s10
	s_lshr_b32 s13, s10, s14
	s_delay_alu instid0(SALU_CYCLE_1) | instskip(SKIP_4) | instid1(SALU_CYCLE_1)
	s_mul_i32 s10, s13, s15
	s_lshl_b32 s13, s13, 1
	s_sub_co_i32 s12, s3, s10
	s_and_b32 s10, ttmp7, 0xffff
	s_lshl_b32 s3, s12, 1
	s_add_co_i32 s3, s3, s10
	s_wait_kmcnt 0x0
	s_cmp_lt_i32 s3, s8
	s_cselect_b32 s3, -1, 0
	s_add_co_i32 s13, s13, s11
	s_delay_alu instid0(SALU_CYCLE_1) | instskip(SKIP_1) | instid1(SALU_CYCLE_1)
	s_cmp_lt_i32 s13, s5
	s_cselect_b32 s14, -1, 0
	s_and_b32 s3, s3, s14
	s_delay_alu instid0(SALU_CYCLE_1)
	s_and_not1_b32 vcc_lo, exec_lo, s3
	s_cbranch_vccnz .LBB47_6
; %bb.1:
	s_mul_i32 s8, s2, s8
	s_mul_i32 s7, s7, s5
	s_add_co_i32 s8, s8, s10
	s_add_co_i32 s5, s13, s7
	s_mul_i32 s8, s8, s9
	s_load_b128 s[0:3], s[0:1], 0x0
	s_mul_i32 s7, s9, s12
	s_add_co_i32 s5, s5, s8
	s_mulk_i32 s7, 0xc0
	s_mulk_i32 s5, 0x60
	s_mul_i32 s8, s6, ttmp9
	v_add3_u32 v1, s5, s7, v0
	s_lshl_b32 s5, s10, 1
	s_add_co_i32 s9, s8, s6
	s_delay_alu instid0(SALU_CYCLE_1) | instskip(NEXT) | instid1(VALU_DEP_1)
	s_add_co_i32 s7, s9, -2
	v_ashrrev_i32_e32 v2, 31, v1
	s_delay_alu instid0(VALU_DEP_1) | instskip(SKIP_1) | instid1(VALU_DEP_1)
	v_lshlrev_b64_e32 v[1:2], 2, v[1:2]
	s_wait_kmcnt 0x0
	v_add_co_u32 v1, vcc_lo, s0, v1
	s_delay_alu instid0(VALU_DEP_1)
	v_add_co_ci_u32_e64 v2, null, s1, v2, vcc_lo
	s_wait_alu 0xfffe
	s_add_co_i32 s0, s5, s11
	s_lshl_b32 s1, s9, 2
	global_load_b32 v5, v[1:2], off
	s_wait_alu 0xfffe
	s_add_co_i32 s0, s0, s1
	s_wait_alu 0xfffe
	s_add_co_i32 s0, s0, -4
	s_wait_alu 0xfffe
	s_ashr_i32 s1, s0, 31
	s_wait_alu 0xfffe
	s_lshl_b64 s[0:1], s[0:1], 3
	s_cmp_lt_i32 s7, s8
	s_wait_alu 0xfffe
	s_add_nc_u64 s[0:1], s[2:3], s[0:1]
	s_load_b32 s12, s[0:1], 0x4
	s_cbranch_scc1 .LBB47_4
; %bb.2:
	s_load_b32 s0, s[0:1], 0x0
	s_add_co_i32 s1, ttmp9, 1
	s_mulk_i32 s10, 0xc0
	s_wait_alu 0xfffe
	s_mul_i32 s1, s6, s1
	s_lshl_b32 s14, s4, 4
	s_wait_alu 0xfffe
	s_lshl_b32 s13, s1, 2
	s_mulk_i32 s1, 0x180
	s_add_co_i32 s13, s11, s13
	s_mulk_i32 s11, 0x60
	s_lshl_b32 s4, s4, 2
	s_add_co_i32 s10, s11, s10
	s_ashr_i32 s15, s14, 31
	s_wait_alu 0xfffe
	s_add_co_i32 s10, s10, s1
	s_add_co_i32 s1, s13, s4
	v_add3_u32 v3, s10, v0, 0xfffffd00
	s_wait_kmcnt 0x0
	v_mov_b32_e32 v6, s12
	s_lshl_b64 s[6:7], s[14:15], 2
	s_wait_alu 0xfffe
	s_add_co_i32 s4, s1, s5
	s_add_nc_u64 s[6:7], s[2:3], s[6:7]
	s_add_co_i32 s1, s9, -1
	s_wait_alu 0xfffe
	s_add_co_i32 s4, s4, -8
.LBB47_3:                               ; =>This Inner Loop Header: Depth=1
	v_ashrrev_i32_e32 v4, 31, v3
	s_wait_alu 0xfffe
	s_ashr_i32 s5, s4, 31
	v_mov_b32_e32 v10, v6
	s_wait_alu 0xfffe
	s_lshl_b64 s[10:11], s[4:5], 3
	s_wait_loadcnt 0x0
	v_mov_b32_e32 v9, v5
	v_lshlrev_b64_e32 v[7:8], 2, v[3:4]
	s_wait_alu 0xfffe
	s_add_nc_u64 s[10:11], s[2:3], s[10:11]
	v_max_num_f32_e64 v4, s0, s0
	s_load_b64 s[10:11], s[10:11], 0x0
	v_add_nc_u32_e32 v3, 0xfffffe80, v3
	v_add_co_u32 v7, vcc_lo, s6, v7
	s_wait_alu 0xfffd
	v_add_co_ci_u32_e64 v8, null, s7, v8, vcc_lo
	v_readfirstlane_b32 s5, v4
	global_load_b32 v0, v[7:8], off
	s_wait_kmcnt 0x0
	v_max_num_f32_e64 v4, s10, s10
	s_delay_alu instid0(VALU_DEP_1) | instskip(SKIP_2) | instid1(SALU_CYCLE_2)
	v_readfirstlane_b32 s9, v4
	s_max_num_f32 s5, s5, s9
	s_wait_alu 0xfffe
	s_sub_f32 s0, s0, s5
	s_sub_f32 s9, s10, s5
	s_wait_alu 0xfffe
	s_delay_alu instid0(SALU_CYCLE_1) | instskip(NEXT) | instid1(SALU_CYCLE_1)
	s_mul_f32 s10, s0, 0x3fb8aa3b
	s_mul_f32 s12, s9, 0x3fb8aa3b
	s_wait_alu 0xfffe
	s_delay_alu instid0(SALU_CYCLE_1)
	s_xor_b32 s13, s10, 0x80000000
	s_rndne_f32 s14, s10
	s_wait_alu 0xfffe
	s_fmamk_f32 s13, s0, 0x3fb8aa3b, s13
	s_cmp_nlt_f32 s0, 0xc2ce8ed0
	s_rndne_f32 s15, s12
	s_sub_f32 s10, s10, s14
	s_wait_alu 0xfffe
	s_fmamk_f32 s13, s0, 0x32a5705f, s13
	s_cvt_i32_f32 s14, s14
	s_cselect_b32 vcc_lo, -1, 0
	s_cmp_ngt_f32 s0, 0x42b17218
	s_wait_alu 0xfffe
	s_add_f32 s10, s10, s13
	s_sub_f32 s13, s12, s15
	s_wait_alu 0xfffe
	s_delay_alu instid0(SALU_CYCLE_1) | instskip(SKIP_1) | instid1(TRANS32_DEP_1)
	v_s_exp_f32 s10, s10
	s_wait_alu 0xf1ff
	v_ldexp_f32 v4, s10, s14
	s_cvt_i32_f32 s10, s15
	s_delay_alu instid0(VALU_DEP_1) | instskip(SKIP_3) | instid1(VALU_DEP_1)
	v_cndmask_b32_e32 v4, 0, v4, vcc_lo
	s_cselect_b32 vcc_lo, -1, 0
	s_cmp_ge_f32 s0, 0xc1a00000
	s_wait_alu 0xfffe
	v_cndmask_b32_e32 v4, 0x7f800000, v4, vcc_lo
	s_cselect_b32 vcc_lo, -1, 0
	s_xor_b32 s0, s12, 0x80000000
	s_cmp_nlt_f32 s9, 0xc2ce8ed0
	s_wait_alu 0xfffe
	s_fmamk_f32 s0, s9, 0x3fb8aa3b, s0
	s_wait_alu 0xfffe
	s_delay_alu instid0(SALU_CYCLE_2) | instskip(SKIP_1) | instid1(SALU_CYCLE_2)
	s_fmamk_f32 s0, s9, 0x32a5705f, s0
	s_wait_alu 0xfffe
	s_add_f32 s0, s13, s0
	s_wait_alu 0xfffe
	s_delay_alu instid0(SALU_CYCLE_2) | instskip(SKIP_1) | instid1(TRANS32_DEP_1)
	v_s_exp_f32 s0, s0
	s_wait_alu 0xf1ff
	v_ldexp_f32 v7, s0, s10
	s_cselect_b32 s0, -1, 0
	s_cmp_ngt_f32 s9, 0x42b17218
	s_wait_alu 0xfffe
	s_delay_alu instid0(VALU_DEP_1) | instskip(SKIP_3) | instid1(VALU_DEP_1)
	v_cndmask_b32_e64 v7, 0, v7, s0
	s_cselect_b32 s0, -1, 0
	s_cmp_ge_f32 s9, 0xc1a00000
	s_wait_alu 0xfffe
	v_cndmask_b32_e64 v7, 0x7f800000, v7, s0
	s_cselect_b32 s0, -1, 0
	s_add_co_i32 s1, s1, -1
	s_add_co_i32 s4, s4, -4
	s_wait_alu 0xfffe
	s_cmp_le_i32 s1, s8
	v_cndmask_b32_e64 v7, 0, v7, s0
	s_mov_b32 s0, s5
	s_wait_loadcnt 0x0
	s_delay_alu instid0(VALU_DEP_1) | instskip(NEXT) | instid1(VALU_DEP_1)
	v_dual_mul_f32 v5, v0, v7 :: v_dual_cndmask_b32 v4, 0, v4
	v_dual_mul_f32 v8, s11, v7 :: v_dual_fmac_f32 v5, v9, v4
	s_delay_alu instid0(VALU_DEP_1) | instskip(NEXT) | instid1(VALU_DEP_1)
	v_mov_b32_e32 v6, v8
	v_fmac_f32_e32 v6, v10, v4
	s_cbranch_scc0 .LBB47_3
	s_branch .LBB47_5
.LBB47_4:
	s_wait_kmcnt 0x0
	v_mov_b32_e32 v6, s12
.LBB47_5:
	s_wait_loadcnt 0x0
	s_delay_alu instid0(VALU_DEP_1) | instskip(NEXT) | instid1(VALU_DEP_1)
	v_div_scale_f32 v0, null, v6, v6, v5
	v_rcp_f32_e32 v3, v0
	s_delay_alu instid0(TRANS32_DEP_1) | instskip(NEXT) | instid1(VALU_DEP_1)
	v_fma_f32 v4, -v0, v3, 1.0
	v_fmac_f32_e32 v3, v4, v3
	v_div_scale_f32 v4, vcc_lo, v5, v6, v5
	s_delay_alu instid0(VALU_DEP_1) | instskip(NEXT) | instid1(VALU_DEP_1)
	v_mul_f32_e32 v7, v4, v3
	v_fma_f32 v8, -v0, v7, v4
	s_delay_alu instid0(VALU_DEP_1) | instskip(NEXT) | instid1(VALU_DEP_1)
	v_fmac_f32_e32 v7, v8, v3
	v_fma_f32 v0, -v0, v7, v4
	s_wait_alu 0xfffd
	s_delay_alu instid0(VALU_DEP_1) | instskip(NEXT) | instid1(VALU_DEP_1)
	v_div_fmas_f32 v0, v0, v3, v7
	v_div_fixup_f32 v0, v0, v6, v5
	global_store_b32 v[1:2], v0, off
.LBB47_6:
	s_endpgm
	.section	.rodata,"a",@progbits
	.p2align	6, 0x0
	.amdhsa_kernel _ZL33flash_attn_stream_k_fixup_uniformILi96ELi2ELi2EEvPfPK15HIP_vector_typeIfLj2EEiiiiiiS1_IjLj3EES5_S5_
		.amdhsa_group_segment_fixed_size 0
		.amdhsa_private_segment_fixed_size 0
		.amdhsa_kernarg_size 76
		.amdhsa_user_sgpr_count 2
		.amdhsa_user_sgpr_dispatch_ptr 0
		.amdhsa_user_sgpr_queue_ptr 0
		.amdhsa_user_sgpr_kernarg_segment_ptr 1
		.amdhsa_user_sgpr_dispatch_id 0
		.amdhsa_user_sgpr_private_segment_size 0
		.amdhsa_wavefront_size32 1
		.amdhsa_uses_dynamic_stack 0
		.amdhsa_enable_private_segment 0
		.amdhsa_system_sgpr_workgroup_id_x 1
		.amdhsa_system_sgpr_workgroup_id_y 1
		.amdhsa_system_sgpr_workgroup_id_z 1
		.amdhsa_system_sgpr_workgroup_info 0
		.amdhsa_system_vgpr_workitem_id 0
		.amdhsa_next_free_vgpr 11
		.amdhsa_next_free_sgpr 16
		.amdhsa_reserve_vcc 1
		.amdhsa_float_round_mode_32 0
		.amdhsa_float_round_mode_16_64 0
		.amdhsa_float_denorm_mode_32 3
		.amdhsa_float_denorm_mode_16_64 3
		.amdhsa_fp16_overflow 0
		.amdhsa_workgroup_processor_mode 1
		.amdhsa_memory_ordered 1
		.amdhsa_forward_progress 1
		.amdhsa_inst_pref_size 9
		.amdhsa_round_robin_scheduling 0
		.amdhsa_exception_fp_ieee_invalid_op 0
		.amdhsa_exception_fp_denorm_src 0
		.amdhsa_exception_fp_ieee_div_zero 0
		.amdhsa_exception_fp_ieee_overflow 0
		.amdhsa_exception_fp_ieee_underflow 0
		.amdhsa_exception_fp_ieee_inexact 0
		.amdhsa_exception_int_div_zero 0
	.end_amdhsa_kernel
	.section	.text._ZL33flash_attn_stream_k_fixup_uniformILi96ELi2ELi2EEvPfPK15HIP_vector_typeIfLj2EEiiiiiiS1_IjLj3EES5_S5_,"axG",@progbits,_ZL33flash_attn_stream_k_fixup_uniformILi96ELi2ELi2EEvPfPK15HIP_vector_typeIfLj2EEiiiiiiS1_IjLj3EES5_S5_,comdat
.Lfunc_end47:
	.size	_ZL33flash_attn_stream_k_fixup_uniformILi96ELi2ELi2EEvPfPK15HIP_vector_typeIfLj2EEiiiiiiS1_IjLj3EES5_S5_, .Lfunc_end47-_ZL33flash_attn_stream_k_fixup_uniformILi96ELi2ELi2EEvPfPK15HIP_vector_typeIfLj2EEiiiiiiS1_IjLj3EES5_S5_
                                        ; -- End function
	.set _ZL33flash_attn_stream_k_fixup_uniformILi96ELi2ELi2EEvPfPK15HIP_vector_typeIfLj2EEiiiiiiS1_IjLj3EES5_S5_.num_vgpr, 11
	.set _ZL33flash_attn_stream_k_fixup_uniformILi96ELi2ELi2EEvPfPK15HIP_vector_typeIfLj2EEiiiiiiS1_IjLj3EES5_S5_.num_agpr, 0
	.set _ZL33flash_attn_stream_k_fixup_uniformILi96ELi2ELi2EEvPfPK15HIP_vector_typeIfLj2EEiiiiiiS1_IjLj3EES5_S5_.numbered_sgpr, 16
	.set _ZL33flash_attn_stream_k_fixup_uniformILi96ELi2ELi2EEvPfPK15HIP_vector_typeIfLj2EEiiiiiiS1_IjLj3EES5_S5_.num_named_barrier, 0
	.set _ZL33flash_attn_stream_k_fixup_uniformILi96ELi2ELi2EEvPfPK15HIP_vector_typeIfLj2EEiiiiiiS1_IjLj3EES5_S5_.private_seg_size, 0
	.set _ZL33flash_attn_stream_k_fixup_uniformILi96ELi2ELi2EEvPfPK15HIP_vector_typeIfLj2EEiiiiiiS1_IjLj3EES5_S5_.uses_vcc, 1
	.set _ZL33flash_attn_stream_k_fixup_uniformILi96ELi2ELi2EEvPfPK15HIP_vector_typeIfLj2EEiiiiiiS1_IjLj3EES5_S5_.uses_flat_scratch, 0
	.set _ZL33flash_attn_stream_k_fixup_uniformILi96ELi2ELi2EEvPfPK15HIP_vector_typeIfLj2EEiiiiiiS1_IjLj3EES5_S5_.has_dyn_sized_stack, 0
	.set _ZL33flash_attn_stream_k_fixup_uniformILi96ELi2ELi2EEvPfPK15HIP_vector_typeIfLj2EEiiiiiiS1_IjLj3EES5_S5_.has_recursion, 0
	.set _ZL33flash_attn_stream_k_fixup_uniformILi96ELi2ELi2EEvPfPK15HIP_vector_typeIfLj2EEiiiiiiS1_IjLj3EES5_S5_.has_indirect_call, 0
	.section	.AMDGPU.csdata,"",@progbits
; Kernel info:
; codeLenInByte = 1148
; TotalNumSgprs: 18
; NumVgprs: 11
; ScratchSize: 0
; MemoryBound: 0
; FloatMode: 240
; IeeeMode: 1
; LDSByteSize: 0 bytes/workgroup (compile time only)
; SGPRBlocks: 0
; VGPRBlocks: 1
; NumSGPRsForWavesPerEU: 18
; NumVGPRsForWavesPerEU: 11
; Occupancy: 16
; WaveLimiterHint : 0
; COMPUTE_PGM_RSRC2:SCRATCH_EN: 0
; COMPUTE_PGM_RSRC2:USER_SGPR: 2
; COMPUTE_PGM_RSRC2:TRAP_HANDLER: 0
; COMPUTE_PGM_RSRC2:TGID_X_EN: 1
; COMPUTE_PGM_RSRC2:TGID_Y_EN: 1
; COMPUTE_PGM_RSRC2:TGID_Z_EN: 1
; COMPUTE_PGM_RSRC2:TIDIG_COMP_CNT: 0
	.section	.text._ZL33flash_attn_stream_k_fixup_generalILi96ELi2ELi2EEvPfPK15HIP_vector_typeIfLj2EEiiiiS1_IjLj3EES5_S5_S5_,"axG",@progbits,_ZL33flash_attn_stream_k_fixup_generalILi96ELi2ELi2EEvPfPK15HIP_vector_typeIfLj2EEiiiiS1_IjLj3EES5_S5_S5_,comdat
	.globl	_ZL33flash_attn_stream_k_fixup_generalILi96ELi2ELi2EEvPfPK15HIP_vector_typeIfLj2EEiiiiS1_IjLj3EES5_S5_S5_ ; -- Begin function _ZL33flash_attn_stream_k_fixup_generalILi96ELi2ELi2EEvPfPK15HIP_vector_typeIfLj2EEiiiiS1_IjLj3EES5_S5_S5_
	.p2align	8
	.type	_ZL33flash_attn_stream_k_fixup_generalILi96ELi2ELi2EEvPfPK15HIP_vector_typeIfLj2EEiiiiS1_IjLj3EES5_S5_S5_,@function
_ZL33flash_attn_stream_k_fixup_generalILi96ELi2ELi2EEvPfPK15HIP_vector_typeIfLj2EEiiiiS1_IjLj3EES5_S5_S5_: ; @_ZL33flash_attn_stream_k_fixup_generalILi96ELi2ELi2EEvPfPK15HIP_vector_typeIfLj2EEiiiiS1_IjLj3EES5_S5_S5_
; %bb.0:
	s_clause 0x1
	s_load_b128 s[4:7], s[0:1], 0x10
	s_load_b32 s16, s[0:1], 0x50
	s_mov_b32 s2, ttmp9
	s_ashr_i32 s3, ttmp9, 31
	s_mov_b32 s17, 0
	s_delay_alu instid0(SALU_CYCLE_1) | instskip(SKIP_3) | instid1(SALU_CYCLE_1)
	s_mov_b32 s8, s17
	s_wait_kmcnt 0x0
	s_ashr_i32 s19, s7, 31
	s_mov_b32 s18, s7
	s_mul_u64 s[2:3], s[18:19], s[2:3]
	s_delay_alu instid0(SALU_CYCLE_1) | instskip(NEXT) | instid1(SALU_CYCLE_1)
	s_mov_b32 s9, s3
	s_cmp_lg_u64 s[8:9], 0
	s_cbranch_scc0 .LBB48_21
; %bb.1:
	s_add_nc_u64 s[8:9], s[16:17], 0
	s_mov_b32 s15, s17
	s_xor_b64 s[8:9], s[8:9], 0
	s_mov_b32 s23, s17
	s_cvt_f32_u32 s7, s8
	s_cvt_f32_u32 s10, s9
	s_sub_nc_u64 s[12:13], 0, s[8:9]
	s_delay_alu instid0(SALU_CYCLE_2) | instskip(NEXT) | instid1(SALU_CYCLE_3)
	s_fmamk_f32 s7, s10, 0x4f800000, s7
	v_s_rcp_f32 s7, s7
	s_delay_alu instid0(TRANS32_DEP_1) | instskip(SKIP_1) | instid1(SALU_CYCLE_2)
	s_mul_f32 s7, s7, 0x5f7ffffc
	s_wait_alu 0xfffe
	s_mul_f32 s10, s7, 0x2f800000
	s_delay_alu instid0(SALU_CYCLE_3) | instskip(NEXT) | instid1(SALU_CYCLE_3)
	s_trunc_f32 s10, s10
	s_fmamk_f32 s7, s10, 0xcf800000, s7
	s_cvt_u32_f32 s11, s10
	s_wait_alu 0xfffe
	s_delay_alu instid0(SALU_CYCLE_1) | instskip(NEXT) | instid1(SALU_CYCLE_3)
	s_cvt_u32_f32 s10, s7
	s_mul_u64 s[20:21], s[12:13], s[10:11]
	s_delay_alu instid0(SALU_CYCLE_1)
	s_mul_hi_u32 s25, s10, s21
	s_mul_i32 s24, s10, s21
	s_mul_hi_u32 s14, s10, s20
	s_mul_i32 s22, s11, s20
	s_add_nc_u64 s[14:15], s[14:15], s[24:25]
	s_mul_hi_u32 s7, s11, s20
	s_mul_hi_u32 s26, s11, s21
	s_add_co_u32 s14, s14, s22
	s_wait_alu 0xfffe
	s_add_co_ci_u32 s22, s15, s7
	s_mul_i32 s20, s11, s21
	s_add_co_ci_u32 s21, s26, 0
	s_delay_alu instid0(SALU_CYCLE_1)
	s_add_nc_u64 s[14:15], s[22:23], s[20:21]
	s_mov_b32 s21, s17
	s_add_co_u32 s10, s10, s14
	s_cselect_b32 s7, -1, 0
	s_wait_alu 0xfffe
	s_cmp_lg_u32 s7, 0
	s_add_co_ci_u32 s11, s11, s15
	s_mov_b32 s15, s17
	s_mul_u64 s[12:13], s[12:13], s[10:11]
	s_delay_alu instid0(SALU_CYCLE_1)
	s_mul_hi_u32 s23, s10, s13
	s_mul_i32 s22, s10, s13
	s_mul_hi_u32 s14, s10, s12
	s_mul_i32 s20, s11, s12
	s_add_nc_u64 s[14:15], s[14:15], s[22:23]
	s_mul_hi_u32 s7, s11, s12
	s_mul_hi_u32 s24, s11, s13
	s_mul_i32 s12, s11, s13
	s_add_co_u32 s13, s14, s20
	s_wait_alu 0xfffe
	s_add_co_ci_u32 s20, s15, s7
	s_add_co_ci_u32 s13, s24, 0
	s_mov_b32 s15, s17
	s_add_nc_u64 s[12:13], s[20:21], s[12:13]
	s_delay_alu instid0(SALU_CYCLE_1) | instskip(SKIP_1) | instid1(SALU_CYCLE_1)
	s_add_co_u32 s7, s10, s12
	s_cselect_b32 s10, -1, 0
	s_cmp_lg_u32 s10, 0
	s_add_co_ci_u32 s20, s11, s13
	s_ashr_i32 s10, s3, 31
	s_delay_alu instid0(SALU_CYCLE_1) | instskip(NEXT) | instid1(SALU_CYCLE_1)
	s_mov_b32 s11, s10
	s_add_nc_u64 s[12:13], s[2:3], s[10:11]
	s_delay_alu instid0(SALU_CYCLE_1) | instskip(NEXT) | instid1(SALU_CYCLE_1)
	s_xor_b64 s[12:13], s[12:13], s[10:11]
	s_mul_hi_u32 s23, s12, s20
	s_mul_i32 s22, s12, s20
	s_wait_alu 0xfffe
	s_mul_hi_u32 s14, s12, s7
	s_mul_hi_u32 s24, s13, s7
	s_mul_i32 s7, s13, s7
	s_add_nc_u64 s[14:15], s[14:15], s[22:23]
	s_mul_hi_u32 s3, s13, s20
	s_wait_alu 0xfffe
	s_add_co_u32 s7, s14, s7
	s_mul_i32 s22, s13, s20
	s_add_co_ci_u32 s20, s15, s24
	s_add_co_ci_u32 s23, s3, 0
	s_delay_alu instid0(SALU_CYCLE_1) | instskip(NEXT) | instid1(SALU_CYCLE_1)
	s_add_nc_u64 s[14:15], s[20:21], s[22:23]
	s_mul_u64 s[20:21], s[8:9], s[14:15]
	s_delay_alu instid0(SALU_CYCLE_1)
	s_sub_co_u32 s3, s12, s20
	s_cselect_b32 s7, -1, 0
	s_sub_co_i32 s12, s13, s21
	s_wait_alu 0xfffe
	s_cmp_lg_u32 s7, 0
	s_sub_co_ci_u32 s12, s12, s9
	s_sub_co_u32 s20, s3, s8
	s_cselect_b32 s22, -1, 0
	s_delay_alu instid0(SALU_CYCLE_1) | instskip(SKIP_2) | instid1(SALU_CYCLE_1)
	s_cmp_lg_u32 s22, 0
	s_add_nc_u64 s[22:23], s[14:15], 1
	s_sub_co_ci_u32 s12, s12, 0
	s_cmp_ge_u32 s12, s9
	s_cselect_b32 s24, -1, 0
	s_cmp_ge_u32 s20, s8
	s_cselect_b32 s20, -1, 0
	s_cmp_eq_u32 s12, s9
	s_cselect_b32 s12, s20, s24
	s_add_nc_u64 s[24:25], s[14:15], 2
	s_cmp_lg_u32 s12, 0
	s_cselect_b32 s12, s24, s22
	s_cselect_b32 s20, s25, s23
	s_cmp_lg_u32 s7, 0
	s_sub_co_ci_u32 s7, s13, s21
	s_wait_alu 0xfffe
	s_cmp_ge_u32 s7, s9
	s_cselect_b32 s13, -1, 0
	s_cmp_ge_u32 s3, s8
	s_cselect_b32 s3, -1, 0
	s_cmp_eq_u32 s7, s9
	s_cselect_b32 s3, s3, s13
	s_delay_alu instid0(SALU_CYCLE_1) | instskip(SKIP_4) | instid1(SALU_CYCLE_1)
	s_cmp_lg_u32 s3, 0
	s_mov_b32 s3, s17
	s_cselect_b32 s9, s20, s15
	s_cselect_b32 s8, s12, s14
	s_xor_b64 s[10:11], s[10:11], 0
	s_xor_b64 s[8:9], s[8:9], s[10:11]
	s_delay_alu instid0(SALU_CYCLE_1)
	s_sub_nc_u64 s[20:21], s[8:9], s[10:11]
	s_and_not1_b32 vcc_lo, exec_lo, s3
	s_cbranch_vccnz .LBB48_3
.LBB48_2:
	v_cvt_f32_u32_e32 v1, s16
	s_sub_co_i32 s7, 0, s16
	s_delay_alu instid0(VALU_DEP_1) | instskip(NEXT) | instid1(TRANS32_DEP_1)
	v_rcp_iflag_f32_e32 v1, v1
	v_mul_f32_e32 v1, 0x4f7ffffe, v1
	s_delay_alu instid0(VALU_DEP_1) | instskip(NEXT) | instid1(VALU_DEP_1)
	v_cvt_u32_f32_e32 v1, v1
	v_readfirstlane_b32 s3, v1
	s_wait_alu 0xfffe
	s_mul_i32 s7, s7, s3
	s_wait_alu 0xfffe
	s_mul_hi_u32 s7, s3, s7
	s_wait_alu 0xfffe
	s_add_co_i32 s3, s3, s7
	s_delay_alu instid0(SALU_CYCLE_1) | instskip(NEXT) | instid1(SALU_CYCLE_1)
	s_mul_hi_u32 s3, s2, s3
	s_mul_i32 s7, s3, s16
	s_wait_alu 0xfffe
	s_sub_co_i32 s2, s2, s7
	s_add_co_i32 s7, s3, 1
	s_sub_co_i32 s8, s2, s16
	s_cmp_ge_u32 s2, s16
	s_wait_alu 0xfffe
	s_cselect_b32 s3, s7, s3
	s_cselect_b32 s2, s8, s2
	s_add_co_i32 s7, s3, 1
	s_cmp_ge_u32 s2, s16
	s_wait_alu 0xfffe
	s_cselect_b32 s20, s7, s3
.LBB48_3:
	s_add_co_i32 s2, ttmp9, 1
	s_mov_b32 s8, 0
	s_ashr_i32 s3, s2, 31
	s_delay_alu instid0(SALU_CYCLE_1) | instskip(NEXT) | instid1(SALU_CYCLE_1)
	s_mul_u64 s[2:3], s[18:19], s[2:3]
	s_mov_b32 s9, s3
	s_delay_alu instid0(SALU_CYCLE_1)
	s_cmp_lg_u64 s[8:9], 0
	s_cbranch_scc0 .LBB48_22
; %bb.4:
	s_add_nc_u64 s[10:11], s[16:17], 0
	s_mov_b32 s23, s8
	s_xor_b64 s[10:11], s[10:11], 0
	s_mov_b32 s27, s8
	s_cvt_f32_u32 s7, s10
	s_cvt_f32_u32 s9, s11
	s_sub_nc_u64 s[14:15], 0, s[10:11]
	s_wait_alu 0xfffe
	s_delay_alu instid0(SALU_CYCLE_1) | instskip(SKIP_1) | instid1(SALU_CYCLE_2)
	s_fmamk_f32 s7, s9, 0x4f800000, s7
	s_wait_alu 0xfffe
	v_s_rcp_f32 s7, s7
	s_delay_alu instid0(TRANS32_DEP_1) | instskip(SKIP_1) | instid1(SALU_CYCLE_2)
	s_mul_f32 s7, s7, 0x5f7ffffc
	s_wait_alu 0xfffe
	s_mul_f32 s9, s7, 0x2f800000
	s_delay_alu instid0(SALU_CYCLE_3) | instskip(NEXT) | instid1(SALU_CYCLE_3)
	s_trunc_f32 s9, s9
	s_fmamk_f32 s7, s9, 0xcf800000, s7
	s_cvt_u32_f32 s13, s9
	s_wait_alu 0xfffe
	s_delay_alu instid0(SALU_CYCLE_1) | instskip(NEXT) | instid1(SALU_CYCLE_3)
	s_cvt_u32_f32 s12, s7
	s_mul_u64 s[24:25], s[14:15], s[12:13]
	s_delay_alu instid0(SALU_CYCLE_1)
	s_mul_hi_u32 s29, s12, s25
	s_mul_i32 s28, s12, s25
	s_mul_hi_u32 s22, s12, s24
	s_mul_i32 s9, s13, s24
	s_add_nc_u64 s[22:23], s[22:23], s[28:29]
	s_mul_hi_u32 s7, s13, s24
	s_mul_hi_u32 s21, s13, s25
	s_add_co_u32 s9, s22, s9
	s_wait_alu 0xfffe
	s_add_co_ci_u32 s26, s23, s7
	s_mul_i32 s24, s13, s25
	s_add_co_ci_u32 s25, s21, 0
	s_delay_alu instid0(SALU_CYCLE_1)
	s_add_nc_u64 s[22:23], s[26:27], s[24:25]
	s_mov_b32 s25, s8
	s_add_co_u32 s12, s12, s22
	s_cselect_b32 s7, -1, 0
	s_wait_alu 0xfffe
	s_cmp_lg_u32 s7, 0
	s_add_co_ci_u32 s13, s13, s23
	s_mov_b32 s23, s8
	s_mul_u64 s[14:15], s[14:15], s[12:13]
	s_delay_alu instid0(SALU_CYCLE_1)
	s_mul_hi_u32 s27, s12, s15
	s_mul_i32 s26, s12, s15
	s_mul_hi_u32 s22, s12, s14
	s_mul_i32 s9, s13, s14
	s_add_nc_u64 s[22:23], s[22:23], s[26:27]
	s_mul_hi_u32 s7, s13, s14
	s_mul_hi_u32 s21, s13, s15
	s_add_co_u32 s9, s22, s9
	s_wait_alu 0xfffe
	s_add_co_ci_u32 s24, s23, s7
	s_mul_i32 s14, s13, s15
	s_add_co_ci_u32 s15, s21, 0
	s_mov_b32 s23, s8
	s_add_nc_u64 s[14:15], s[24:25], s[14:15]
	s_delay_alu instid0(SALU_CYCLE_1) | instskip(SKIP_1) | instid1(SALU_CYCLE_1)
	s_add_co_u32 s7, s12, s14
	s_cselect_b32 s9, -1, 0
	s_cmp_lg_u32 s9, 0
	s_add_co_ci_u32 s9, s13, s15
	s_ashr_i32 s12, s3, 31
	s_delay_alu instid0(SALU_CYCLE_1) | instskip(NEXT) | instid1(SALU_CYCLE_1)
	s_mov_b32 s13, s12
	s_add_nc_u64 s[14:15], s[2:3], s[12:13]
	s_delay_alu instid0(SALU_CYCLE_1) | instskip(NEXT) | instid1(SALU_CYCLE_1)
	s_xor_b64 s[14:15], s[14:15], s[12:13]
	s_mul_hi_u32 s27, s14, s9
	s_mul_i32 s26, s14, s9
	s_wait_alu 0xfffe
	s_mul_hi_u32 s22, s14, s7
	s_mul_hi_u32 s21, s15, s7
	s_mul_i32 s7, s15, s7
	s_add_nc_u64 s[22:23], s[22:23], s[26:27]
	s_mul_hi_u32 s3, s15, s9
	s_wait_alu 0xfffe
	s_add_co_u32 s7, s22, s7
	s_add_co_ci_u32 s24, s23, s21
	s_mul_i32 s26, s15, s9
	s_add_co_ci_u32 s27, s3, 0
	s_delay_alu instid0(SALU_CYCLE_1) | instskip(NEXT) | instid1(SALU_CYCLE_1)
	s_add_nc_u64 s[22:23], s[24:25], s[26:27]
	s_mul_u64 s[24:25], s[10:11], s[22:23]
	s_add_nc_u64 s[26:27], s[22:23], 1
	s_sub_co_u32 s3, s14, s24
	s_cselect_b32 s7, -1, 0
	s_sub_co_i32 s9, s15, s25
	s_wait_alu 0xfffe
	s_cmp_lg_u32 s7, 0
	s_add_nc_u64 s[28:29], s[22:23], 2
	s_sub_co_ci_u32 s9, s9, s11
	s_sub_co_u32 s14, s3, s10
	s_cselect_b32 s21, -1, 0
	s_delay_alu instid0(SALU_CYCLE_1) | instskip(SKIP_1) | instid1(SALU_CYCLE_1)
	s_cmp_lg_u32 s21, 0
	s_sub_co_ci_u32 s9, s9, 0
	s_cmp_ge_u32 s9, s11
	s_cselect_b32 s21, -1, 0
	s_cmp_ge_u32 s14, s10
	s_cselect_b32 s14, -1, 0
	s_cmp_eq_u32 s9, s11
	s_cselect_b32 s9, s14, s21
	s_delay_alu instid0(SALU_CYCLE_1)
	s_cmp_lg_u32 s9, 0
	s_cselect_b32 s9, s28, s26
	s_cselect_b32 s14, s29, s27
	s_cmp_lg_u32 s7, 0
	s_sub_co_ci_u32 s7, s15, s25
	s_wait_alu 0xfffe
	s_cmp_ge_u32 s7, s11
	s_cselect_b32 s15, -1, 0
	s_cmp_ge_u32 s3, s10
	s_cselect_b32 s3, -1, 0
	s_cmp_eq_u32 s7, s11
	s_cselect_b32 s3, s3, s15
	s_delay_alu instid0(SALU_CYCLE_1) | instskip(SKIP_3) | instid1(SALU_CYCLE_1)
	s_cmp_lg_u32 s3, 0
	s_cselect_b32 s11, s14, s23
	s_cselect_b32 s10, s9, s22
	s_xor_b64 s[12:13], s[12:13], 0
	s_xor_b64 s[10:11], s[10:11], s[12:13]
	s_delay_alu instid0(SALU_CYCLE_1)
	s_sub_nc_u64 s[10:11], s[10:11], s[12:13]
	s_load_b96 s[12:14], s[0:1], 0x44
	s_and_not1_b32 vcc_lo, exec_lo, s8
	s_cbranch_vccnz .LBB48_6
.LBB48_5:
	v_cvt_f32_u32_e32 v1, s16
	s_sub_co_i32 s7, 0, s16
	s_delay_alu instid0(VALU_DEP_1) | instskip(NEXT) | instid1(TRANS32_DEP_1)
	v_rcp_iflag_f32_e32 v1, v1
	v_mul_f32_e32 v1, 0x4f7ffffe, v1
	s_delay_alu instid0(VALU_DEP_1) | instskip(NEXT) | instid1(VALU_DEP_1)
	v_cvt_u32_f32_e32 v1, v1
	v_readfirstlane_b32 s3, v1
	s_wait_alu 0xfffe
	s_mul_i32 s7, s7, s3
	s_wait_alu 0xfffe
	s_mul_hi_u32 s7, s3, s7
	s_wait_alu 0xfffe
	s_add_co_i32 s3, s3, s7
	s_delay_alu instid0(SALU_CYCLE_1) | instskip(NEXT) | instid1(SALU_CYCLE_1)
	s_mul_hi_u32 s3, s2, s3
	s_mul_i32 s7, s3, s16
	s_wait_alu 0xfffe
	s_sub_co_i32 s2, s2, s7
	s_add_co_i32 s7, s3, 1
	s_sub_co_i32 s8, s2, s16
	s_cmp_ge_u32 s2, s16
	s_wait_alu 0xfffe
	s_cselect_b32 s3, s7, s3
	s_cselect_b32 s2, s8, s2
	s_add_co_i32 s7, s3, 1
	s_cmp_ge_u32 s2, s16
	s_wait_alu 0xfffe
	s_cselect_b32 s10, s7, s3
.LBB48_6:
	s_mov_b32 s21, 0
	s_wait_kmcnt 0x0
	s_mov_b32 s22, s12
	s_mov_b32 s23, s21
	s_cmp_eq_u32 s20, s10
	s_mul_u64 s[2:3], s[20:21], s[22:23]
	s_cselect_b32 s7, -1, 0
	s_add_co_i32 s2, s3, s20
	s_mov_b32 s11, s21
	s_lshr_b32 s12, s2, s13
	s_mul_u64 s[2:3], s[10:11], s[22:23]
	s_mul_i32 s2, s12, s14
	s_delay_alu instid0(SALU_CYCLE_1) | instskip(SKIP_2) | instid1(SALU_CYCLE_1)
	s_cmp_eq_u32 s2, s20
	s_cselect_b32 s2, -1, 0
	s_add_co_i32 s3, s3, s10
	s_lshr_b32 s3, s3, s13
	s_delay_alu instid0(SALU_CYCLE_1)
	s_cmp_eq_u32 s12, s3
	s_mul_i32 s3, s3, s14
	s_cselect_b32 s8, -1, 0
	s_cmp_lg_u32 s3, s10
	s_cselect_b32 s3, -1, 0
	s_wait_alu 0xfffe
	s_or_b32 s2, s7, s2
	s_and_b32 s3, s8, s3
	s_delay_alu instid0(SALU_CYCLE_1) | instskip(NEXT) | instid1(SALU_CYCLE_1)
	s_or_b32 s2, s2, s3
	s_and_b32 vcc_lo, exec_lo, s2
	s_cbranch_vccnz .LBB48_24
; %bb.7:
	s_load_b256 s[24:31], s[0:1], 0x20
	s_mov_b32 s3, s21
	s_wait_kmcnt 0x0
	s_mov_b32 s2, s24
	s_delay_alu instid0(SALU_CYCLE_1) | instskip(NEXT) | instid1(SALU_CYCLE_1)
	s_mul_u64 s[2:3], s[20:21], s[2:3]
	s_add_co_i32 s2, s3, s20
	s_delay_alu instid0(SALU_CYCLE_1) | instskip(SKIP_2) | instid1(SALU_CYCLE_1)
	s_lshr_b32 s7, s2, s25
	s_load_b32 s2, s[0:1], 0x40
	s_mul_i32 s3, s7, s26
	s_sub_co_i32 s3, s20, s3
	s_delay_alu instid0(SALU_CYCLE_1) | instskip(NEXT) | instid1(SALU_CYCLE_1)
	s_mul_hi_u32 s8, s3, s27
	s_add_co_i32 s8, s3, s8
	s_delay_alu instid0(SALU_CYCLE_1) | instskip(NEXT) | instid1(SALU_CYCLE_1)
	s_lshr_b32 s15, s8, s28
	s_mul_i32 s8, s15, s29
	s_delay_alu instid0(SALU_CYCLE_1) | instskip(NEXT) | instid1(SALU_CYCLE_1)
	s_sub_co_i32 s8, s3, s8
	s_mul_hi_u32 s3, s8, s30
	s_delay_alu instid0(SALU_CYCLE_1) | instskip(NEXT) | instid1(SALU_CYCLE_1)
	s_add_co_i32 s3, s8, s3
	s_lshr_b32 s10, s3, s31
	s_mov_b32 s3, s21
	s_wait_kmcnt 0x0
	s_mul_i32 s2, s10, s2
	s_lshl_b32 s24, s10, 1
	s_sub_co_i32 s2, s8, s2
	s_delay_alu instid0(SALU_CYCLE_1) | instskip(SKIP_2) | instid1(SALU_CYCLE_1)
	s_mul_u64 s[8:9], s[2:3], s[22:23]
	s_lshr_b32 s3, ttmp7, 16
	s_add_co_i32 s2, s2, s9
	s_lshr_b32 s21, s2, s13
	s_and_b32 s2, ttmp7, 0xffff
	s_lshl_b32 s8, s21, 1
	s_delay_alu instid0(SALU_CYCLE_1) | instskip(NEXT) | instid1(SALU_CYCLE_1)
	s_add_co_i32 s8, s8, s2
	s_cmp_lt_i32 s8, s4
	s_cselect_b32 s8, -1, 0
	s_add_co_i32 s24, s24, s3
	s_delay_alu instid0(SALU_CYCLE_1) | instskip(SKIP_1) | instid1(SALU_CYCLE_1)
	s_cmp_lt_i32 s24, s6
	s_cselect_b32 s9, -1, 0
	s_and_b32 s8, s8, s9
	s_delay_alu instid0(SALU_CYCLE_1)
	s_and_not1_b32 vcc_lo, exec_lo, s8
	s_cbranch_vccnz .LBB48_24
; %bb.8:
	s_mul_i32 s4, s7, s4
	s_load_b128 s[8:11], s[0:1], 0x0
	s_add_co_i32 s0, s4, s2
	s_mul_i32 s15, s15, s6
	s_mul_i32 s0, s0, s5
	s_add_co_i32 s1, s24, s15
	s_mul_i32 s4, s5, s21
	s_add_co_i32 s0, s1, s0
	s_mulk_i32 s4, 0xc0
	s_mulk_i32 s0, 0x60
	s_lshl_b32 s15, s2, 1
	v_add3_u32 v1, s4, s0, v0
	s_add_nc_u64 s[0:1], s[16:17], 0
	s_add_co_i32 s15, s15, s3
	s_wait_alu 0xfffe
	s_xor_b64 s[6:7], s[0:1], 0
	s_lshl_b32 s0, ttmp9, 2
	v_ashrrev_i32_e32 v2, 31, v1
	s_wait_alu 0xfffe
	s_cvt_f32_u32 s1, s6
	s_cvt_f32_u32 s2, s7
	s_add_co_i32 s0, s15, s0
	v_cvt_f32_u32_e32 v3, s16
	v_lshlrev_b64_e32 v[1:2], 2, v[1:2]
	s_wait_alu 0xfffe
	s_fmamk_f32 s2, s2, 0x4f800000, s1
	s_ashr_i32 s1, s0, 31
	s_add_co_i32 s34, ttmp9, -1
	s_wait_alu 0xfffe
	s_lshl_b64 s[0:1], s[0:1], 3
	v_s_rcp_f32 s2, s2
	s_wait_kmcnt 0x0
	v_add_co_u32 v1, vcc_lo, s8, v1
	s_delay_alu instid0(VALU_DEP_1)
	v_add_co_ci_u32_e64 v2, null, s9, v2, vcc_lo
	s_wait_alu 0xfffe
	s_add_nc_u64 s[0:1], s[10:11], s[0:1]
	v_rcp_iflag_f32_e32 v3, v3
	s_load_b64 s[26:27], s[0:1], 0x0
	global_load_b32 v5, v[1:2], off
	s_mul_f32 s2, s2, 0x5f7ffffc
	s_mov_b32 s8, 0
	s_lshl_b32 s0, s16, 4
	s_wait_alu 0xfffe
	s_mov_b32 s1, s8
	s_mul_f32 s3, s2, 0x2f800000
	s_wait_alu 0xfffe
	s_lshl_b64 s[0:1], s[0:1], 2
	s_sub_nc_u64 s[30:31], 0, s[6:7]
	v_mul_f32_e32 v6, 0x4f7ffffe, v3
	s_trunc_f32 s3, s3
	s_wait_alu 0xfffe
	s_add_nc_u64 s[24:25], s[10:11], s[0:1]
	v_mad_co_u64_u32 v[3:4], null, 0x60, s15, v[0:1]
	s_fmamk_f32 s0, s3, 0xcf800000, s2
	v_cvt_u32_f32_e32 v0, v6
	s_cvt_u32_f32 s29, s3
	s_wait_alu 0xfffe
	s_cvt_u32_f32 s28, s0
	s_wait_kmcnt 0x0
	v_mov_b32_e32 v4, s27
.LBB48_9:                               ; =>This Inner Loop Header: Depth=1
	s_wait_alu 0xfffe
	s_ashr_i32 s35, s34, 31
	s_mov_b32 s2, -1
	s_wait_alu 0xfffe
	s_mul_u64 s[0:1], s[34:35], s[18:19]
                                        ; implicit-def: $sgpr38_sgpr39
	s_wait_alu 0xfffe
	s_mov_b32 s9, s1
	s_wait_alu 0xfffe
	s_cmp_lg_u64 s[8:9], 0
	s_cbranch_scc0 .LBB48_11
; %bb.10:                               ;   in Loop: Header=BB48_9 Depth=1
	s_mul_u64 s[2:3], s[30:31], s[28:29]
	s_mov_b32 s37, s8
	s_wait_alu 0xfffe
	s_mul_hi_u32 s5, s28, s3
	s_mul_i32 s4, s28, s3
	s_mul_hi_u32 s36, s28, s2
	s_mul_hi_u32 s9, s29, s2
	s_wait_alu 0xfffe
	s_add_nc_u64 s[4:5], s[36:37], s[4:5]
	s_mul_i32 s2, s29, s2
	s_mul_hi_u32 s17, s29, s3
	s_wait_alu 0xfffe
	s_add_co_u32 s2, s4, s2
	s_add_co_ci_u32 s2, s5, s9
	s_add_co_ci_u32 s5, s17, 0
	s_mul_i32 s4, s29, s3
	s_mov_b32 s3, s8
	s_mov_b32 s39, s8
	s_wait_alu 0xfffe
	s_add_nc_u64 s[2:3], s[2:3], s[4:5]
	s_wait_alu 0xfffe
	s_add_co_u32 s2, s28, s2
	s_cselect_b32 s4, -1, 0
	s_wait_alu 0xfffe
	s_cmp_lg_u32 s4, 0
	s_add_co_ci_u32 s3, s29, s3
	s_wait_alu 0xfffe
	s_mul_u64 s[4:5], s[30:31], s[2:3]
	s_wait_alu 0xfffe
	s_mul_hi_u32 s37, s2, s5
	s_mul_i32 s36, s2, s5
	s_mul_hi_u32 s38, s2, s4
	s_mul_hi_u32 s9, s3, s4
	s_mul_i32 s4, s3, s4
	s_wait_alu 0xfffe
	s_add_nc_u64 s[36:37], s[38:39], s[36:37]
	s_mul_hi_u32 s17, s3, s5
	s_wait_alu 0xfffe
	s_add_co_u32 s4, s36, s4
	s_add_co_ci_u32 s4, s37, s9
	s_add_co_ci_u32 s37, s17, 0
	s_mul_i32 s36, s3, s5
	s_mov_b32 s5, s8
	s_wait_alu 0xfffe
	s_add_nc_u64 s[4:5], s[4:5], s[36:37]
	s_mov_b32 s37, s8
	s_wait_alu 0xfffe
	s_add_co_u32 s9, s2, s4
	s_cselect_b32 s2, -1, 0
	s_wait_alu 0xfffe
	s_cmp_lg_u32 s2, 0
	s_add_co_ci_u32 s17, s3, s5
	s_ashr_i32 s2, s1, 31
	s_wait_alu 0xfffe
	s_mov_b32 s3, s2
	s_wait_alu 0xfffe
	s_add_nc_u64 s[4:5], s[0:1], s[2:3]
	s_wait_alu 0xfffe
	s_xor_b64 s[4:5], s[4:5], s[2:3]
	s_wait_alu 0xfffe
	s_mul_hi_u32 s39, s4, s17
	s_mul_i32 s38, s4, s17
	s_mul_hi_u32 s36, s4, s9
	s_mul_i32 s21, s5, s9
	s_wait_alu 0xfffe
	s_add_nc_u64 s[36:37], s[36:37], s[38:39]
	s_mul_hi_u32 s9, s5, s9
	s_mul_hi_u32 s1, s5, s17
	s_wait_alu 0xfffe
	s_add_co_u32 s21, s36, s21
	s_add_co_ci_u32 s36, s37, s9
	s_add_co_ci_u32 s39, s1, 0
	s_mul_i32 s38, s5, s17
	s_mov_b32 s37, s8
	s_wait_alu 0xfffe
	s_add_nc_u64 s[36:37], s[36:37], s[38:39]
	s_wait_alu 0xfffe
	s_mul_u64 s[38:39], s[6:7], s[36:37]
	s_add_nc_u64 s[40:41], s[36:37], 1
	s_sub_co_u32 s1, s4, s38
	s_cselect_b32 s4, -1, 0
	s_sub_co_i32 s9, s5, s39
	s_wait_alu 0xfffe
	s_cmp_lg_u32 s4, 0
	s_add_nc_u64 s[42:43], s[36:37], 2
	s_sub_co_ci_u32 s9, s9, s7
	s_sub_co_u32 s17, s1, s6
	s_cselect_b32 s21, -1, 0
	s_delay_alu instid0(SALU_CYCLE_1)
	s_cmp_lg_u32 s21, 0
	s_wait_alu 0xfffe
	s_sub_co_ci_u32 s9, s9, 0
	s_wait_alu 0xfffe
	s_cmp_ge_u32 s9, s7
	s_cselect_b32 s21, -1, 0
	s_cmp_ge_u32 s17, s6
	s_cselect_b32 s17, -1, 0
	s_cmp_eq_u32 s9, s7
	s_wait_alu 0xfffe
	s_cselect_b32 s9, s17, s21
	s_wait_alu 0xfffe
	s_cmp_lg_u32 s9, 0
	s_cselect_b32 s9, s42, s40
	s_cselect_b32 s17, s43, s41
	s_cmp_lg_u32 s4, 0
	s_sub_co_ci_u32 s4, s5, s39
	s_wait_alu 0xfffe
	s_cmp_ge_u32 s4, s7
	s_cselect_b32 s5, -1, 0
	s_cmp_ge_u32 s1, s6
	s_cselect_b32 s1, -1, 0
	s_cmp_eq_u32 s4, s7
	s_wait_alu 0xfffe
	s_cselect_b32 s1, s1, s5
	s_wait_alu 0xfffe
	s_cmp_lg_u32 s1, 0
	s_cselect_b32 s5, s17, s37
	s_cselect_b32 s4, s9, s36
	s_xor_b64 s[2:3], s[2:3], 0
	s_wait_alu 0xfffe
	s_xor_b64 s[4:5], s[4:5], s[2:3]
	s_wait_alu 0xfffe
	s_sub_nc_u64 s[38:39], s[4:5], s[2:3]
	s_mov_b32 s2, 0
.LBB48_11:                              ;   in Loop: Header=BB48_9 Depth=1
	s_wait_alu 0xfffe
	s_and_not1_b32 vcc_lo, exec_lo, s2
	s_wait_alu 0xfffe
	s_cbranch_vccnz .LBB48_13
; %bb.12:                               ;   in Loop: Header=BB48_9 Depth=1
	v_readfirstlane_b32 s1, v0
	s_sub_co_i32 s2, 0, s16
	s_wait_alu 0xfffe
	s_mul_i32 s2, s2, s1
	s_wait_alu 0xfffe
	s_mul_hi_u32 s2, s1, s2
	s_wait_alu 0xfffe
	s_add_co_i32 s1, s1, s2
	s_wait_alu 0xfffe
	s_mul_hi_u32 s1, s0, s1
	s_wait_alu 0xfffe
	s_mul_i32 s2, s1, s16
	s_wait_alu 0xfffe
	s_sub_co_i32 s0, s0, s2
	s_add_co_i32 s2, s1, 1
	s_wait_alu 0xfffe
	s_sub_co_i32 s3, s0, s16
	s_cmp_ge_u32 s0, s16
	s_cselect_b32 s1, s2, s1
	s_wait_alu 0xfffe
	s_cselect_b32 s0, s3, s0
	s_add_co_i32 s2, s1, 1
	s_wait_alu 0xfffe
	s_cmp_ge_u32 s0, s16
	s_cselect_b32 s38, s2, s1
.LBB48_13:                              ;   in Loop: Header=BB48_9 Depth=1
	v_readfirstlane_b32 s9, v0
	s_cmp_lg_u32 s20, s38
	s_mov_b32 s0, -1
                                        ; implicit-def: $sgpr21
                                        ; implicit-def: $vgpr6
                                        ; implicit-def: $vgpr7
                                        ; implicit-def: $sgpr17
                                        ; implicit-def: $sgpr27
	s_cbranch_scc1 .LBB48_16
; %bb.14:                               ;   in Loop: Header=BB48_9 Depth=1
	s_wait_alu 0xfffe
	s_and_not1_b32 vcc_lo, exec_lo, s0
	s_wait_alu 0xfffe
	s_cbranch_vccz .LBB48_19
.LBB48_15:                              ;   in Loop: Header=BB48_9 Depth=1
	s_and_not1_b32 vcc_lo, exec_lo, s21
	s_wait_alu 0xfffe
	s_cbranch_vccnz .LBB48_20
	s_branch .LBB48_23
.LBB48_16:                              ;   in Loop: Header=BB48_9 Depth=1
	s_add_co_i32 s0, s34, s16
	s_mov_b32 s1, s8
	s_wait_alu 0xfffe
	s_lshl_b32 s0, s0, 2
	v_max_num_f32_e64 v6, s26, s26
	s_wait_alu 0xfffe
	s_add_co_i32 s0, s0, s15
	s_mov_b32 s39, s8
	s_wait_alu 0xfffe
	s_lshl_b64 s[0:1], s[0:1], 3
	s_mul_u64 s[40:41], s[38:39], s[22:23]
	s_wait_alu 0xfffe
	s_add_nc_u64 s[0:1], s[10:11], s[0:1]
	s_mov_b32 s27, s20
	s_load_b64 s[36:37], s[0:1], 0x0
	v_readfirstlane_b32 s0, v6
	s_wait_kmcnt 0x0
	v_max_num_f32_e64 v7, s36, s36
	s_delay_alu instid0(VALU_DEP_1) | instskip(SKIP_2) | instid1(SALU_CYCLE_2)
	v_readfirstlane_b32 s1, v7
	s_max_num_f32 s9, s0, s1
	s_wait_alu 0xfffe
	s_sub_f32 s33, s26, s9
	s_sub_f32 s35, s36, s9
	s_wait_alu 0xfffe
	s_delay_alu instid0(SALU_CYCLE_1)
	s_cmp_nlt_f32 s33, 0xc2ce8ed0
	s_cselect_b32 s0, -1, 0
	s_cmp_ngt_f32 s33, 0x42b17218
	s_cselect_b32 s1, -1, 0
	s_cmp_ge_f32 s33, 0xc1a00000
	s_cselect_b32 s2, -1, 0
	s_cmp_nlt_f32 s35, 0xc2ce8ed0
	s_cselect_b32 s3, -1, 0
	s_cmp_ngt_f32 s35, 0x42b17218
	s_cselect_b32 s4, -1, 0
	s_cmp_ge_f32 s35, 0xc1a00000
	s_cselect_b32 s5, -1, 0
	s_add_co_i32 s17, s41, s38
	s_wait_alu 0xfffe
	s_lshr_b32 s17, s17, s13
	s_wait_alu 0xfffe
	s_mul_i32 s21, s17, s14
	s_delay_alu instid0(SALU_CYCLE_1)
	s_cmp_eq_u32 s21, s38
	s_cselect_b32 s21, -1, 0
	s_cmp_lt_u32 s17, s12
	s_cselect_b32 s17, -1, 0
	s_wait_alu 0xfffe
	s_or_b32 s17, s17, s21
	s_mov_b32 s21, -1
	s_wait_alu 0xfffe
	s_and_b32 vcc_lo, exec_lo, s17
	s_mov_b32 s17, s34
	s_wait_alu 0xfffe
	s_cbranch_vccnz .LBB48_18
; %bb.17:                               ;   in Loop: Header=BB48_9 Depth=1
	s_add_co_i32 s17, s34, -1
	s_mov_b32 s21, 0
	s_mov_b32 s27, s38
.LBB48_18:                              ;   in Loop: Header=BB48_9 Depth=1
	v_mad_co_u64_u32 v[6:7], null, 0x180, s34, v[3:4]
	s_mul_f32 s36, s35, 0x3fb8aa3b
	s_mul_f32 s38, s33, 0x3fb8aa3b
	s_wait_alu 0xfffe
	s_delay_alu instid0(SALU_CYCLE_1)
	s_xor_b32 s39, s36, 0x80000000
	s_rndne_f32 s40, s36
	v_ashrrev_i32_e32 v7, 31, v6
	s_fmamk_f32 s39, s35, 0x3fb8aa3b, s39
	s_xor_b32 s41, s38, 0x80000000
	s_sub_f32 s36, s36, s40
	s_rndne_f32 s42, s38
	v_lshlrev_b64_e32 v[6:7], 2, v[6:7]
	s_fmamk_f32 s35, s35, 0x32a5705f, s39
	s_fmamk_f32 s39, s33, 0x3fb8aa3b, s41
	s_sub_f32 s38, s38, s42
	s_wait_alu 0xfffe
	s_add_f32 s35, s36, s35
	v_add_co_u32 v6, vcc_lo, s24, v6
	s_wait_alu 0xfffd
	v_add_co_ci_u32_e64 v7, null, s25, v7, vcc_lo
	s_fmamk_f32 s33, s33, 0x32a5705f, s39
	s_wait_alu 0xfffe
	v_s_exp_f32 s35, s35
	s_cvt_i32_f32 s36, s40
	global_load_b32 v6, v[6:7], off
	s_add_f32 s33, s38, s33
	s_wait_alu 0xfffe
	s_delay_alu instid0(SALU_CYCLE_2) | instskip(SKIP_2) | instid1(VALU_DEP_1)
	v_s_exp_f32 s33, s33
	v_ldexp_f32 v7, s35, s36
	s_cvt_i32_f32 s35, s42
	v_cndmask_b32_e64 v7, 0, v7, s3
	s_wait_alu 0xf1fe
	s_delay_alu instid0(TRANS32_DEP_1) | instid1(SALU_CYCLE_1)
	v_ldexp_f32 v8, s33, s35
	s_delay_alu instid0(VALU_DEP_2) | instskip(NEXT) | instid1(VALU_DEP_2)
	v_cndmask_b32_e64 v7, 0x7f800000, v7, s4
	v_cndmask_b32_e64 v8, 0, v8, s0
	s_delay_alu instid0(VALU_DEP_2) | instskip(NEXT) | instid1(VALU_DEP_2)
	v_cndmask_b32_e64 v7, 0, v7, s5
	v_cndmask_b32_e64 v8, 0x7f800000, v8, s1
	s_delay_alu instid0(VALU_DEP_1) | instskip(SKIP_1) | instid1(VALU_DEP_3)
	v_cndmask_b32_e64 v8, 0, v8, s2
	s_wait_loadcnt 0x0
	v_mul_f32_e32 v6, v6, v7
	v_mul_f32_e32 v7, s37, v7
	s_delay_alu instid0(VALU_DEP_1) | instskip(NEXT) | instid1(VALU_DEP_3)
	v_fmac_f32_e32 v7, v4, v8
	v_fmac_f32_e32 v6, v5, v8
	s_cbranch_execnz .LBB48_15
.LBB48_19:                              ;   in Loop: Header=BB48_9 Depth=1
	s_wait_loadcnt 0x0
	v_dual_mov_b32 v7, v4 :: v_dual_mov_b32 v6, v5
	s_add_co_i32 s17, s34, -1
	s_mov_b32 s27, s20
	s_mov_b32 s9, s26
	s_cbranch_execz .LBB48_23
.LBB48_20:                              ;   in Loop: Header=BB48_9 Depth=1
	s_wait_loadcnt 0x0
	v_dual_mov_b32 v4, v7 :: v_dual_mov_b32 v5, v6
	s_wait_alu 0xfffe
	s_mov_b32 s20, s27
	s_mov_b32 s34, s17
	;; [unrolled: 1-line block ×3, first 2 shown]
	s_branch .LBB48_9
.LBB48_21:
                                        ; implicit-def: $sgpr20_sgpr21
	s_branch .LBB48_2
.LBB48_22:
                                        ; implicit-def: $sgpr10_sgpr11
	s_load_b96 s[12:14], s[0:1], 0x44
	s_branch .LBB48_5
.LBB48_23:
	v_div_scale_f32 v0, null, v7, v7, v6
	s_delay_alu instid0(VALU_DEP_1) | instskip(NEXT) | instid1(TRANS32_DEP_1)
	v_rcp_f32_e32 v3, v0
	v_fma_f32 v4, -v0, v3, 1.0
	s_delay_alu instid0(VALU_DEP_1) | instskip(SKIP_2) | instid1(VALU_DEP_1)
	v_fmac_f32_e32 v3, v4, v3
	v_div_scale_f32 v4, vcc_lo, v6, v7, v6
	s_wait_loadcnt 0x0
	v_mul_f32_e32 v5, v4, v3
	s_delay_alu instid0(VALU_DEP_1) | instskip(NEXT) | instid1(VALU_DEP_1)
	v_fma_f32 v8, -v0, v5, v4
	v_fmac_f32_e32 v5, v8, v3
	s_delay_alu instid0(VALU_DEP_1) | instskip(SKIP_1) | instid1(VALU_DEP_1)
	v_fma_f32 v0, -v0, v5, v4
	s_wait_alu 0xfffd
	v_div_fmas_f32 v0, v0, v3, v5
	s_delay_alu instid0(VALU_DEP_1)
	v_div_fixup_f32 v0, v0, v7, v6
	global_store_b32 v[1:2], v0, off
.LBB48_24:
	s_endpgm
	.section	.rodata,"a",@progbits
	.p2align	6, 0x0
	.amdhsa_kernel _ZL33flash_attn_stream_k_fixup_generalILi96ELi2ELi2EEvPfPK15HIP_vector_typeIfLj2EEiiiiS1_IjLj3EES5_S5_S5_
		.amdhsa_group_segment_fixed_size 0
		.amdhsa_private_segment_fixed_size 0
		.amdhsa_kernarg_size 336
		.amdhsa_user_sgpr_count 2
		.amdhsa_user_sgpr_dispatch_ptr 0
		.amdhsa_user_sgpr_queue_ptr 0
		.amdhsa_user_sgpr_kernarg_segment_ptr 1
		.amdhsa_user_sgpr_dispatch_id 0
		.amdhsa_user_sgpr_private_segment_size 0
		.amdhsa_wavefront_size32 1
		.amdhsa_uses_dynamic_stack 0
		.amdhsa_enable_private_segment 0
		.amdhsa_system_sgpr_workgroup_id_x 1
		.amdhsa_system_sgpr_workgroup_id_y 1
		.amdhsa_system_sgpr_workgroup_id_z 1
		.amdhsa_system_sgpr_workgroup_info 0
		.amdhsa_system_vgpr_workitem_id 0
		.amdhsa_next_free_vgpr 9
		.amdhsa_next_free_sgpr 44
		.amdhsa_reserve_vcc 1
		.amdhsa_float_round_mode_32 0
		.amdhsa_float_round_mode_16_64 0
		.amdhsa_float_denorm_mode_32 3
		.amdhsa_float_denorm_mode_16_64 3
		.amdhsa_fp16_overflow 0
		.amdhsa_workgroup_processor_mode 1
		.amdhsa_memory_ordered 1
		.amdhsa_forward_progress 1
		.amdhsa_inst_pref_size 28
		.amdhsa_round_robin_scheduling 0
		.amdhsa_exception_fp_ieee_invalid_op 0
		.amdhsa_exception_fp_denorm_src 0
		.amdhsa_exception_fp_ieee_div_zero 0
		.amdhsa_exception_fp_ieee_overflow 0
		.amdhsa_exception_fp_ieee_underflow 0
		.amdhsa_exception_fp_ieee_inexact 0
		.amdhsa_exception_int_div_zero 0
	.end_amdhsa_kernel
	.section	.text._ZL33flash_attn_stream_k_fixup_generalILi96ELi2ELi2EEvPfPK15HIP_vector_typeIfLj2EEiiiiS1_IjLj3EES5_S5_S5_,"axG",@progbits,_ZL33flash_attn_stream_k_fixup_generalILi96ELi2ELi2EEvPfPK15HIP_vector_typeIfLj2EEiiiiS1_IjLj3EES5_S5_S5_,comdat
.Lfunc_end48:
	.size	_ZL33flash_attn_stream_k_fixup_generalILi96ELi2ELi2EEvPfPK15HIP_vector_typeIfLj2EEiiiiS1_IjLj3EES5_S5_S5_, .Lfunc_end48-_ZL33flash_attn_stream_k_fixup_generalILi96ELi2ELi2EEvPfPK15HIP_vector_typeIfLj2EEiiiiS1_IjLj3EES5_S5_S5_
                                        ; -- End function
	.set _ZL33flash_attn_stream_k_fixup_generalILi96ELi2ELi2EEvPfPK15HIP_vector_typeIfLj2EEiiiiS1_IjLj3EES5_S5_S5_.num_vgpr, 9
	.set _ZL33flash_attn_stream_k_fixup_generalILi96ELi2ELi2EEvPfPK15HIP_vector_typeIfLj2EEiiiiS1_IjLj3EES5_S5_S5_.num_agpr, 0
	.set _ZL33flash_attn_stream_k_fixup_generalILi96ELi2ELi2EEvPfPK15HIP_vector_typeIfLj2EEiiiiS1_IjLj3EES5_S5_S5_.numbered_sgpr, 44
	.set _ZL33flash_attn_stream_k_fixup_generalILi96ELi2ELi2EEvPfPK15HIP_vector_typeIfLj2EEiiiiS1_IjLj3EES5_S5_S5_.num_named_barrier, 0
	.set _ZL33flash_attn_stream_k_fixup_generalILi96ELi2ELi2EEvPfPK15HIP_vector_typeIfLj2EEiiiiS1_IjLj3EES5_S5_S5_.private_seg_size, 0
	.set _ZL33flash_attn_stream_k_fixup_generalILi96ELi2ELi2EEvPfPK15HIP_vector_typeIfLj2EEiiiiS1_IjLj3EES5_S5_S5_.uses_vcc, 1
	.set _ZL33flash_attn_stream_k_fixup_generalILi96ELi2ELi2EEvPfPK15HIP_vector_typeIfLj2EEiiiiS1_IjLj3EES5_S5_S5_.uses_flat_scratch, 0
	.set _ZL33flash_attn_stream_k_fixup_generalILi96ELi2ELi2EEvPfPK15HIP_vector_typeIfLj2EEiiiiS1_IjLj3EES5_S5_S5_.has_dyn_sized_stack, 0
	.set _ZL33flash_attn_stream_k_fixup_generalILi96ELi2ELi2EEvPfPK15HIP_vector_typeIfLj2EEiiiiS1_IjLj3EES5_S5_S5_.has_recursion, 0
	.set _ZL33flash_attn_stream_k_fixup_generalILi96ELi2ELi2EEvPfPK15HIP_vector_typeIfLj2EEiiiiS1_IjLj3EES5_S5_S5_.has_indirect_call, 0
	.section	.AMDGPU.csdata,"",@progbits
; Kernel info:
; codeLenInByte = 3540
; TotalNumSgprs: 46
; NumVgprs: 9
; ScratchSize: 0
; MemoryBound: 0
; FloatMode: 240
; IeeeMode: 1
; LDSByteSize: 0 bytes/workgroup (compile time only)
; SGPRBlocks: 0
; VGPRBlocks: 1
; NumSGPRsForWavesPerEU: 46
; NumVGPRsForWavesPerEU: 9
; Occupancy: 16
; WaveLimiterHint : 0
; COMPUTE_PGM_RSRC2:SCRATCH_EN: 0
; COMPUTE_PGM_RSRC2:USER_SGPR: 2
; COMPUTE_PGM_RSRC2:TRAP_HANDLER: 0
; COMPUTE_PGM_RSRC2:TGID_X_EN: 1
; COMPUTE_PGM_RSRC2:TGID_Y_EN: 1
; COMPUTE_PGM_RSRC2:TGID_Z_EN: 1
; COMPUTE_PGM_RSRC2:TIDIG_COMP_CNT: 0
	.section	.text._ZL15flash_attn_tileILi96ELi96ELi1ELi2ELb0EEvPKcS1_S1_S1_S1_PKiPfP15HIP_vector_typeIfLj2EEffffjfiS5_IjLj3EEiiiiiiiiiiiliiliiiiil,"axG",@progbits,_ZL15flash_attn_tileILi96ELi96ELi1ELi2ELb0EEvPKcS1_S1_S1_S1_PKiPfP15HIP_vector_typeIfLj2EEffffjfiS5_IjLj3EEiiiiiiiiiiiliiliiiiil,comdat
	.globl	_ZL15flash_attn_tileILi96ELi96ELi1ELi2ELb0EEvPKcS1_S1_S1_S1_PKiPfP15HIP_vector_typeIfLj2EEffffjfiS5_IjLj3EEiiiiiiiiiiiliiliiiiil ; -- Begin function _ZL15flash_attn_tileILi96ELi96ELi1ELi2ELb0EEvPKcS1_S1_S1_S1_PKiPfP15HIP_vector_typeIfLj2EEffffjfiS5_IjLj3EEiiiiiiiiiiiliiliiiiil
	.p2align	8
	.type	_ZL15flash_attn_tileILi96ELi96ELi1ELi2ELb0EEvPKcS1_S1_S1_S1_PKiPfP15HIP_vector_typeIfLj2EEffffjfiS5_IjLj3EEiiiiiiiiiiiliiliiiiil,@function
_ZL15flash_attn_tileILi96ELi96ELi1ELi2ELb0EEvPKcS1_S1_S1_S1_PKiPfP15HIP_vector_typeIfLj2EEffffjfiS5_IjLj3EEiiiiiiiiiiiliiliiiiil: ; @_ZL15flash_attn_tileILi96ELi96ELi1ELi2ELb0EEvPKcS1_S1_S1_S1_PKiPfP15HIP_vector_typeIfLj2EEffffjfiS5_IjLj3EEiiiiiiiiiiiliiliiiiil
; %bb.0:
	s_clause 0x1
	s_load_b128 s[20:23], s[0:1], 0x5c
	s_load_b64 s[30:31], s[0:1], 0x80
	s_lshr_b32 s5, ttmp7, 16
	s_mov_b32 s37, 0
	s_mov_b64 s[34:35], 0
	s_wait_kmcnt 0x0
	s_lshr_b32 s2, s23, 31
	s_delay_alu instid0(SALU_CYCLE_1) | instskip(NEXT) | instid1(SALU_CYCLE_1)
	s_add_co_i32 s2, s23, s2
	s_ashr_i32 s2, s2, 1
	s_delay_alu instid0(SALU_CYCLE_1) | instskip(SKIP_1) | instid1(SALU_CYCLE_2)
	s_cvt_f32_u32 s3, s2
	s_sub_co_i32 s4, 0, s2
	v_rcp_iflag_f32_e32 v1, s3
	s_delay_alu instid0(TRANS32_DEP_1) | instskip(SKIP_2) | instid1(SALU_CYCLE_2)
	v_readfirstlane_b32 s3, v1
	s_mul_f32 s3, s3, 0x4f7ffffe
	s_wait_alu 0xfffe
	s_cvt_u32_f32 s3, s3
	s_wait_alu 0xfffe
	s_delay_alu instid0(SALU_CYCLE_2) | instskip(NEXT) | instid1(SALU_CYCLE_1)
	s_mul_i32 s4, s4, s3
	s_mul_hi_u32 s4, s3, s4
	s_delay_alu instid0(SALU_CYCLE_1)
	s_add_co_i32 s3, s3, s4
	s_wait_alu 0xfffe
	s_mul_hi_u32 s3, s5, s3
	s_wait_alu 0xfffe
	s_mul_i32 s4, s3, s2
	s_add_co_i32 s6, s3, 1
	s_sub_co_i32 s4, s5, s4
	s_delay_alu instid0(SALU_CYCLE_1)
	s_sub_co_i32 s7, s4, s2
	s_cmp_ge_u32 s4, s2
	s_cselect_b32 s3, s6, s3
	s_cselect_b32 s4, s7, s4
	s_wait_alu 0xfffe
	s_add_co_i32 s6, s3, 1
	s_cmp_ge_u32 s4, s2
	s_cselect_b32 s28, s6, s3
	s_abs_i32 s2, s31
	s_abs_i32 s6, s23
	s_wait_alu 0xfffe
	s_cvt_f32_u32 s3, s2
	s_sub_co_i32 s4, 0, s2
	s_lshl_b32 s25, s5, 1
	s_mul_i32 s26, s28, s23
	s_wait_alu 0xfffe
	v_rcp_iflag_f32_e32 v1, s3
	s_delay_alu instid0(TRANS32_DEP_1) | instskip(SKIP_2) | instid1(SALU_CYCLE_2)
	v_readfirstlane_b32 s3, v1
	s_mul_f32 s3, s3, 0x4f7ffffe
	s_wait_alu 0xfffe
	s_cvt_u32_f32 s3, s3
	s_wait_alu 0xfffe
	s_delay_alu instid0(SALU_CYCLE_2) | instskip(NEXT) | instid1(SALU_CYCLE_1)
	s_mul_i32 s4, s4, s3
	s_mul_hi_u32 s4, s3, s4
	s_delay_alu instid0(SALU_CYCLE_1)
	s_add_co_i32 s3, s3, s4
	s_xor_b32 s4, s23, s31
	s_wait_alu 0xfffe
	s_mul_hi_u32 s3, s6, s3
	s_ashr_i32 s24, s4, 31
	s_wait_alu 0xfffe
	s_mul_i32 s5, s3, s2
	s_delay_alu instid0(SALU_CYCLE_1)
	s_sub_co_i32 s4, s6, s5
	s_add_co_i32 s5, s3, 1
	s_sub_co_i32 s6, s4, s2
	s_cmp_ge_u32 s4, s2
	s_cselect_b32 s3, s5, s3
	s_cselect_b32 s4, s6, s4
	s_wait_alu 0xfffe
	s_add_co_i32 s5, s3, 1
	s_cmp_ge_u32 s4, s2
	s_cselect_b32 s2, s5, s3
	s_load_b512 s[4:19], s[0:1], 0x0
	s_xor_b32 s2, s2, s24
	s_wait_alu 0xfffe
	s_sub_co_i32 s38, s2, s24
	s_load_b64 s[2:3], s[0:1], 0xb8
	s_abs_i32 s33, s38
	s_delay_alu instid0(SALU_CYCLE_1) | instskip(NEXT) | instid1(SALU_CYCLE_3)
	s_cvt_f32_u32 s24, s33
	v_rcp_iflag_f32_e32 v1, s24
	s_wait_kmcnt 0x0
	s_cmp_eq_u64 s[10:11], 0
	s_delay_alu instid0(TRANS32_DEP_1)
	v_readfirstlane_b32 s24, v1
	s_cbranch_scc1 .LBB49_2
; %bb.1:
	s_abs_i32 s2, s2
	s_load_b64 s[34:35], s[0:1], 0xc8
	s_cvt_f32_u32 s27, s2
	s_sub_co_i32 s29, 0, s2
	s_delay_alu instid0(SALU_CYCLE_2) | instskip(NEXT) | instid1(TRANS32_DEP_1)
	v_rcp_iflag_f32_e32 v1, s27
	v_readfirstlane_b32 s27, v1
	s_mul_f32 s27, s27, 0x4f7ffffe
	s_wait_alu 0xfffe
	s_delay_alu instid0(SALU_CYCLE_2) | instskip(SKIP_1) | instid1(SALU_CYCLE_2)
	s_cvt_u32_f32 s27, s27
	s_wait_alu 0xfffe
	s_mul_i32 s29, s29, s27
	s_delay_alu instid0(SALU_CYCLE_1) | instskip(NEXT) | instid1(SALU_CYCLE_1)
	s_mul_hi_u32 s29, s27, s29
	s_add_co_i32 s27, s27, s29
	s_wait_alu 0xfffe
	s_mul_hi_u32 s27, s28, s27
	s_wait_alu 0xfffe
	s_mul_i32 s27, s27, s2
	s_wait_alu 0xfffe
	s_sub_co_i32 s27, s28, s27
	s_wait_alu 0xfffe
	s_sub_co_i32 s29, s27, s2
	s_cmp_ge_u32 s27, s2
	s_cselect_b32 s27, s29, s27
	s_wait_alu 0xfffe
	s_sub_co_i32 s29, s27, s2
	s_cmp_ge_u32 s27, s2
	s_cselect_b32 s40, s29, s27
	s_delay_alu instid0(SALU_CYCLE_1) | instskip(SKIP_2) | instid1(SALU_CYCLE_1)
	s_ashr_i32 s41, s40, 31
	s_wait_kmcnt 0x0
	s_mul_u64 s[34:35], s[34:35], s[40:41]
	s_add_nc_u64 s[34:35], s[10:11], s[34:35]
.LBB49_2:
	v_and_b32_e32 v1, 0x3ff, v0
	v_bfe_u32 v2, v0, 10, 10
	s_movk_i32 s10, 0xc0
	s_sub_co_i32 s31, s25, s26
	s_delay_alu instid0(VALU_DEP_2) | instskip(NEXT) | instid1(VALU_DEP_2)
	v_cmp_gt_u32_e64 s2, 24, v1
	v_mad_u32_u24 v17, v2, s10, 0xe80
	v_lshlrev_b32_e32 v18, 3, v1
	v_and_b32_e32 v16, 1, v2
	v_lshrrev_b32_e32 v0, 1, v2
	s_and_saveexec_b32 s10, s2
	s_cbranch_execz .LBB49_4
; %bb.3:
	s_delay_alu instid0(VALU_DEP_1) | instskip(SKIP_2) | instid1(VALU_DEP_2)
	v_add_nc_u32_e32 v3, ttmp9, v0
	s_load_b96 s[40:42], s[0:1], 0x70
	v_lshlrev_b32_e32 v7, 4, v1
	v_mul_hi_u32 v4, s20, v3
	s_delay_alu instid0(VALU_DEP_1) | instskip(NEXT) | instid1(VALU_DEP_1)
	v_add_nc_u32_e32 v4, v3, v4
	v_lshrrev_b32_e32 v4, s21, v4
	s_wait_kmcnt 0x0
	s_mul_i32 s26, s31, s41
	s_ashr_i32 s45, s41, 31
	s_delay_alu instid0(VALU_DEP_1)
	v_mul_lo_u32 v4, v4, s22
	s_mov_b32 s44, s41
	s_ashr_i32 s41, s40, 31
	s_lshr_b32 s11, s45, 2
	s_lshr_b64 s[46:47], s[40:41], 2
	s_lshr_b32 s25, s41, 2
	s_wait_alu 0xfffe
	v_mul_lo_u32 v6, s11, v16
	s_mul_i32 s40, s28, s42
	v_sub_nc_u32_e32 v5, v3, v4
	s_ashr_i32 s41, s40, 31
	s_ashr_i32 s27, s26, 31
	s_add_nc_u64 s[4:5], s[4:5], s[40:41]
	s_wait_alu 0xfffe
	s_add_nc_u64 s[4:5], s[4:5], s[26:27]
	v_mad_co_u64_u32 v[3:4], null, s46, v5, 0
	s_lshr_b64 s[46:47], s[44:45], 2
	v_mad_co_u64_u32 v[4:5], null, s25, v5, v[4:5]
	s_wait_alu 0xfffe
	v_mul_lo_u32 v5, s46, v16
	s_delay_alu instid0(VALU_DEP_2) | instskip(NEXT) | instid1(VALU_DEP_2)
	v_lshlrev_b64_e32 v[3:4], 2, v[3:4]
	v_lshlrev_b64_e32 v[5:6], 2, v[5:6]
	s_delay_alu instid0(VALU_DEP_1) | instskip(NEXT) | instid1(VALU_DEP_1)
	v_add_co_u32 v5, vcc_lo, s4, v5
	v_add_co_ci_u32_e64 v6, null, s5, v6, vcc_lo
	s_load_b32 s4, s[0:1], 0x40
	v_add_co_u32 v3, vcc_lo, v5, v3
	s_wait_alu 0xfffd
	v_add_co_ci_u32_e64 v4, null, v6, v4, vcc_lo
	s_delay_alu instid0(VALU_DEP_2) | instskip(SKIP_1) | instid1(VALU_DEP_2)
	v_add_co_u32 v3, vcc_lo, v3, v7
	s_wait_alu 0xfffd
	v_add_co_ci_u32_e64 v4, null, 0, v4, vcc_lo
	v_add_nc_u32_e32 v7, v17, v18
	global_load_b128 v[3:6], v[3:4], off
	s_wait_loadcnt 0x0
	s_wait_kmcnt 0x0
	v_fma_mixlo_f16 v4, s4, v4, 0
	v_fma_mixlo_f16 v3, s4, v3, 0
	v_fma_mixlo_f16 v5, s4, v5, 0
	v_fma_mixlo_f16 v6, s4, v6, 0
	s_delay_alu instid0(VALU_DEP_4) | instskip(NEXT) | instid1(VALU_DEP_4)
	v_lshlrev_b32_e32 v4, 16, v4
	v_and_b32_e32 v3, 0xffff, v3
	s_delay_alu instid0(VALU_DEP_4) | instskip(NEXT) | instid1(VALU_DEP_4)
	v_and_b32_e32 v5, 0xffff, v5
	v_lshlrev_b32_e32 v6, 16, v6
	s_delay_alu instid0(VALU_DEP_3) | instskip(NEXT) | instid1(VALU_DEP_2)
	v_or_b32_e32 v3, v4, v3
	v_or3_b32 v4, v6, v5, 0
	s_delay_alu instid0(VALU_DEP_2)
	v_or3_b32 v3, 0, 0, v3
	ds_store_b64 v7, v[3:4]
.LBB49_4:
	s_wait_alu 0xfffe
	s_or_b32 exec_lo, exec_lo, s10
	s_cmp_eq_u64 s[14:15], 0
	s_wait_dscnt 0x0
	s_barrier_signal -1
	s_barrier_wait -1
	global_inv scope:SCOPE_SE
	s_cbranch_scc1 .LBB49_6
; %bb.5:
	s_load_b32 s4, s[0:1], 0xd0
	s_mov_b32 s5, 0
	s_wait_kmcnt 0x0
	s_mul_i32 s4, s4, s28
	s_wait_alu 0xfffe
	s_add_co_i32 s4, s4, ttmp9
	s_wait_alu 0xfffe
	s_lshl_b64 s[4:5], s[4:5], 2
	s_wait_alu 0xfffe
	s_add_nc_u64 s[4:5], s[14:15], s[4:5]
	s_load_b32 s30, s[4:5], 0x0
.LBB49_6:
	s_and_b32 s4, ttmp7, 0xffff
	v_mbcnt_lo_u32_b32 v19, -1, 0
	s_wait_alu 0xfffe
	s_lshl_b32 s10, s4, 5
	s_wait_kmcnt 0x0
	s_wait_alu 0xfffe
	s_cmp_lt_i32 s10, s30
	s_cbranch_scc1 .LBB49_9
; %bb.7:
	v_mbcnt_lo_u32_b32 v3, -1, 0
	v_mov_b32_e32 v20, 32
	s_delay_alu instid0(VALU_DEP_2)
	v_xor_b32_e32 v25, 16, v3
	v_xor_b32_e32 v24, 8, v3
	;; [unrolled: 1-line block ×5, first 2 shown]
	s_mov_b32 s29, 0
	s_cbranch_execz .LBB49_10
; %bb.8:
	v_dual_mov_b32 v41, 0 :: v_dual_mov_b32 v42, 0
	v_dual_mov_b32 v15, 0xfeffffff :: v_dual_mov_b32 v28, 0
	s_branch .LBB49_13
.LBB49_9:
                                        ; implicit-def: $vgpr3
                                        ; implicit-def: $vgpr20
                                        ; implicit-def: $vgpr25
                                        ; implicit-def: $vgpr24
                                        ; implicit-def: $vgpr23
                                        ; implicit-def: $vgpr22
                                        ; implicit-def: $vgpr21
	s_mov_b32 s29, 0
.LBB49_10:
	s_mul_f32 s5, s24, 0x4f7ffffe
	s_clause 0x1
	s_load_b128 s[24:27], s[0:1], 0x98
	s_load_b64 s[40:41], s[0:1], 0x8c
	v_dual_mov_b32 v28, 0 :: v_dual_add_nc_u32 v11, ttmp9, v0
	s_cvt_u32_f32 s5, s5
	s_sub_co_i32 s11, 0, s33
	v_lshrrev_b32_e32 v3, 1, v1
	s_delay_alu instid0(VALU_DEP_2)
	v_mul_hi_u32 v5, s20, v11
	s_wait_alu 0xfffe
	s_mul_i32 s11, s11, s5
	s_abs_i32 s36, s31
	s_wait_alu 0xfffe
	s_mul_hi_u32 s11, s5, s11
	s_mov_b32 s15, s37
	s_wait_alu 0xfffe
	s_add_co_i32 s14, s5, s11
	v_lshrrev_b32_e32 v4, 2, v1
	v_lshl_add_u32 v3, v2, 4, v3
	s_mul_u64 s[14:15], s[36:37], s[14:15]
	v_lshrrev_b32_e32 v13, 3, v1
	v_lshlrev_b32_e32 v10, 2, v1
	v_lshl_add_u32 v12, v2, 3, v4
	v_mul_u32_u24_e32 v7, 0x70, v3
	s_wait_kmcnt 0x0
	s_ashr_i32 s14, s26, 2
	s_ashr_i32 s26, s40, 2
	v_mov_b32_e32 v42, 0
	s_wait_alu 0xfffe
	v_mul_lo_u32 v4, s26, v3
	v_add_nc_u32_e32 v3, v11, v5
	v_lshl_add_u32 v15, v2, 2, v13
	s_ashr_i32 s43, s38, 31
	s_load_b64 s[38:39], s[0:1], 0xa8
	v_dual_mov_b32 v41, 0 :: v_dual_and_b32 v20, 4, v10
	v_lshrrev_b32_e32 v3, s21, v3
	v_and_b32_e32 v21, 12, v10
	s_mul_i32 s11, s15, s33
	v_mul_lo_u32 v6, s26, v12
	s_ashr_i32 s42, s31, 31
	v_mul_lo_u32 v3, v3, s22
	s_wait_alu 0xfffe
	s_sub_co_i32 s11, s36, s11
	v_lshlrev_b32_e32 v8, 2, v20
	v_and_b32_e32 v38, 28, v10
	v_lshlrev_b32_e32 v36, 2, v20
	v_mov_b32_e32 v20, 32
	v_lshlrev_b32_e32 v14, 2, v21
	s_ashr_i32 s3, s3, 1
	v_sub_nc_u32_e32 v3, v11, v3
	v_mul_lo_u32 v11, s14, v15
	s_xor_b32 s5, s42, s43
	s_add_co_i32 s37, s15, 1
	s_wait_alu 0xfffe
	s_sub_co_i32 s36, s11, s33
	s_cmp_ge_u32 s11, s33
	v_mul_lo_u32 v13, s14, v12
	s_cselect_b32 s15, s37, s15
	s_cselect_b32 s11, s36, s11
	v_add3_u32 v26, v7, v8, 64
	v_mad_u32_u24 v27, 0x70, v12, v14
	v_lshl_add_u32 v8, s26, 4, v6
	v_mul_u32_u24_e32 v10, 0xc0, v12
	v_lshlrev_b32_e32 v12, 2, v38
	v_lshl_add_u32 v39, s14, 3, v11
	s_wait_alu 0xfffe
	s_add_co_i32 s36, s15, 1
	s_cmp_ge_u32 s11, s33
	v_ashrrev_i32_e32 v5, 31, v4
	s_cselect_b32 s11, s36, s15
	v_ashrrev_i32_e32 v7, 31, v6
	v_ashrrev_i32_e32 v9, 31, v8
	v_or_b32_e32 v10, v10, v14
	v_mad_u32_u24 v33, 0xc0, v15, v12
	v_ashrrev_i32_e32 v14, 31, v13
	v_ashrrev_i32_e32 v12, 31, v11
	;; [unrolled: 1-line block ×3, first 2 shown]
	s_wait_alu 0xfffe
	s_xor_b32 s11, s11, s5
	s_mul_u64 s[24:25], s[24:25], s[28:29]
	v_lshl_add_u32 v31, v2, 6, 0x1000
	s_wait_alu 0xfffe
	s_sub_co_i32 s5, s11, s5
	s_add_nc_u64 s[6:7], s[6:7], s[24:25]
	s_wait_kmcnt 0x0
	s_mul_u64 s[24:25], s[38:39], s[28:29]
	v_mad_co_u64_u32 v[2:3], null, v3, s3, v[1:2]
	s_wait_alu 0xfffe
	s_mul_i32 s36, s5, s41
	s_add_nc_u64 s[8:9], s[8:9], s[24:25]
	s_mul_i32 s24, s5, s27
	v_add_nc_u32_e32 v34, 0x80, v10
	v_lshlrev_b64_e32 v[3:4], 2, v[4:5]
	v_lshlrev_b64_e32 v[5:6], 2, v[6:7]
	;; [unrolled: 1-line block ×6, first 2 shown]
	v_add_nc_u32_e32 v29, 0x700, v27
	v_mul_u32_u24_e32 v30, 0x70, v1
	v_lshl_add_u32 v32, v1, 1, v31
	v_add_nc_u32_e32 v35, 0x600, v33
	v_mov_b32_e32 v15, 0xfeffffff
	v_lshlrev_b32_e32 v37, 2, v21
	v_xor_b32_e32 v25, 16, v19
	v_xor_b32_e32 v24, 8, v19
	;; [unrolled: 1-line block ×5, first 2 shown]
	v_lshlrev_b32_e32 v38, 2, v38
	v_add_nc_u32_e32 v39, 0x400, v18
	v_add_nc_u32_e32 v40, 0x800, v18
	s_ashr_i32 s37, s36, 31
	s_wait_alu 0xfffe
	s_ashr_i32 s25, s24, 31
	s_add_nc_u64 s[6:7], s[6:7], s[36:37]
	s_wait_alu 0xfffe
	s_add_nc_u64 s[8:9], s[8:9], s[24:25]
	s_ashr_i32 s27, s26, 31
	s_ashr_i32 s15, s14, 31
	s_add_nc_u64 s[20:21], s[0:1], 0xd0
.LBB49_11:                              ; =>This Inner Loop Header: Depth=1
	s_ashr_i32 s11, s10, 31
	s_wait_alu 0xfffe
	s_mul_u64 s[24:25], s[10:11], s[26:27]
	s_mul_u64 s[36:37], s[10:11], s[14:15]
	s_wait_alu 0xfffe
	s_lshl_b64 s[24:25], s[24:25], 2
	s_lshl_b64 s[36:37], s[36:37], 2
	s_wait_alu 0xfffe
	s_add_nc_u64 s[24:25], s[6:7], s[24:25]
	s_add_nc_u64 s[36:37], s[8:9], s[36:37]
	s_wait_alu 0xfffe
	v_add_co_u32 v43, vcc_lo, s24, v3
	s_wait_alu 0xfffd
	v_add_co_ci_u32_e64 v44, null, s25, v4, vcc_lo
	v_add_co_u32 v45, vcc_lo, s24, v5
	s_wait_alu 0xfffd
	v_add_co_ci_u32_e64 v46, null, s25, v6, vcc_lo
	;; [unrolled: 3-line block ×6, first 2 shown]
	s_clause 0x2
	global_load_b128 v[44:47], v[56:57], off offset:64
	global_load_b128 v[48:51], v[58:59], off
	global_load_b128 v[52:55], v[60:61], off
	v_mov_b32_e32 v43, 0
	s_or_b32 s24, s10, 16
	s_wait_loadcnt 0x2
	ds_store_b128 v26, v[44:47]
	s_wait_loadcnt 0x1
	ds_store_b128 v27, v[48:51]
	;; [unrolled: 2-line block ×3, first 2 shown]
	s_wait_dscnt 0x0
	s_barrier_signal -1
	s_barrier_wait -1
	global_inv scope:SCOPE_SE
	ds_load_b128 v[44:47], v30
	ds_load_b128 v[48:51], v17
	s_wait_alu 0xfffe
	s_ashr_i32 s25, s24, 31
	s_wait_dscnt 0x0
	;;#ASMSTART
	v_dot2_f32_f16 v43, v44, v48, v43
	;;#ASMEND
	;;#ASMSTART
	v_dot2_f32_f16 v43, v45, v49, v43
	;;#ASMEND
	;; [unrolled: 3-line block ×4, first 2 shown]
	ds_load_b128 v[44:47], v30 offset:16
	ds_load_b128 v[48:51], v17 offset:16
	s_wait_alu 0xfffe
	s_mul_u64 s[24:25], s[24:25], s[14:15]
	s_wait_dscnt 0x0
	;;#ASMSTART
	v_dot2_f32_f16 v43, v44, v48, v43
	;;#ASMEND
	;;#ASMSTART
	v_dot2_f32_f16 v43, v45, v49, v43
	;;#ASMEND
	;; [unrolled: 3-line block ×4, first 2 shown]
	ds_load_b128 v[44:47], v30 offset:32
	ds_load_b128 v[48:51], v17 offset:32
	s_wait_alu 0xfffe
	s_lshl_b64 s[24:25], s[24:25], 2
	s_wait_dscnt 0x0
	;;#ASMSTART
	v_dot2_f32_f16 v43, v44, v48, v43
	;;#ASMEND
	;;#ASMSTART
	v_dot2_f32_f16 v43, v45, v49, v43
	;;#ASMEND
	;; [unrolled: 3-line block ×4, first 2 shown]
	ds_load_b128 v[44:47], v30 offset:48
	ds_load_b128 v[48:51], v17 offset:48
	s_wait_alu 0xfffe
	s_add_nc_u64 s[24:25], s[8:9], s[24:25]
	s_wait_dscnt 0x0
	;;#ASMSTART
	v_dot2_f32_f16 v43, v44, v48, v43
	;;#ASMEND
	;;#ASMSTART
	v_dot2_f32_f16 v43, v45, v49, v43
	;;#ASMEND
	;; [unrolled: 3-line block ×4, first 2 shown]
	ds_load_b128 v[44:47], v30 offset:64
	ds_load_b128 v[48:51], v17 offset:64
	s_wait_dscnt 0x0
	;;#ASMSTART
	v_dot2_f32_f16 v43, v44, v48, v43
	;;#ASMEND
	;;#ASMSTART
	v_dot2_f32_f16 v43, v45, v49, v43
	;;#ASMEND
	;; [unrolled: 3-line block ×4, first 2 shown]
	ds_load_b128 v[44:47], v30 offset:80
	ds_load_b128 v[48:51], v17 offset:80
	s_wait_dscnt 0x0
	;;#ASMSTART
	v_dot2_f32_f16 v43, v44, v48, v43
	;;#ASMEND
	;;#ASMSTART
	v_dot2_f32_f16 v43, v45, v49, v43
	;;#ASMEND
	;; [unrolled: 3-line block ×4, first 2 shown]
	s_wait_loadcnt 0x0
	s_barrier_signal -1
	s_barrier_wait -1
	global_inv scope:SCOPE_SE
	s_clause 0x2
	global_load_b128 v[44:47], v[56:57], off offset:160
	global_load_b128 v[48:51], v[58:59], off offset:96
	global_load_b128 v[52:55], v[60:61], off offset:96
	v_add_nc_u32_e32 v56, s10, v2
	s_wait_loadcnt 0x2
	ds_store_b128 v26, v[44:47]
	s_wait_loadcnt 0x1
	ds_store_b128 v27, v[48:51]
	;; [unrolled: 2-line block ×3, first 2 shown]
	s_wait_dscnt 0x0
	s_barrier_signal -1
	s_barrier_wait -1
	global_inv scope:SCOPE_SE
	ds_load_b128 v[44:47], v30
	ds_load_b128 v[48:51], v17 offset:96
	s_wait_dscnt 0x0
	;;#ASMSTART
	v_dot2_f32_f16 v43, v44, v48, v43
	;;#ASMEND
	;;#ASMSTART
	v_dot2_f32_f16 v43, v45, v49, v43
	;;#ASMEND
	;;#ASMSTART
	v_dot2_f32_f16 v43, v46, v50, v43
	;;#ASMEND
	;;#ASMSTART
	v_dot2_f32_f16 v43, v47, v51, v43
	;;#ASMEND
	ds_load_b128 v[44:47], v30 offset:16
	ds_load_b128 v[48:51], v17 offset:112
	s_wait_dscnt 0x0
	;;#ASMSTART
	v_dot2_f32_f16 v43, v44, v48, v43
	;;#ASMEND
	;;#ASMSTART
	v_dot2_f32_f16 v43, v45, v49, v43
	;;#ASMEND
	;;#ASMSTART
	v_dot2_f32_f16 v43, v46, v50, v43
	;;#ASMEND
	;;#ASMSTART
	v_dot2_f32_f16 v43, v47, v51, v43
	;;#ASMEND
	ds_load_b128 v[44:47], v30 offset:32
	;; [unrolled: 15-line block ×5, first 2 shown]
	ds_load_b128 v[48:51], v17 offset:176
	v_ashrrev_i32_e32 v57, 31, v56
	s_wait_dscnt 0x0
	;;#ASMSTART
	v_dot2_f32_f16 v43, v44, v48, v43
	;;#ASMEND
	s_delay_alu instid0(VALU_DEP_1) | instskip(SKIP_3) | instid1(VALU_DEP_1)
	v_lshlrev_b64_e32 v[56:57], 1, v[56:57]
	;;#ASMSTART
	v_dot2_f32_f16 v43, v45, v49, v43
	;;#ASMEND
	;;#ASMSTART
	v_dot2_f32_f16 v43, v46, v50, v43
	;;#ASMEND
	;; [unrolled: 3-line block ×3, first 2 shown]
	v_add_co_u32 v56, vcc_lo, s34, v56
	s_wait_alu 0xfffd
	v_add_co_ci_u32_e64 v57, null, s35, v57, vcc_lo
	v_cmp_gt_i32_e32 vcc_lo, 32, v25
	global_load_u16 v56, v[56:57], off
	v_mov_b32_e32 v57, v15
	s_wait_alu 0xfffd
	v_cndmask_b32_e32 v15, v19, v25, vcc_lo
	v_cmp_gt_i32_e32 vcc_lo, 32, v24
	s_wait_loadcnt 0x0
	s_barrier_signal -1
	s_barrier_wait -1
	global_inv scope:SCOPE_SE
	s_wait_alu 0xfffd
	v_cndmask_b32_e32 v44, v19, v24, vcc_lo
	v_cmp_gt_i32_e32 vcc_lo, 32, v23
	s_wait_alu 0xfffd
	v_cndmask_b32_e32 v45, v19, v23, vcc_lo
	v_cmp_gt_i32_e32 vcc_lo, 32, v22
	;; [unrolled: 3-line block ×3, first 2 shown]
	s_delay_alu instid0(VALU_DEP_2)
	v_lshlrev_b32_e32 v60, 2, v46
	v_lshlrev_b32_e32 v15, 2, v15
	;; [unrolled: 1-line block ×3, first 2 shown]
	v_max_num_f32_e32 v62, v57, v57
	v_lshlrev_b32_e32 v59, 2, v45
	v_cvt_f32_f16_e32 v56, v56
	s_delay_alu instid0(VALU_DEP_1)
	v_add_f32_e32 v43, v43, v56
	s_wait_alu 0xfffd
	v_cndmask_b32_e32 v47, v19, v21, vcc_lo
	v_add_co_u32 v44, vcc_lo, s36, v9
	s_wait_alu 0xfffd
	v_add_co_ci_u32_e64 v45, null, s37, v10, vcc_lo
	v_add_co_u32 v46, vcc_lo, s36, v11
	v_add_f32_e32 v56, 0x40051340, v43
	v_lshlrev_b32_e32 v61, 2, v47
	s_wait_alu 0xfffd
	v_add_co_ci_u32_e64 v47, null, s37, v12, vcc_lo
	v_add_co_u32 v50, vcc_lo, s36, v13
	s_wait_alu 0xfffd
	v_add_co_ci_u32_e64 v51, null, s37, v14, vcc_lo
	s_wait_alu 0xfffe
	v_add_co_u32 v54, vcc_lo, s24, v9
	s_wait_alu 0xfffd
	v_add_co_ci_u32_e64 v55, null, s25, v10, vcc_lo
	v_add_co_u32 v63, vcc_lo, s24, v11
	s_wait_alu 0xfffd
	v_add_co_ci_u32_e64 v64, null, s25, v12, vcc_lo
	;; [unrolled: 3-line block ×7, first 2 shown]
	s_clause 0x2
	global_load_b128 v[44:47], v[44:45], off offset:128
	global_load_b128 v[48:51], v[48:49], off
	global_load_b128 v[52:55], v[52:53], off
	v_max_num_f32_e32 v56, v62, v56
	v_add_co_u32 v87, vcc_lo, v63, v38
	s_wait_alu 0xfffd
	v_add_co_ci_u32_e64 v88, null, 0, v64, vcc_lo
	ds_bpermute_b32 v15, v15, v56
	v_add_co_u32 v89, vcc_lo, v65, v38
	s_wait_alu 0xfffd
	v_add_co_ci_u32_e64 v90, null, 0, v66, vcc_lo
	s_wait_dscnt 0x0
	v_max_num_f32_e32 v15, v15, v15
	s_delay_alu instid0(VALU_DEP_1) | instskip(SKIP_3) | instid1(VALU_DEP_1)
	v_max_num_f32_e32 v15, v56, v15
	ds_bpermute_b32 v56, v58, v15
	s_wait_dscnt 0x0
	v_max_num_f32_e32 v56, v56, v56
	v_max_num_f32_e32 v15, v15, v56
	ds_bpermute_b32 v56, v59, v15
	s_wait_dscnt 0x0
	v_max_num_f32_e32 v56, v56, v56
	s_delay_alu instid0(VALU_DEP_1) | instskip(SKIP_3) | instid1(VALU_DEP_1)
	v_max_num_f32_e32 v15, v15, v56
	ds_bpermute_b32 v56, v60, v15
	s_wait_dscnt 0x0
	v_max_num_f32_e32 v56, v56, v56
	v_max_num_f32_e32 v15, v15, v56
	ds_bpermute_b32 v56, v61, v15
	s_wait_dscnt 0x0
	v_max_num_f32_e32 v56, v56, v56
	s_delay_alu instid0(VALU_DEP_1) | instskip(NEXT) | instid1(VALU_DEP_1)
	v_max_num_f32_e32 v15, v15, v56
	v_sub_f32_e32 v56, v57, v15
	s_delay_alu instid0(VALU_DEP_1) | instskip(SKIP_1) | instid1(VALU_DEP_2)
	v_mul_f32_e32 v58, 0x3fb8aa3b, v56
	v_cmp_ngt_f32_e32 vcc_lo, 0xc2ce8ed0, v56
	v_fma_f32 v61, 0x3fb8aa3b, v56, -v58
	v_rndne_f32_e32 v62, v58
	s_delay_alu instid0(VALU_DEP_1) | instskip(SKIP_1) | instid1(VALU_DEP_2)
	v_dual_fmac_f32 v61, 0x32a5705f, v56 :: v_dual_sub_f32 v58, v58, v62
	v_cvt_i32_f32_e32 v62, v62
	v_add_f32_e32 v58, v58, v61
	s_delay_alu instid0(VALU_DEP_1) | instskip(NEXT) | instid1(TRANS32_DEP_1)
	v_exp_f32_e32 v58, v58
	v_ldexp_f32 v58, v58, v62
	s_wait_alu 0xfffd
	s_delay_alu instid0(VALU_DEP_1) | instskip(SKIP_2) | instid1(VALU_DEP_2)
	v_cndmask_b32_e32 v58, 0, v58, vcc_lo
	v_cmp_nlt_f32_e32 vcc_lo, 0x42b17218, v56
	s_wait_alu 0xfffd
	v_dual_cndmask_b32 v92, 0x7f800000, v58 :: v_dual_sub_f32 v43, v43, v15
	s_delay_alu instid0(VALU_DEP_1) | instskip(NEXT) | instid1(VALU_DEP_2)
	v_cvt_f16_f32_e32 v56, v92
	v_mul_f32_e32 v57, 0x3fb8aa3b, v43
	v_cmp_ngt_f32_e64 s3, 0xc2ce8ed0, v43
	s_delay_alu instid0(VALU_DEP_2) | instskip(SKIP_1) | instid1(VALU_DEP_2)
	v_fma_f32 v59, 0x3fb8aa3b, v43, -v57
	v_rndne_f32_e32 v60, v57
	v_fmac_f32_e32 v59, 0x32a5705f, v43
	s_delay_alu instid0(VALU_DEP_2) | instskip(SKIP_1) | instid1(VALU_DEP_2)
	v_sub_f32_e32 v57, v57, v60
	v_cvt_i32_f32_e32 v60, v60
	v_add_f32_e32 v57, v57, v59
	s_delay_alu instid0(VALU_DEP_1) | instskip(NEXT) | instid1(TRANS32_DEP_1)
	v_exp_f32_e32 v57, v57
	v_ldexp_f32 v57, v57, v60
	s_wait_alu 0xf1ff
	s_delay_alu instid0(VALU_DEP_1) | instskip(SKIP_2) | instid1(VALU_DEP_1)
	v_cndmask_b32_e64 v57, 0, v57, s3
	v_cmp_nlt_f32_e64 s3, 0x42b17218, v43
	s_wait_alu 0xf1ff
	v_cndmask_b32_e64 v91, 0x7f800000, v57, s3
	v_and_b32_e32 v85, 0xffff, v56
	s_delay_alu instid0(VALU_DEP_2)
	v_cvt_f16_f32_e32 v43, v91
	ds_store_b16 v32, v43
	s_wait_loadcnt 0x2
	ds_store_b128 v34, v[44:47]
	s_wait_loadcnt 0x1
	ds_store_b128 v33, v[48:51]
	;; [unrolled: 2-line block ×3, first 2 shown]
	s_wait_dscnt 0x0
	s_barrier_signal -1
	s_barrier_wait -1
	global_inv scope:SCOPE_SE
	ds_load_b128 v[43:46], v31
	ds_load_2addr_b64 v[47:50], v18 offset1:24
	ds_load_b128 v[51:54], v31 offset:16
	ds_load_2addr_b64 v[55:58], v18 offset0:48 offset1:72
	ds_load_2addr_b64 v[59:62], v18 offset0:96 offset1:120
	;; [unrolled: 1-line block ×7, first 2 shown]
	v_mul_u32_u24_e32 v85, 0x10001, v85
	s_wait_loadcnt_dscnt 0x0
	s_barrier_signal -1
	s_barrier_wait -1
	global_inv scope:SCOPE_SE
	v_and_b32_e32 v86, 0xffff, v43
	v_lshrrev_b32_e32 v43, 16, v43
	v_lshrrev_b32_e32 v93, 16, v45
	;; [unrolled: 1-line block ×3, first 2 shown]
	v_and_b32_e32 v95, 0xffff, v45
	v_mul_u32_u24_e32 v86, 0x10001, v86
	v_mul_u32_u24_e32 v43, 0x10001, v43
	v_and_b32_e32 v96, 0xffff, v46
	s_delay_alu instid0(VALU_DEP_3) | instskip(SKIP_1) | instid1(VALU_DEP_2)
	v_pk_mul_f16 v47, v47, v86
	v_pk_mul_f16 v48, v48, v86
	v_pk_fma_f16 v28, v28, v85, v47
	s_delay_alu instid0(VALU_DEP_2)
	v_pk_fma_f16 v41, v41, v85, v48
	v_and_b32_e32 v48, 0xffff, v44
	v_lshrrev_b32_e32 v47, 16, v44
	global_load_b128 v[83:86], v[83:84], off offset:128
	v_pk_fma_f16 v28, v49, v43, v28
	v_pk_fma_f16 v41, v50, v43, v41
	v_mul_u32_u24_e32 v48, 0x10001, v48
	v_mul_u32_u24_e32 v47, 0x10001, v47
	global_load_b128 v[43:46], v[87:88], off
	v_mov_b32_e32 v88, v42
	v_mul_u32_u24_e32 v42, 0x10001, v95
	v_pk_fma_f16 v28, v55, v48, v28
	v_pk_fma_f16 v41, v56, v48, v41
	v_lshrrev_b32_e32 v87, 16, v51
	v_and_b32_e32 v51, 0xffff, v51
	v_lshrrev_b32_e32 v55, 16, v52
	v_pk_fma_f16 v28, v57, v47, v28
	v_pk_fma_f16 v41, v58, v47, v41
	global_load_b128 v[47:50], v[89:90], off
	v_mul_u32_u24_e32 v58, 0x10001, v93
	v_mul_u32_u24_e32 v89, 0x10001, v96
	v_pk_fma_f16 v28, v59, v42, v28
	v_pk_fma_f16 v41, v60, v42, v41
	v_mul_u32_u24_e32 v90, 0x10001, v94
	v_mul_u32_u24_e32 v51, 0x10001, v51
	v_and_b32_e32 v52, 0xffff, v52
	v_pk_fma_f16 v28, v61, v58, v28
	v_pk_fma_f16 v41, v62, v58, v41
	v_mul_u32_u24_e32 v87, 0x10001, v87
	v_lshrrev_b32_e32 v56, 16, v53
	v_mul_u32_u24_e32 v52, 0x10001, v52
	v_pk_fma_f16 v28, v63, v89, v28
	v_pk_fma_f16 v41, v64, v89, v41
	v_and_b32_e32 v53, 0xffff, v53
	v_mul_u32_u24_e32 v55, 0x10001, v55
	v_lshrrev_b32_e32 v57, 16, v54
	v_pk_fma_f16 v28, v65, v90, v28
	v_pk_fma_f16 v41, v66, v90, v41
	v_mul_u32_u24_e32 v53, 0x10001, v53
	v_and_b32_e32 v54, 0xffff, v54
	v_mul_u32_u24_e32 v56, 0x10001, v56
	v_pk_fma_f16 v28, v67, v51, v28
	v_pk_fma_f16 v41, v68, v51, v41
	v_mul_u32_u24_e32 v57, 0x10001, v57
	v_mul_u32_u24_e32 v54, 0x10001, v54
	s_wait_loadcnt 0x2
	ds_store_b128 v34, v[83:86]
	s_wait_loadcnt 0x1
	ds_store_b128 v33, v[43:46]
	;; [unrolled: 2-line block ×3, first 2 shown]
	v_pk_fma_f16 v28, v69, v87, v28
	v_pk_fma_f16 v41, v70, v87, v41
	s_wait_dscnt 0x0
	s_barrier_signal -1
	s_barrier_wait -1
	v_pk_fma_f16 v28, v71, v52, v28
	v_pk_fma_f16 v41, v72, v52, v41
	global_inv scope:SCOPE_SE
	v_pk_fma_f16 v28, v73, v55, v28
	v_pk_fma_f16 v41, v74, v55, v41
	s_delay_alu instid0(VALU_DEP_2) | instskip(NEXT) | instid1(VALU_DEP_2)
	v_pk_fma_f16 v28, v75, v53, v28
	v_pk_fma_f16 v41, v76, v53, v41
	s_delay_alu instid0(VALU_DEP_2) | instskip(NEXT) | instid1(VALU_DEP_2)
	;; [unrolled: 3-line block ×4, first 2 shown]
	v_pk_fma_f16 v28, v81, v57, v28
	v_pk_fma_f16 v77, v82, v57, v41
	ds_load_b128 v[41:44], v31 offset:32
	ds_load_b128 v[45:48], v31 offset:48
	ds_load_2addr_b64 v[49:52], v18 offset1:24
	ds_load_2addr_b64 v[53:56], v18 offset0:48 offset1:72
	ds_load_2addr_b64 v[57:60], v18 offset0:96 offset1:120
	;; [unrolled: 1-line block ×6, first 2 shown]
	s_wait_dscnt 0x8
	v_lshrrev_b32_e32 v78, 16, v41
	v_and_b32_e32 v41, 0xffff, v41
	v_lshrrev_b32_e32 v79, 16, v42
	v_and_b32_e32 v42, 0xffff, v42
	v_and_b32_e32 v82, 0xffff, v43
	v_mul_u32_u24_e32 v78, 0x10001, v78
	v_mul_u32_u24_e32 v41, 0x10001, v41
	;; [unrolled: 1-line block ×4, first 2 shown]
	v_lshrrev_b32_e32 v80, 16, v43
	v_mul_u32_u24_e32 v82, 0x10001, v82
	s_wait_dscnt 0x6
	v_pk_fma_f16 v28, v49, v41, v28
	v_pk_fma_f16 v41, v50, v41, v77
	v_and_b32_e32 v83, 0xffff, v44
	v_mul_u32_u24_e32 v80, 0x10001, v80
	v_lshrrev_b32_e32 v81, 16, v44
	v_pk_fma_f16 v28, v51, v78, v28
	v_pk_fma_f16 v41, v52, v78, v41
	v_mul_u32_u24_e32 v83, 0x10001, v83
	v_and_b32_e32 v89, 0xffff, v45
	v_mul_u32_u24_e32 v81, 0x10001, v81
	s_wait_dscnt 0x5
	v_pk_fma_f16 v28, v53, v42, v28
	v_pk_fma_f16 v41, v54, v42, v41
	v_lshrrev_b32_e32 v84, 16, v45
	v_mul_u32_u24_e32 v89, 0x10001, v89
	v_and_b32_e32 v90, 0xffff, v46
	v_pk_fma_f16 v28, v55, v79, v28
	v_pk_fma_f16 v41, v56, v79, v41
	v_mul_u32_u24_e32 v84, 0x10001, v84
	v_lshrrev_b32_e32 v85, 16, v46
	v_mul_u32_u24_e32 v90, 0x10001, v90
	s_wait_dscnt 0x4
	v_pk_fma_f16 v28, v57, v82, v28
	v_pk_fma_f16 v41, v58, v82, v41
	v_lshrrev_b32_e32 v86, 16, v47
	v_and_b32_e32 v47, 0xffff, v47
	ds_load_2addr_b64 v[43:46], v40 offset0:80 offset1:104
	v_pk_fma_f16 v28, v59, v80, v28
	v_pk_fma_f16 v41, v60, v80, v41
	v_mul_u32_u24_e32 v85, 0x10001, v85
	s_wait_loadcnt_dscnt 0x0
	s_barrier_signal -1
	v_pk_fma_f16 v28, v61, v83, v28
	v_pk_fma_f16 v41, v62, v83, v41
	s_barrier_wait -1
	global_inv scope:SCOPE_SE
	s_load_b32 s3, s[20:21], 0x4
	v_pk_fma_f16 v28, v63, v81, v28
	v_pk_fma_f16 v41, v64, v81, v41
	v_mul_u32_u24_e32 v47, 0x10001, v47
	v_lshrrev_b32_e32 v87, 16, v48
	v_and_b32_e32 v48, 0xffff, v48
	v_pk_fma_f16 v28, v65, v89, v28
	v_pk_fma_f16 v41, v66, v89, v41
	v_mul_u32_u24_e32 v86, 0x10001, v86
	v_mov_b32_e32 v42, v91
	v_mul_u32_u24_e32 v48, 0x10001, v48
	v_pk_fma_f16 v28, v67, v84, v28
	v_pk_fma_f16 v41, v68, v84, v41
	s_delay_alu instid0(VALU_DEP_4) | instskip(NEXT) | instid1(VALU_DEP_3)
	v_fmac_f32_e32 v42, v88, v92
	v_pk_fma_f16 v28, v69, v90, v28
	s_delay_alu instid0(VALU_DEP_3) | instskip(SKIP_2) | instid1(VALU_DEP_2)
	v_pk_fma_f16 v41, v70, v90, v41
	s_wait_kmcnt 0x0
	s_lshl_b32 s3, s3, 5
	v_pk_fma_f16 v28, v71, v85, v28
	s_delay_alu instid0(VALU_DEP_2)
	v_pk_fma_f16 v41, v72, v85, v41
	s_wait_alu 0xfffe
	s_add_co_i32 s10, s3, s10
	s_wait_alu 0xfffe
	s_cmp_ge_i32 s10, s30
	v_pk_fma_f16 v28, v73, v47, v28
	v_pk_fma_f16 v41, v74, v47, v41
	v_mul_u32_u24_e32 v47, 0x10001, v87
	s_delay_alu instid0(VALU_DEP_3) | instskip(NEXT) | instid1(VALU_DEP_3)
	v_pk_fma_f16 v28, v75, v86, v28
	v_pk_fma_f16 v41, v76, v86, v41
	s_delay_alu instid0(VALU_DEP_2) | instskip(NEXT) | instid1(VALU_DEP_2)
	v_pk_fma_f16 v28, v43, v48, v28
	v_pk_fma_f16 v41, v44, v48, v41
	s_delay_alu instid0(VALU_DEP_2) | instskip(NEXT) | instid1(VALU_DEP_2)
	v_pk_fma_f16 v28, v45, v47, v28
	v_pk_fma_f16 v41, v46, v47, v41
	s_cbranch_scc0 .LBB49_11
; %bb.12:
	v_mov_b32_e32 v3, v19
.LBB49_13:
	v_cmp_lt_i32_e32 vcc_lo, v25, v20
	s_cmp_lg_u64 s[12:13], 0
	s_cselect_b32 s3, -1, 0
	s_cmp_eq_u32 s4, 0
	s_wait_alu 0xfffd
	v_cndmask_b32_e32 v2, v3, v25, vcc_lo
	v_cmp_lt_i32_e32 vcc_lo, v24, v20
	s_cselect_b32 s5, -1, 0
	s_wait_alu 0xfffe
	s_and_b32 s3, s5, s3
	s_wait_alu 0xfffd
	v_cndmask_b32_e32 v4, v3, v24, vcc_lo
	v_cmp_lt_i32_e32 vcc_lo, v23, v20
	s_wait_alu 0xfffd
	v_dual_cndmask_b32 v5, v3, v23 :: v_dual_lshlrev_b32 v2, 2, v2
	ds_bpermute_b32 v2, v2, v42
	v_cmp_lt_i32_e32 vcc_lo, v22, v20
	v_lshlrev_b32_e32 v5, 2, v5
	v_lshlrev_b32_e32 v4, 2, v4
	s_wait_dscnt 0x0
	v_add_f32_e32 v2, v42, v2
	ds_bpermute_b32 v4, v4, v2
	s_wait_dscnt 0x0
	v_add_f32_e32 v2, v2, v4
	ds_bpermute_b32 v4, v5, v2
	s_wait_alu 0xfffd
	v_cndmask_b32_e32 v5, v3, v22, vcc_lo
	v_cmp_lt_i32_e32 vcc_lo, v21, v20
	s_delay_alu instid0(VALU_DEP_2)
	v_lshlrev_b32_e32 v5, 2, v5
	s_wait_alu 0xfffd
	v_cndmask_b32_e32 v3, v3, v21, vcc_lo
	s_wait_alu 0xfffe
	s_and_b32 vcc_lo, exec_lo, s3
	s_wait_dscnt 0x0
	s_delay_alu instid0(VALU_DEP_1)
	v_dual_add_f32 v2, v2, v4 :: v_dual_lshlrev_b32 v3, 2, v3
	ds_bpermute_b32 v4, v5, v2
	s_wait_dscnt 0x0
	v_add_f32_e32 v4, v2, v4
	v_add_nc_u32_e32 v2, s31, v16
	ds_bpermute_b32 v3, v3, v4
	s_wait_dscnt 0x0
	v_add_f32_e32 v16, v4, v3
	s_wait_alu 0xfffe
	s_cbranch_vccz .LBB49_15
; %bb.14:
	v_ashrrev_i32_e32 v3, 31, v2
	s_delay_alu instid0(VALU_DEP_1) | instskip(NEXT) | instid1(VALU_DEP_1)
	v_lshlrev_b64_e32 v[3:4], 2, v[2:3]
	v_add_co_u32 v3, vcc_lo, s12, v3
	s_wait_alu 0xfffd
	s_delay_alu instid0(VALU_DEP_2) | instskip(SKIP_4) | instid1(VALU_DEP_1)
	v_add_co_ci_u32_e64 v4, null, s13, v4, vcc_lo
	global_load_b32 v3, v[3:4], off
	v_max_num_f32_e32 v4, v15, v15
	s_wait_loadcnt 0x0
	v_max_num_f32_e32 v5, v3, v3
	v_max_num_f32_e32 v4, v4, v5
	s_delay_alu instid0(VALU_DEP_1) | instskip(NEXT) | instid1(VALU_DEP_1)
	v_sub_f32_e32 v3, v3, v4
	v_mul_f32_e32 v9, 0x3fb8aa3b, v3
	v_sub_f32_e32 v5, v15, v4
	v_mov_b32_e32 v15, v4
	s_delay_alu instid0(VALU_DEP_3) | instskip(NEXT) | instid1(VALU_DEP_3)
	v_rndne_f32_e32 v11, v9
	v_mul_f32_e32 v6, 0x3fb8aa3b, v5
	s_delay_alu instid0(VALU_DEP_1) | instskip(SKIP_1) | instid1(VALU_DEP_1)
	v_fma_f32 v7, 0x3fb8aa3b, v5, -v6
	v_rndne_f32_e32 v8, v6
	v_dual_fmac_f32 v7, 0x32a5705f, v5 :: v_dual_sub_f32 v6, v6, v8
	v_cvt_i32_f32_e32 v8, v8
	s_delay_alu instid0(VALU_DEP_2) | instskip(SKIP_2) | instid1(VALU_DEP_3)
	v_add_f32_e32 v6, v6, v7
	v_cmp_ngt_f32_e32 vcc_lo, 0xc2ce8ed0, v5
	v_sub_f32_e32 v7, v9, v11
	v_exp_f32_e32 v6, v6
	s_delay_alu instid0(TRANS32_DEP_1) | instskip(SKIP_2) | instid1(VALU_DEP_2)
	v_ldexp_f32 v6, v6, v8
	v_cvt_i32_f32_e32 v8, v11
	s_wait_alu 0xfffd
	v_cndmask_b32_e32 v6, 0, v6, vcc_lo
	v_fma_f32 v10, 0x3fb8aa3b, v3, -v9
	v_cmp_nlt_f32_e32 vcc_lo, 0x42b17218, v5
	s_wait_alu 0xfffd
	s_delay_alu instid0(VALU_DEP_3) | instskip(NEXT) | instid1(VALU_DEP_3)
	v_cndmask_b32_e32 v5, 0x7f800000, v6, vcc_lo
	v_fmac_f32_e32 v10, 0x32a5705f, v3
	v_cmp_ngt_f32_e32 vcc_lo, 0xc2ce8ed0, v3
	s_delay_alu instid0(VALU_DEP_2) | instskip(NEXT) | instid1(VALU_DEP_1)
	v_add_f32_e32 v7, v7, v10
	v_exp_f32_e32 v7, v7
	s_delay_alu instid0(TRANS32_DEP_1) | instskip(SKIP_1) | instid1(VALU_DEP_1)
	v_ldexp_f32 v7, v7, v8
	s_wait_alu 0xfffd
	v_cndmask_b32_e32 v6, 0, v7, vcc_lo
	v_cmp_nlt_f32_e32 vcc_lo, 0x42b17218, v3
	s_wait_alu 0xfffd
	s_delay_alu instid0(VALU_DEP_2) | instskip(NEXT) | instid1(VALU_DEP_1)
	v_cndmask_b32_e32 v3, 0x7f800000, v6, vcc_lo
	v_fmac_f32_e32 v3, v16, v5
	s_delay_alu instid0(VALU_DEP_1) | instskip(SKIP_1) | instid1(VALU_DEP_1)
	v_mov_b32_e32 v16, v3
	v_cvt_f16_f32_e32 v7, v5
	v_and_b32_e32 v6, 0xffff, v7
	s_delay_alu instid0(VALU_DEP_1) | instskip(NEXT) | instid1(VALU_DEP_1)
	v_mul_u32_u24_e32 v5, 0x10001, v6
	v_pk_mul_f16 v28, v28, v5
	v_pk_mul_f16 v41, v41, v5
.LBB49_15:
	s_load_b32 s0, s[0:1], 0xd4
	s_mul_i32 s1, s28, s22
	s_wait_alu 0xfffe
	v_add3_u32 v0, s1, ttmp9, v0
	s_delay_alu instid0(VALU_DEP_1) | instskip(SKIP_1) | instid1(VALU_DEP_1)
	v_mad_co_u64_u32 v[2:3], null, v0, s23, v[2:3]
	s_wait_kmcnt 0x0
	v_mad_co_u64_u32 v[2:3], null, s0, v2, s[4:5]
	s_cmp_lg_u32 s0, 1
	s_cselect_b32 s0, -1, 0
	s_and_saveexec_b32 s1, s2
	s_cbranch_execz .LBB49_17
; %bb.16:
	v_div_scale_f32 v0, null, v16, v16, 1.0
	v_div_scale_f32 v5, vcc_lo, 1.0, v16, 1.0
	v_cvt_f32_f16_e32 v9, v41
	s_delay_alu instid0(VALU_DEP_3) | instskip(SKIP_2) | instid1(TRANS32_DEP_1)
	v_rcp_f32_e32 v3, v0
	v_mul_lo_u32 v7, 0x60, v2
	v_cvt_f32_f16_e32 v10, v28
	v_fma_f32 v4, -v0, v3, 1.0
	s_delay_alu instid0(VALU_DEP_1) | instskip(NEXT) | instid1(VALU_DEP_1)
	v_fmac_f32_e32 v3, v4, v3
	v_mul_f32_e32 v6, v5, v3
	s_delay_alu instid0(VALU_DEP_1) | instskip(NEXT) | instid1(VALU_DEP_1)
	v_fma_f32 v4, -v0, v6, v5
	v_fmac_f32_e32 v6, v4, v3
	v_mov_b32_e32 v4, 0
	s_delay_alu instid0(VALU_DEP_2) | instskip(SKIP_2) | instid1(VALU_DEP_2)
	v_fma_f32 v0, -v0, v6, v5
	v_lshrrev_b32_e32 v5, 16, v41
	s_wait_alu 0xfffd
	v_div_fmas_f32 v0, v0, v3, v6
	v_lshl_add_u32 v3, v1, 2, v7
	v_lshrrev_b32_e32 v6, 16, v28
	v_cvt_f32_f16_e32 v5, v5
	s_delay_alu instid0(VALU_DEP_4) | instskip(NEXT) | instid1(VALU_DEP_4)
	v_div_fixup_f32 v0, v0, v16, 1.0
	v_lshlrev_b64_e32 v[3:4], 2, v[3:4]
	s_delay_alu instid0(VALU_DEP_4) | instskip(SKIP_1) | instid1(VALU_DEP_3)
	v_cvt_f32_f16_e32 v11, v6
	s_wait_alu 0xfffe
	v_cndmask_b32_e64 v0, v0, 1.0, s0
	s_delay_alu instid0(VALU_DEP_3) | instskip(SKIP_2) | instid1(VALU_DEP_3)
	v_add_co_u32 v7, vcc_lo, s16, v3
	s_wait_alu 0xfffd
	v_add_co_ci_u32_e64 v8, null, s17, v4, vcc_lo
	v_mul_f32_e32 v6, v0, v5
	v_mul_f32_e32 v5, v0, v9
	;; [unrolled: 1-line block ×4, first 2 shown]
	global_store_b128 v[7:8], v[3:6], off
.LBB49_17:
	s_wait_alu 0xfffe
	s_or_b32 exec_lo, exec_lo, s1
	v_cmp_eq_u32_e32 vcc_lo, 0, v1
	s_and_b32 s0, vcc_lo, s0
	s_wait_alu 0xfffe
	s_and_saveexec_b32 s1, s0
	s_cbranch_execz .LBB49_19
; %bb.18:
	v_ashrrev_i32_e32 v3, 31, v2
	s_delay_alu instid0(VALU_DEP_1) | instskip(NEXT) | instid1(VALU_DEP_1)
	v_lshlrev_b64_e32 v[0:1], 3, v[2:3]
	v_add_co_u32 v0, vcc_lo, s18, v0
	s_wait_alu 0xfffd
	s_delay_alu instid0(VALU_DEP_2)
	v_add_co_ci_u32_e64 v1, null, s19, v1, vcc_lo
	global_store_b64 v[0:1], v[15:16], off
.LBB49_19:
	s_nop 0
	s_sendmsg sendmsg(MSG_DEALLOC_VGPRS)
	s_endpgm
	.section	.rodata,"a",@progbits
	.p2align	6, 0x0
	.amdhsa_kernel _ZL15flash_attn_tileILi96ELi96ELi1ELi2ELb0EEvPKcS1_S1_S1_S1_PKiPfP15HIP_vector_typeIfLj2EEffffjfiS5_IjLj3EEiiiiiiiiiiiliiliiiiil
		.amdhsa_group_segment_fixed_size 4224
		.amdhsa_private_segment_fixed_size 0
		.amdhsa_kernarg_size 464
		.amdhsa_user_sgpr_count 2
		.amdhsa_user_sgpr_dispatch_ptr 0
		.amdhsa_user_sgpr_queue_ptr 0
		.amdhsa_user_sgpr_kernarg_segment_ptr 1
		.amdhsa_user_sgpr_dispatch_id 0
		.amdhsa_user_sgpr_private_segment_size 0
		.amdhsa_wavefront_size32 1
		.amdhsa_uses_dynamic_stack 0
		.amdhsa_enable_private_segment 0
		.amdhsa_system_sgpr_workgroup_id_x 1
		.amdhsa_system_sgpr_workgroup_id_y 1
		.amdhsa_system_sgpr_workgroup_id_z 1
		.amdhsa_system_sgpr_workgroup_info 0
		.amdhsa_system_vgpr_workitem_id 1
		.amdhsa_next_free_vgpr 97
		.amdhsa_next_free_sgpr 48
		.amdhsa_reserve_vcc 1
		.amdhsa_float_round_mode_32 0
		.amdhsa_float_round_mode_16_64 0
		.amdhsa_float_denorm_mode_32 3
		.amdhsa_float_denorm_mode_16_64 3
		.amdhsa_fp16_overflow 0
		.amdhsa_workgroup_processor_mode 1
		.amdhsa_memory_ordered 1
		.amdhsa_forward_progress 1
		.amdhsa_inst_pref_size 45
		.amdhsa_round_robin_scheduling 0
		.amdhsa_exception_fp_ieee_invalid_op 0
		.amdhsa_exception_fp_denorm_src 0
		.amdhsa_exception_fp_ieee_div_zero 0
		.amdhsa_exception_fp_ieee_overflow 0
		.amdhsa_exception_fp_ieee_underflow 0
		.amdhsa_exception_fp_ieee_inexact 0
		.amdhsa_exception_int_div_zero 0
	.end_amdhsa_kernel
	.section	.text._ZL15flash_attn_tileILi96ELi96ELi1ELi2ELb0EEvPKcS1_S1_S1_S1_PKiPfP15HIP_vector_typeIfLj2EEffffjfiS5_IjLj3EEiiiiiiiiiiiliiliiiiil,"axG",@progbits,_ZL15flash_attn_tileILi96ELi96ELi1ELi2ELb0EEvPKcS1_S1_S1_S1_PKiPfP15HIP_vector_typeIfLj2EEffffjfiS5_IjLj3EEiiiiiiiiiiiliiliiiiil,comdat
.Lfunc_end49:
	.size	_ZL15flash_attn_tileILi96ELi96ELi1ELi2ELb0EEvPKcS1_S1_S1_S1_PKiPfP15HIP_vector_typeIfLj2EEffffjfiS5_IjLj3EEiiiiiiiiiiiliiliiiiil, .Lfunc_end49-_ZL15flash_attn_tileILi96ELi96ELi1ELi2ELb0EEvPKcS1_S1_S1_S1_PKiPfP15HIP_vector_typeIfLj2EEffffjfiS5_IjLj3EEiiiiiiiiiiiliiliiiiil
                                        ; -- End function
	.set _ZL15flash_attn_tileILi96ELi96ELi1ELi2ELb0EEvPKcS1_S1_S1_S1_PKiPfP15HIP_vector_typeIfLj2EEffffjfiS5_IjLj3EEiiiiiiiiiiiliiliiiiil.num_vgpr, 97
	.set _ZL15flash_attn_tileILi96ELi96ELi1ELi2ELb0EEvPKcS1_S1_S1_S1_PKiPfP15HIP_vector_typeIfLj2EEffffjfiS5_IjLj3EEiiiiiiiiiiiliiliiiiil.num_agpr, 0
	.set _ZL15flash_attn_tileILi96ELi96ELi1ELi2ELb0EEvPKcS1_S1_S1_S1_PKiPfP15HIP_vector_typeIfLj2EEffffjfiS5_IjLj3EEiiiiiiiiiiiliiliiiiil.numbered_sgpr, 48
	.set _ZL15flash_attn_tileILi96ELi96ELi1ELi2ELb0EEvPKcS1_S1_S1_S1_PKiPfP15HIP_vector_typeIfLj2EEffffjfiS5_IjLj3EEiiiiiiiiiiiliiliiiiil.num_named_barrier, 0
	.set _ZL15flash_attn_tileILi96ELi96ELi1ELi2ELb0EEvPKcS1_S1_S1_S1_PKiPfP15HIP_vector_typeIfLj2EEffffjfiS5_IjLj3EEiiiiiiiiiiiliiliiiiil.private_seg_size, 0
	.set _ZL15flash_attn_tileILi96ELi96ELi1ELi2ELb0EEvPKcS1_S1_S1_S1_PKiPfP15HIP_vector_typeIfLj2EEffffjfiS5_IjLj3EEiiiiiiiiiiiliiliiiiil.uses_vcc, 1
	.set _ZL15flash_attn_tileILi96ELi96ELi1ELi2ELb0EEvPKcS1_S1_S1_S1_PKiPfP15HIP_vector_typeIfLj2EEffffjfiS5_IjLj3EEiiiiiiiiiiiliiliiiiil.uses_flat_scratch, 0
	.set _ZL15flash_attn_tileILi96ELi96ELi1ELi2ELb0EEvPKcS1_S1_S1_S1_PKiPfP15HIP_vector_typeIfLj2EEffffjfiS5_IjLj3EEiiiiiiiiiiiliiliiiiil.has_dyn_sized_stack, 0
	.set _ZL15flash_attn_tileILi96ELi96ELi1ELi2ELb0EEvPKcS1_S1_S1_S1_PKiPfP15HIP_vector_typeIfLj2EEffffjfiS5_IjLj3EEiiiiiiiiiiiliiliiiiil.has_recursion, 0
	.set _ZL15flash_attn_tileILi96ELi96ELi1ELi2ELb0EEvPKcS1_S1_S1_S1_PKiPfP15HIP_vector_typeIfLj2EEffffjfiS5_IjLj3EEiiiiiiiiiiiliiliiiiil.has_indirect_call, 0
	.section	.AMDGPU.csdata,"",@progbits
; Kernel info:
; codeLenInByte = 5724
; TotalNumSgprs: 50
; NumVgprs: 97
; ScratchSize: 0
; MemoryBound: 0
; FloatMode: 240
; IeeeMode: 1
; LDSByteSize: 4224 bytes/workgroup (compile time only)
; SGPRBlocks: 0
; VGPRBlocks: 12
; NumSGPRsForWavesPerEU: 50
; NumVGPRsForWavesPerEU: 97
; Occupancy: 12
; WaveLimiterHint : 1
; COMPUTE_PGM_RSRC2:SCRATCH_EN: 0
; COMPUTE_PGM_RSRC2:USER_SGPR: 2
; COMPUTE_PGM_RSRC2:TRAP_HANDLER: 0
; COMPUTE_PGM_RSRC2:TGID_X_EN: 1
; COMPUTE_PGM_RSRC2:TGID_Y_EN: 1
; COMPUTE_PGM_RSRC2:TGID_Z_EN: 1
; COMPUTE_PGM_RSRC2:TIDIG_COMP_CNT: 1
	.section	.text._ZL33flash_attn_stream_k_fixup_uniformILi96ELi1ELi2EEvPfPK15HIP_vector_typeIfLj2EEiiiiiiS1_IjLj3EES5_S5_,"axG",@progbits,_ZL33flash_attn_stream_k_fixup_uniformILi96ELi1ELi2EEvPfPK15HIP_vector_typeIfLj2EEiiiiiiS1_IjLj3EES5_S5_,comdat
	.globl	_ZL33flash_attn_stream_k_fixup_uniformILi96ELi1ELi2EEvPfPK15HIP_vector_typeIfLj2EEiiiiiiS1_IjLj3EES5_S5_ ; -- Begin function _ZL33flash_attn_stream_k_fixup_uniformILi96ELi1ELi2EEvPfPK15HIP_vector_typeIfLj2EEiiiiiiS1_IjLj3EES5_S5_
	.p2align	8
	.type	_ZL33flash_attn_stream_k_fixup_uniformILi96ELi1ELi2EEvPfPK15HIP_vector_typeIfLj2EEiiiiiiS1_IjLj3EES5_S5_,@function
_ZL33flash_attn_stream_k_fixup_uniformILi96ELi1ELi2EEvPfPK15HIP_vector_typeIfLj2EEiiiiiiS1_IjLj3EES5_S5_: ; @_ZL33flash_attn_stream_k_fixup_uniformILi96ELi1ELi2EEvPfPK15HIP_vector_typeIfLj2EEiiiiiiS1_IjLj3EES5_S5_
; %bb.0:
	s_clause 0x1
	s_load_b256 s[4:11], s[0:1], 0x1c
	s_load_b128 s[12:15], s[0:1], 0x3c
	s_wait_kmcnt 0x0
	s_mul_hi_u32 s2, s7, ttmp9
	s_delay_alu instid0(SALU_CYCLE_1) | instskip(NEXT) | instid1(SALU_CYCLE_1)
	s_add_co_i32 s2, ttmp9, s2
	s_lshr_b32 s7, s2, s8
	s_delay_alu instid0(SALU_CYCLE_1) | instskip(NEXT) | instid1(SALU_CYCLE_1)
	s_mul_i32 s2, s7, s9
	s_sub_co_i32 s9, ttmp9, s2
	s_load_b64 s[2:3], s[0:1], 0x10
	s_mul_hi_u32 s8, s9, s10
	s_delay_alu instid0(SALU_CYCLE_1) | instskip(NEXT) | instid1(SALU_CYCLE_1)
	s_add_co_i32 s8, s9, s8
	s_lshr_b32 s8, s8, s11
	s_delay_alu instid0(SALU_CYCLE_1) | instskip(NEXT) | instid1(SALU_CYCLE_1)
	s_mul_i32 s10, s8, s12
	s_sub_co_i32 s9, s9, s10
	s_delay_alu instid0(SALU_CYCLE_1) | instskip(NEXT) | instid1(SALU_CYCLE_1)
	s_mul_hi_u32 s10, s9, s13
	s_add_co_i32 s10, s9, s10
	s_delay_alu instid0(SALU_CYCLE_1)
	s_lshr_b32 s12, s10, s14
	s_and_b32 s10, ttmp7, 0xffff
	s_mul_i32 s11, s12, s15
	s_lshl_b32 s12, s12, 1
	s_sub_co_i32 s11, s9, s11
	s_lshr_b32 s9, ttmp7, 16
	s_add_co_i32 s11, s11, s10
	s_wait_kmcnt 0x0
	s_cmp_lt_i32 s11, s2
	s_cselect_b32 s13, -1, 0
	s_add_co_i32 s12, s12, s9
	s_delay_alu instid0(SALU_CYCLE_1) | instskip(SKIP_1) | instid1(SALU_CYCLE_1)
	s_cmp_lt_i32 s12, s5
	s_cselect_b32 s14, -1, 0
	s_and_b32 s13, s13, s14
	s_delay_alu instid0(SALU_CYCLE_1)
	s_and_not1_b32 vcc_lo, exec_lo, s13
	s_cbranch_vccnz .LBB50_6
; %bb.1:
	s_mul_i32 s7, s7, s2
	s_mul_i32 s8, s8, s5
	s_add_co_i32 s2, s11, s7
	s_add_co_i32 s5, s12, s8
	s_mul_i32 s7, s2, s3
	s_load_b128 s[0:3], s[0:1], 0x0
	s_add_co_i32 s5, s5, s7
	s_mul_i32 s8, s6, ttmp9
	v_mad_co_u64_u32 v[1:2], null, 0x60, s5, v[0:1]
	s_add_co_i32 s5, s8, s6
	s_wait_alu 0xfffe
	s_add_co_i32 s7, s5, -2
	v_ashrrev_i32_e32 v2, 31, v1
	s_delay_alu instid0(VALU_DEP_1) | instskip(SKIP_1) | instid1(VALU_DEP_1)
	v_lshlrev_b64_e32 v[1:2], 2, v[1:2]
	s_wait_kmcnt 0x0
	v_add_co_u32 v1, vcc_lo, s0, v1
	s_delay_alu instid0(VALU_DEP_1)
	v_add_co_ci_u32_e64 v2, null, s1, v2, vcc_lo
	s_add_co_i32 s0, s10, s5
	s_wait_alu 0xfffe
	s_lshl_b32 s0, s0, 1
	global_load_b32 v5, v[1:2], off
	s_wait_alu 0xfffe
	s_add_co_i32 s0, s0, s9
	s_wait_alu 0xfffe
	s_add_co_i32 s0, s0, -2
	s_wait_alu 0xfffe
	s_ashr_i32 s1, s0, 31
	s_wait_alu 0xfffe
	s_lshl_b64 s[0:1], s[0:1], 3
	s_cmp_lt_i32 s7, s8
	s_wait_alu 0xfffe
	s_add_nc_u64 s[0:1], s[2:3], s[0:1]
	s_load_b32 s11, s[0:1], 0x4
	s_cbranch_scc1 .LBB50_4
; %bb.2:
	s_load_b32 s0, s[0:1], 0x0
	s_lshl_b32 s12, s4, 3
	s_add_co_i32 s1, ttmp9, 1
	s_ashr_i32 s13, s12, 31
	s_wait_alu 0xfffe
	s_mul_i32 s1, s6, s1
	s_lshl_b64 s[12:13], s[12:13], 2
	s_add_co_i32 s4, s10, s4
	s_add_nc_u64 s[6:7], s[2:3], s[12:13]
	s_mul_i32 s12, s10, 0xc0
	s_mul_i32 s13, s9, 0x60
	s_wait_alu 0xfffe
	s_mulk_i32 s1, 0xc0
	s_add_co_i32 s12, s13, s12
	s_add_co_i32 s4, s4, s5
	s_wait_alu 0xfffe
	s_add_co_i32 s12, s12, s1
	s_lshl_b32 s1, s4, 1
	v_add3_u32 v3, s12, v0, 0xfffffe80
	s_wait_kmcnt 0x0
	v_mov_b32_e32 v6, s11
	s_wait_alu 0xfffe
	s_add_co_i32 s4, s9, s1
	s_add_co_i32 s1, s5, -1
	s_wait_alu 0xfffe
	s_add_co_i32 s4, s4, -4
.LBB50_3:                               ; =>This Inner Loop Header: Depth=1
	v_ashrrev_i32_e32 v4, 31, v3
	s_wait_alu 0xfffe
	s_ashr_i32 s5, s4, 31
	v_mov_b32_e32 v10, v6
	s_wait_alu 0xfffe
	s_lshl_b64 s[10:11], s[4:5], 3
	s_wait_loadcnt 0x0
	v_mov_b32_e32 v9, v5
	v_lshlrev_b64_e32 v[7:8], 2, v[3:4]
	s_wait_alu 0xfffe
	s_add_nc_u64 s[10:11], s[2:3], s[10:11]
	v_max_num_f32_e64 v4, s0, s0
	s_load_b64 s[10:11], s[10:11], 0x0
	v_add_nc_u32_e32 v3, 0xffffff40, v3
	v_add_co_u32 v7, vcc_lo, s6, v7
	s_wait_alu 0xfffd
	v_add_co_ci_u32_e64 v8, null, s7, v8, vcc_lo
	v_readfirstlane_b32 s5, v4
	global_load_b32 v0, v[7:8], off
	s_wait_kmcnt 0x0
	v_max_num_f32_e64 v4, s10, s10
	s_delay_alu instid0(VALU_DEP_1) | instskip(SKIP_2) | instid1(SALU_CYCLE_2)
	v_readfirstlane_b32 s9, v4
	s_max_num_f32 s5, s5, s9
	s_wait_alu 0xfffe
	s_sub_f32 s0, s0, s5
	s_sub_f32 s9, s10, s5
	s_wait_alu 0xfffe
	s_delay_alu instid0(SALU_CYCLE_1) | instskip(NEXT) | instid1(SALU_CYCLE_1)
	s_mul_f32 s10, s0, 0x3fb8aa3b
	s_mul_f32 s12, s9, 0x3fb8aa3b
	s_wait_alu 0xfffe
	s_delay_alu instid0(SALU_CYCLE_1)
	s_xor_b32 s13, s10, 0x80000000
	s_rndne_f32 s14, s10
	s_wait_alu 0xfffe
	s_fmamk_f32 s13, s0, 0x3fb8aa3b, s13
	s_cmp_nlt_f32 s0, 0xc2ce8ed0
	s_rndne_f32 s15, s12
	s_sub_f32 s10, s10, s14
	s_wait_alu 0xfffe
	s_fmamk_f32 s13, s0, 0x32a5705f, s13
	s_cvt_i32_f32 s14, s14
	s_cselect_b32 vcc_lo, -1, 0
	s_cmp_ngt_f32 s0, 0x42b17218
	s_wait_alu 0xfffe
	s_add_f32 s10, s10, s13
	s_sub_f32 s13, s12, s15
	s_wait_alu 0xfffe
	s_delay_alu instid0(SALU_CYCLE_1) | instskip(SKIP_1) | instid1(TRANS32_DEP_1)
	v_s_exp_f32 s10, s10
	s_wait_alu 0xf1ff
	v_ldexp_f32 v4, s10, s14
	s_cvt_i32_f32 s10, s15
	s_delay_alu instid0(VALU_DEP_1) | instskip(SKIP_3) | instid1(VALU_DEP_1)
	v_cndmask_b32_e32 v4, 0, v4, vcc_lo
	s_cselect_b32 vcc_lo, -1, 0
	s_cmp_ge_f32 s0, 0xc1a00000
	s_wait_alu 0xfffe
	v_cndmask_b32_e32 v4, 0x7f800000, v4, vcc_lo
	s_cselect_b32 vcc_lo, -1, 0
	s_xor_b32 s0, s12, 0x80000000
	s_cmp_nlt_f32 s9, 0xc2ce8ed0
	s_wait_alu 0xfffe
	s_fmamk_f32 s0, s9, 0x3fb8aa3b, s0
	s_wait_alu 0xfffe
	s_delay_alu instid0(SALU_CYCLE_2) | instskip(SKIP_1) | instid1(SALU_CYCLE_2)
	s_fmamk_f32 s0, s9, 0x32a5705f, s0
	s_wait_alu 0xfffe
	s_add_f32 s0, s13, s0
	s_wait_alu 0xfffe
	s_delay_alu instid0(SALU_CYCLE_2) | instskip(SKIP_1) | instid1(TRANS32_DEP_1)
	v_s_exp_f32 s0, s0
	s_wait_alu 0xf1ff
	v_ldexp_f32 v7, s0, s10
	s_cselect_b32 s0, -1, 0
	s_cmp_ngt_f32 s9, 0x42b17218
	s_wait_alu 0xfffe
	s_delay_alu instid0(VALU_DEP_1) | instskip(SKIP_3) | instid1(VALU_DEP_1)
	v_cndmask_b32_e64 v7, 0, v7, s0
	s_cselect_b32 s0, -1, 0
	s_cmp_ge_f32 s9, 0xc1a00000
	s_wait_alu 0xfffe
	v_cndmask_b32_e64 v7, 0x7f800000, v7, s0
	s_cselect_b32 s0, -1, 0
	s_add_co_i32 s1, s1, -1
	s_add_co_i32 s4, s4, -2
	s_wait_alu 0xfffe
	s_cmp_le_i32 s1, s8
	v_cndmask_b32_e64 v7, 0, v7, s0
	s_mov_b32 s0, s5
	s_wait_loadcnt 0x0
	s_delay_alu instid0(VALU_DEP_1) | instskip(NEXT) | instid1(VALU_DEP_1)
	v_dual_mul_f32 v5, v0, v7 :: v_dual_cndmask_b32 v4, 0, v4
	v_dual_mul_f32 v8, s11, v7 :: v_dual_fmac_f32 v5, v9, v4
	s_delay_alu instid0(VALU_DEP_1) | instskip(NEXT) | instid1(VALU_DEP_1)
	v_mov_b32_e32 v6, v8
	v_fmac_f32_e32 v6, v10, v4
	s_cbranch_scc0 .LBB50_3
	s_branch .LBB50_5
.LBB50_4:
	s_wait_kmcnt 0x0
	v_mov_b32_e32 v6, s11
.LBB50_5:
	s_wait_loadcnt 0x0
	s_delay_alu instid0(VALU_DEP_1) | instskip(NEXT) | instid1(VALU_DEP_1)
	v_div_scale_f32 v0, null, v6, v6, v5
	v_rcp_f32_e32 v3, v0
	s_delay_alu instid0(TRANS32_DEP_1) | instskip(NEXT) | instid1(VALU_DEP_1)
	v_fma_f32 v4, -v0, v3, 1.0
	v_fmac_f32_e32 v3, v4, v3
	v_div_scale_f32 v4, vcc_lo, v5, v6, v5
	s_delay_alu instid0(VALU_DEP_1) | instskip(NEXT) | instid1(VALU_DEP_1)
	v_mul_f32_e32 v7, v4, v3
	v_fma_f32 v8, -v0, v7, v4
	s_delay_alu instid0(VALU_DEP_1) | instskip(NEXT) | instid1(VALU_DEP_1)
	v_fmac_f32_e32 v7, v8, v3
	v_fma_f32 v0, -v0, v7, v4
	s_wait_alu 0xfffd
	s_delay_alu instid0(VALU_DEP_1) | instskip(NEXT) | instid1(VALU_DEP_1)
	v_div_fmas_f32 v0, v0, v3, v7
	v_div_fixup_f32 v0, v0, v6, v5
	global_store_b32 v[1:2], v0, off
.LBB50_6:
	s_endpgm
	.section	.rodata,"a",@progbits
	.p2align	6, 0x0
	.amdhsa_kernel _ZL33flash_attn_stream_k_fixup_uniformILi96ELi1ELi2EEvPfPK15HIP_vector_typeIfLj2EEiiiiiiS1_IjLj3EES5_S5_
		.amdhsa_group_segment_fixed_size 0
		.amdhsa_private_segment_fixed_size 0
		.amdhsa_kernarg_size 76
		.amdhsa_user_sgpr_count 2
		.amdhsa_user_sgpr_dispatch_ptr 0
		.amdhsa_user_sgpr_queue_ptr 0
		.amdhsa_user_sgpr_kernarg_segment_ptr 1
		.amdhsa_user_sgpr_dispatch_id 0
		.amdhsa_user_sgpr_private_segment_size 0
		.amdhsa_wavefront_size32 1
		.amdhsa_uses_dynamic_stack 0
		.amdhsa_enable_private_segment 0
		.amdhsa_system_sgpr_workgroup_id_x 1
		.amdhsa_system_sgpr_workgroup_id_y 1
		.amdhsa_system_sgpr_workgroup_id_z 1
		.amdhsa_system_sgpr_workgroup_info 0
		.amdhsa_system_vgpr_workitem_id 0
		.amdhsa_next_free_vgpr 11
		.amdhsa_next_free_sgpr 16
		.amdhsa_reserve_vcc 1
		.amdhsa_float_round_mode_32 0
		.amdhsa_float_round_mode_16_64 0
		.amdhsa_float_denorm_mode_32 3
		.amdhsa_float_denorm_mode_16_64 3
		.amdhsa_fp16_overflow 0
		.amdhsa_workgroup_processor_mode 1
		.amdhsa_memory_ordered 1
		.amdhsa_forward_progress 1
		.amdhsa_inst_pref_size 9
		.amdhsa_round_robin_scheduling 0
		.amdhsa_exception_fp_ieee_invalid_op 0
		.amdhsa_exception_fp_denorm_src 0
		.amdhsa_exception_fp_ieee_div_zero 0
		.amdhsa_exception_fp_ieee_overflow 0
		.amdhsa_exception_fp_ieee_underflow 0
		.amdhsa_exception_fp_ieee_inexact 0
		.amdhsa_exception_int_div_zero 0
	.end_amdhsa_kernel
	.section	.text._ZL33flash_attn_stream_k_fixup_uniformILi96ELi1ELi2EEvPfPK15HIP_vector_typeIfLj2EEiiiiiiS1_IjLj3EES5_S5_,"axG",@progbits,_ZL33flash_attn_stream_k_fixup_uniformILi96ELi1ELi2EEvPfPK15HIP_vector_typeIfLj2EEiiiiiiS1_IjLj3EES5_S5_,comdat
.Lfunc_end50:
	.size	_ZL33flash_attn_stream_k_fixup_uniformILi96ELi1ELi2EEvPfPK15HIP_vector_typeIfLj2EEiiiiiiS1_IjLj3EES5_S5_, .Lfunc_end50-_ZL33flash_attn_stream_k_fixup_uniformILi96ELi1ELi2EEvPfPK15HIP_vector_typeIfLj2EEiiiiiiS1_IjLj3EES5_S5_
                                        ; -- End function
	.set _ZL33flash_attn_stream_k_fixup_uniformILi96ELi1ELi2EEvPfPK15HIP_vector_typeIfLj2EEiiiiiiS1_IjLj3EES5_S5_.num_vgpr, 11
	.set _ZL33flash_attn_stream_k_fixup_uniformILi96ELi1ELi2EEvPfPK15HIP_vector_typeIfLj2EEiiiiiiS1_IjLj3EES5_S5_.num_agpr, 0
	.set _ZL33flash_attn_stream_k_fixup_uniformILi96ELi1ELi2EEvPfPK15HIP_vector_typeIfLj2EEiiiiiiS1_IjLj3EES5_S5_.numbered_sgpr, 16
	.set _ZL33flash_attn_stream_k_fixup_uniformILi96ELi1ELi2EEvPfPK15HIP_vector_typeIfLj2EEiiiiiiS1_IjLj3EES5_S5_.num_named_barrier, 0
	.set _ZL33flash_attn_stream_k_fixup_uniformILi96ELi1ELi2EEvPfPK15HIP_vector_typeIfLj2EEiiiiiiS1_IjLj3EES5_S5_.private_seg_size, 0
	.set _ZL33flash_attn_stream_k_fixup_uniformILi96ELi1ELi2EEvPfPK15HIP_vector_typeIfLj2EEiiiiiiS1_IjLj3EES5_S5_.uses_vcc, 1
	.set _ZL33flash_attn_stream_k_fixup_uniformILi96ELi1ELi2EEvPfPK15HIP_vector_typeIfLj2EEiiiiiiS1_IjLj3EES5_S5_.uses_flat_scratch, 0
	.set _ZL33flash_attn_stream_k_fixup_uniformILi96ELi1ELi2EEvPfPK15HIP_vector_typeIfLj2EEiiiiiiS1_IjLj3EES5_S5_.has_dyn_sized_stack, 0
	.set _ZL33flash_attn_stream_k_fixup_uniformILi96ELi1ELi2EEvPfPK15HIP_vector_typeIfLj2EEiiiiiiS1_IjLj3EES5_S5_.has_recursion, 0
	.set _ZL33flash_attn_stream_k_fixup_uniformILi96ELi1ELi2EEvPfPK15HIP_vector_typeIfLj2EEiiiiiiS1_IjLj3EES5_S5_.has_indirect_call, 0
	.section	.AMDGPU.csdata,"",@progbits
; Kernel info:
; codeLenInByte = 1136
; TotalNumSgprs: 18
; NumVgprs: 11
; ScratchSize: 0
; MemoryBound: 0
; FloatMode: 240
; IeeeMode: 1
; LDSByteSize: 0 bytes/workgroup (compile time only)
; SGPRBlocks: 0
; VGPRBlocks: 1
; NumSGPRsForWavesPerEU: 18
; NumVGPRsForWavesPerEU: 11
; Occupancy: 16
; WaveLimiterHint : 0
; COMPUTE_PGM_RSRC2:SCRATCH_EN: 0
; COMPUTE_PGM_RSRC2:USER_SGPR: 2
; COMPUTE_PGM_RSRC2:TRAP_HANDLER: 0
; COMPUTE_PGM_RSRC2:TGID_X_EN: 1
; COMPUTE_PGM_RSRC2:TGID_Y_EN: 1
; COMPUTE_PGM_RSRC2:TGID_Z_EN: 1
; COMPUTE_PGM_RSRC2:TIDIG_COMP_CNT: 0
	.section	.text._ZL33flash_attn_stream_k_fixup_generalILi96ELi1ELi2EEvPfPK15HIP_vector_typeIfLj2EEiiiiS1_IjLj3EES5_S5_S5_,"axG",@progbits,_ZL33flash_attn_stream_k_fixup_generalILi96ELi1ELi2EEvPfPK15HIP_vector_typeIfLj2EEiiiiS1_IjLj3EES5_S5_S5_,comdat
	.globl	_ZL33flash_attn_stream_k_fixup_generalILi96ELi1ELi2EEvPfPK15HIP_vector_typeIfLj2EEiiiiS1_IjLj3EES5_S5_S5_ ; -- Begin function _ZL33flash_attn_stream_k_fixup_generalILi96ELi1ELi2EEvPfPK15HIP_vector_typeIfLj2EEiiiiS1_IjLj3EES5_S5_S5_
	.p2align	8
	.type	_ZL33flash_attn_stream_k_fixup_generalILi96ELi1ELi2EEvPfPK15HIP_vector_typeIfLj2EEiiiiS1_IjLj3EES5_S5_S5_,@function
_ZL33flash_attn_stream_k_fixup_generalILi96ELi1ELi2EEvPfPK15HIP_vector_typeIfLj2EEiiiiS1_IjLj3EES5_S5_S5_: ; @_ZL33flash_attn_stream_k_fixup_generalILi96ELi1ELi2EEvPfPK15HIP_vector_typeIfLj2EEiiiiS1_IjLj3EES5_S5_S5_
; %bb.0:
	s_clause 0x1
	s_load_b128 s[4:7], s[0:1], 0x10
	s_load_b32 s12, s[0:1], 0x50
	s_mov_b32 s2, ttmp9
	s_ashr_i32 s3, ttmp9, 31
	s_mov_b32 s13, 0
	s_delay_alu instid0(SALU_CYCLE_1) | instskip(SKIP_3) | instid1(SALU_CYCLE_1)
	s_mov_b32 s8, s13
	s_wait_kmcnt 0x0
	s_ashr_i32 s15, s7, 31
	s_mov_b32 s14, s7
	s_mul_u64 s[2:3], s[14:15], s[2:3]
	s_delay_alu instid0(SALU_CYCLE_1) | instskip(NEXT) | instid1(SALU_CYCLE_1)
	s_mov_b32 s9, s3
	s_cmp_lg_u64 s[8:9], 0
	s_cbranch_scc0 .LBB51_21
; %bb.1:
	s_add_nc_u64 s[8:9], s[12:13], 0
	s_mov_b32 s19, s13
	s_xor_b64 s[8:9], s[8:9], 0
	s_mov_b32 s23, s13
	s_cvt_f32_u32 s7, s8
	s_cvt_f32_u32 s10, s9
	s_sub_nc_u64 s[16:17], 0, s[8:9]
	s_delay_alu instid0(SALU_CYCLE_2) | instskip(NEXT) | instid1(SALU_CYCLE_3)
	s_fmamk_f32 s7, s10, 0x4f800000, s7
	v_s_rcp_f32 s7, s7
	s_delay_alu instid0(TRANS32_DEP_1) | instskip(SKIP_1) | instid1(SALU_CYCLE_2)
	s_mul_f32 s7, s7, 0x5f7ffffc
	s_wait_alu 0xfffe
	s_mul_f32 s10, s7, 0x2f800000
	s_delay_alu instid0(SALU_CYCLE_3) | instskip(NEXT) | instid1(SALU_CYCLE_3)
	s_trunc_f32 s10, s10
	s_fmamk_f32 s7, s10, 0xcf800000, s7
	s_cvt_u32_f32 s11, s10
	s_wait_alu 0xfffe
	s_delay_alu instid0(SALU_CYCLE_1) | instskip(NEXT) | instid1(SALU_CYCLE_3)
	s_cvt_u32_f32 s10, s7
	s_mul_u64 s[20:21], s[16:17], s[10:11]
	s_delay_alu instid0(SALU_CYCLE_1)
	s_mul_hi_u32 s25, s10, s21
	s_mul_i32 s24, s10, s21
	s_mul_hi_u32 s18, s10, s20
	s_mul_i32 s22, s11, s20
	s_add_nc_u64 s[18:19], s[18:19], s[24:25]
	s_mul_hi_u32 s7, s11, s20
	s_mul_hi_u32 s26, s11, s21
	s_add_co_u32 s18, s18, s22
	s_wait_alu 0xfffe
	s_add_co_ci_u32 s22, s19, s7
	s_mul_i32 s20, s11, s21
	s_add_co_ci_u32 s21, s26, 0
	s_delay_alu instid0(SALU_CYCLE_1)
	s_add_nc_u64 s[18:19], s[22:23], s[20:21]
	s_mov_b32 s21, s13
	s_add_co_u32 s10, s10, s18
	s_cselect_b32 s7, -1, 0
	s_wait_alu 0xfffe
	s_cmp_lg_u32 s7, 0
	s_add_co_ci_u32 s11, s11, s19
	s_mov_b32 s19, s13
	s_mul_u64 s[16:17], s[16:17], s[10:11]
	s_delay_alu instid0(SALU_CYCLE_1)
	s_mul_hi_u32 s23, s10, s17
	s_mul_i32 s22, s10, s17
	s_mul_hi_u32 s18, s10, s16
	s_mul_i32 s20, s11, s16
	s_add_nc_u64 s[18:19], s[18:19], s[22:23]
	s_mul_hi_u32 s7, s11, s16
	s_mul_hi_u32 s24, s11, s17
	s_mul_i32 s16, s11, s17
	s_add_co_u32 s17, s18, s20
	s_wait_alu 0xfffe
	s_add_co_ci_u32 s20, s19, s7
	s_add_co_ci_u32 s17, s24, 0
	s_mov_b32 s19, s13
	s_add_nc_u64 s[16:17], s[20:21], s[16:17]
	s_delay_alu instid0(SALU_CYCLE_1) | instskip(SKIP_1) | instid1(SALU_CYCLE_1)
	s_add_co_u32 s7, s10, s16
	s_cselect_b32 s10, -1, 0
	s_cmp_lg_u32 s10, 0
	s_add_co_ci_u32 s20, s11, s17
	s_ashr_i32 s10, s3, 31
	s_delay_alu instid0(SALU_CYCLE_1) | instskip(NEXT) | instid1(SALU_CYCLE_1)
	s_mov_b32 s11, s10
	s_add_nc_u64 s[16:17], s[2:3], s[10:11]
	s_delay_alu instid0(SALU_CYCLE_1) | instskip(NEXT) | instid1(SALU_CYCLE_1)
	s_xor_b64 s[16:17], s[16:17], s[10:11]
	s_mul_hi_u32 s23, s16, s20
	s_mul_i32 s22, s16, s20
	s_wait_alu 0xfffe
	s_mul_hi_u32 s18, s16, s7
	s_mul_hi_u32 s24, s17, s7
	s_mul_i32 s7, s17, s7
	s_add_nc_u64 s[18:19], s[18:19], s[22:23]
	s_mul_hi_u32 s3, s17, s20
	s_wait_alu 0xfffe
	s_add_co_u32 s7, s18, s7
	s_mul_i32 s22, s17, s20
	s_add_co_ci_u32 s20, s19, s24
	s_add_co_ci_u32 s23, s3, 0
	s_delay_alu instid0(SALU_CYCLE_1) | instskip(NEXT) | instid1(SALU_CYCLE_1)
	s_add_nc_u64 s[18:19], s[20:21], s[22:23]
	s_mul_u64 s[20:21], s[8:9], s[18:19]
	s_delay_alu instid0(SALU_CYCLE_1)
	s_sub_co_u32 s3, s16, s20
	s_cselect_b32 s7, -1, 0
	s_sub_co_i32 s16, s17, s21
	s_wait_alu 0xfffe
	s_cmp_lg_u32 s7, 0
	s_sub_co_ci_u32 s16, s16, s9
	s_sub_co_u32 s20, s3, s8
	s_cselect_b32 s22, -1, 0
	s_delay_alu instid0(SALU_CYCLE_1) | instskip(SKIP_2) | instid1(SALU_CYCLE_1)
	s_cmp_lg_u32 s22, 0
	s_add_nc_u64 s[22:23], s[18:19], 1
	s_sub_co_ci_u32 s16, s16, 0
	s_cmp_ge_u32 s16, s9
	s_cselect_b32 s24, -1, 0
	s_cmp_ge_u32 s20, s8
	s_cselect_b32 s20, -1, 0
	s_cmp_eq_u32 s16, s9
	s_cselect_b32 s16, s20, s24
	s_add_nc_u64 s[24:25], s[18:19], 2
	s_cmp_lg_u32 s16, 0
	s_cselect_b32 s16, s24, s22
	s_cselect_b32 s20, s25, s23
	s_cmp_lg_u32 s7, 0
	s_sub_co_ci_u32 s7, s17, s21
	s_wait_alu 0xfffe
	s_cmp_ge_u32 s7, s9
	s_cselect_b32 s17, -1, 0
	s_cmp_ge_u32 s3, s8
	s_cselect_b32 s3, -1, 0
	s_cmp_eq_u32 s7, s9
	s_cselect_b32 s3, s3, s17
	s_delay_alu instid0(SALU_CYCLE_1) | instskip(SKIP_4) | instid1(SALU_CYCLE_1)
	s_cmp_lg_u32 s3, 0
	s_mov_b32 s3, s13
	s_cselect_b32 s9, s20, s19
	s_cselect_b32 s8, s16, s18
	s_xor_b64 s[10:11], s[10:11], 0
	s_xor_b64 s[8:9], s[8:9], s[10:11]
	s_delay_alu instid0(SALU_CYCLE_1)
	s_sub_nc_u64 s[16:17], s[8:9], s[10:11]
	s_and_not1_b32 vcc_lo, exec_lo, s3
	s_cbranch_vccnz .LBB51_3
.LBB51_2:
	v_cvt_f32_u32_e32 v1, s12
	s_sub_co_i32 s7, 0, s12
	s_delay_alu instid0(VALU_DEP_1) | instskip(NEXT) | instid1(TRANS32_DEP_1)
	v_rcp_iflag_f32_e32 v1, v1
	v_mul_f32_e32 v1, 0x4f7ffffe, v1
	s_delay_alu instid0(VALU_DEP_1) | instskip(NEXT) | instid1(VALU_DEP_1)
	v_cvt_u32_f32_e32 v1, v1
	v_readfirstlane_b32 s3, v1
	s_wait_alu 0xfffe
	s_mul_i32 s7, s7, s3
	s_wait_alu 0xfffe
	s_mul_hi_u32 s7, s3, s7
	s_wait_alu 0xfffe
	s_add_co_i32 s3, s3, s7
	s_delay_alu instid0(SALU_CYCLE_1) | instskip(NEXT) | instid1(SALU_CYCLE_1)
	s_mul_hi_u32 s3, s2, s3
	s_mul_i32 s7, s3, s12
	s_wait_alu 0xfffe
	s_sub_co_i32 s2, s2, s7
	s_add_co_i32 s7, s3, 1
	s_sub_co_i32 s8, s2, s12
	s_cmp_ge_u32 s2, s12
	s_wait_alu 0xfffe
	s_cselect_b32 s3, s7, s3
	s_cselect_b32 s2, s8, s2
	s_add_co_i32 s7, s3, 1
	s_cmp_ge_u32 s2, s12
	s_wait_alu 0xfffe
	s_cselect_b32 s16, s7, s3
.LBB51_3:
	s_add_co_i32 s2, ttmp9, 1
	s_mov_b32 s18, 0
	s_ashr_i32 s3, s2, 31
	s_delay_alu instid0(SALU_CYCLE_1) | instskip(NEXT) | instid1(SALU_CYCLE_1)
	s_mul_u64 s[2:3], s[14:15], s[2:3]
	s_mov_b32 s19, s3
	s_delay_alu instid0(SALU_CYCLE_1)
	s_cmp_lg_u64 s[18:19], 0
	s_cbranch_scc0 .LBB51_22
; %bb.4:
	s_add_nc_u64 s[8:9], s[12:13], 0
	s_mov_b32 s23, s18
	s_xor_b64 s[8:9], s[8:9], 0
	s_mov_b32 s27, s18
	s_cvt_f32_u32 s7, s8
	s_cvt_f32_u32 s10, s9
	s_sub_nc_u64 s[20:21], 0, s[8:9]
	s_wait_alu 0xfffe
	s_delay_alu instid0(SALU_CYCLE_1) | instskip(SKIP_1) | instid1(SALU_CYCLE_2)
	s_fmamk_f32 s7, s10, 0x4f800000, s7
	s_wait_alu 0xfffe
	v_s_rcp_f32 s7, s7
	s_delay_alu instid0(TRANS32_DEP_1) | instskip(SKIP_1) | instid1(SALU_CYCLE_2)
	s_mul_f32 s7, s7, 0x5f7ffffc
	s_wait_alu 0xfffe
	s_mul_f32 s10, s7, 0x2f800000
	s_delay_alu instid0(SALU_CYCLE_3) | instskip(NEXT) | instid1(SALU_CYCLE_3)
	s_trunc_f32 s10, s10
	s_fmamk_f32 s7, s10, 0xcf800000, s7
	s_cvt_u32_f32 s11, s10
	s_wait_alu 0xfffe
	s_delay_alu instid0(SALU_CYCLE_1) | instskip(NEXT) | instid1(SALU_CYCLE_3)
	s_cvt_u32_f32 s10, s7
	s_mul_u64 s[24:25], s[20:21], s[10:11]
	s_delay_alu instid0(SALU_CYCLE_1)
	s_mul_hi_u32 s29, s10, s25
	s_mul_i32 s28, s10, s25
	s_mul_hi_u32 s22, s10, s24
	s_mul_i32 s17, s11, s24
	s_add_nc_u64 s[22:23], s[22:23], s[28:29]
	s_mul_hi_u32 s7, s11, s24
	s_mul_hi_u32 s19, s11, s25
	s_add_co_u32 s17, s22, s17
	s_wait_alu 0xfffe
	s_add_co_ci_u32 s26, s23, s7
	s_mul_i32 s24, s11, s25
	s_add_co_ci_u32 s25, s19, 0
	s_delay_alu instid0(SALU_CYCLE_1)
	s_add_nc_u64 s[22:23], s[26:27], s[24:25]
	s_mov_b32 s25, s18
	s_add_co_u32 s10, s10, s22
	s_cselect_b32 s7, -1, 0
	s_wait_alu 0xfffe
	s_cmp_lg_u32 s7, 0
	s_add_co_ci_u32 s11, s11, s23
	s_mov_b32 s23, s18
	s_mul_u64 s[20:21], s[20:21], s[10:11]
	s_delay_alu instid0(SALU_CYCLE_1)
	s_mul_hi_u32 s27, s10, s21
	s_mul_i32 s26, s10, s21
	s_mul_hi_u32 s22, s10, s20
	s_mul_i32 s17, s11, s20
	s_add_nc_u64 s[22:23], s[22:23], s[26:27]
	s_mul_hi_u32 s7, s11, s20
	s_mul_hi_u32 s19, s11, s21
	s_add_co_u32 s17, s22, s17
	s_wait_alu 0xfffe
	s_add_co_ci_u32 s24, s23, s7
	s_mul_i32 s20, s11, s21
	s_add_co_ci_u32 s21, s19, 0
	s_mov_b32 s23, s18
	s_add_nc_u64 s[20:21], s[24:25], s[20:21]
	s_delay_alu instid0(SALU_CYCLE_1) | instskip(SKIP_1) | instid1(SALU_CYCLE_1)
	s_add_co_u32 s7, s10, s20
	s_cselect_b32 s10, -1, 0
	s_cmp_lg_u32 s10, 0
	s_add_co_ci_u32 s17, s11, s21
	s_ashr_i32 s10, s3, 31
	s_delay_alu instid0(SALU_CYCLE_1) | instskip(NEXT) | instid1(SALU_CYCLE_1)
	s_mov_b32 s11, s10
	s_add_nc_u64 s[20:21], s[2:3], s[10:11]
	s_delay_alu instid0(SALU_CYCLE_1) | instskip(NEXT) | instid1(SALU_CYCLE_1)
	s_xor_b64 s[20:21], s[20:21], s[10:11]
	s_mul_hi_u32 s27, s20, s17
	s_mul_i32 s26, s20, s17
	s_wait_alu 0xfffe
	s_mul_hi_u32 s22, s20, s7
	s_mul_hi_u32 s19, s21, s7
	s_mul_i32 s7, s21, s7
	s_add_nc_u64 s[22:23], s[22:23], s[26:27]
	s_mul_hi_u32 s3, s21, s17
	s_wait_alu 0xfffe
	s_add_co_u32 s7, s22, s7
	s_add_co_ci_u32 s24, s23, s19
	s_mul_i32 s26, s21, s17
	s_add_co_ci_u32 s27, s3, 0
	s_delay_alu instid0(SALU_CYCLE_1) | instskip(NEXT) | instid1(SALU_CYCLE_1)
	s_add_nc_u64 s[22:23], s[24:25], s[26:27]
	s_mul_u64 s[24:25], s[8:9], s[22:23]
	s_add_nc_u64 s[26:27], s[22:23], 1
	s_sub_co_u32 s3, s20, s24
	s_cselect_b32 s7, -1, 0
	s_sub_co_i32 s17, s21, s25
	s_wait_alu 0xfffe
	s_cmp_lg_u32 s7, 0
	s_add_nc_u64 s[28:29], s[22:23], 2
	s_sub_co_ci_u32 s17, s17, s9
	s_sub_co_u32 s19, s3, s8
	s_cselect_b32 s20, -1, 0
	s_delay_alu instid0(SALU_CYCLE_1) | instskip(SKIP_1) | instid1(SALU_CYCLE_1)
	s_cmp_lg_u32 s20, 0
	s_sub_co_ci_u32 s17, s17, 0
	s_cmp_ge_u32 s17, s9
	s_cselect_b32 s20, -1, 0
	s_cmp_ge_u32 s19, s8
	s_cselect_b32 s19, -1, 0
	s_cmp_eq_u32 s17, s9
	s_cselect_b32 s17, s19, s20
	s_delay_alu instid0(SALU_CYCLE_1)
	s_cmp_lg_u32 s17, 0
	s_cselect_b32 s17, s28, s26
	s_cselect_b32 s19, s29, s27
	s_cmp_lg_u32 s7, 0
	s_sub_co_ci_u32 s7, s21, s25
	s_wait_alu 0xfffe
	s_cmp_ge_u32 s7, s9
	s_cselect_b32 s20, -1, 0
	s_cmp_ge_u32 s3, s8
	s_cselect_b32 s3, -1, 0
	s_cmp_eq_u32 s7, s9
	s_cselect_b32 s3, s3, s20
	s_delay_alu instid0(SALU_CYCLE_1) | instskip(SKIP_3) | instid1(SALU_CYCLE_1)
	s_cmp_lg_u32 s3, 0
	s_cselect_b32 s9, s19, s23
	s_cselect_b32 s8, s17, s22
	s_xor_b64 s[10:11], s[10:11], 0
	s_xor_b64 s[8:9], s[8:9], s[10:11]
	s_delay_alu instid0(SALU_CYCLE_1)
	s_sub_nc_u64 s[20:21], s[8:9], s[10:11]
	s_load_b96 s[8:10], s[0:1], 0x44
	s_and_not1_b32 vcc_lo, exec_lo, s18
	s_cbranch_vccnz .LBB51_6
.LBB51_5:
	v_cvt_f32_u32_e32 v1, s12
	s_sub_co_i32 s7, 0, s12
	s_delay_alu instid0(VALU_DEP_1) | instskip(NEXT) | instid1(TRANS32_DEP_1)
	v_rcp_iflag_f32_e32 v1, v1
	v_mul_f32_e32 v1, 0x4f7ffffe, v1
	s_delay_alu instid0(VALU_DEP_1) | instskip(NEXT) | instid1(VALU_DEP_1)
	v_cvt_u32_f32_e32 v1, v1
	v_readfirstlane_b32 s3, v1
	s_wait_alu 0xfffe
	s_mul_i32 s7, s7, s3
	s_wait_alu 0xfffe
	s_mul_hi_u32 s7, s3, s7
	s_wait_alu 0xfffe
	s_add_co_i32 s3, s3, s7
	s_delay_alu instid0(SALU_CYCLE_1) | instskip(NEXT) | instid1(SALU_CYCLE_1)
	s_mul_hi_u32 s3, s2, s3
	s_mul_i32 s7, s3, s12
	s_wait_alu 0xfffe
	s_sub_co_i32 s2, s2, s7
	s_add_co_i32 s7, s3, 1
	s_sub_co_i32 s11, s2, s12
	s_cmp_ge_u32 s2, s12
	s_wait_alu 0xfffe
	s_cselect_b32 s3, s7, s3
	s_cselect_b32 s2, s11, s2
	s_add_co_i32 s7, s3, 1
	s_cmp_ge_u32 s2, s12
	s_wait_alu 0xfffe
	s_cselect_b32 s20, s7, s3
.LBB51_6:
	s_mov_b32 s17, 0
	s_wait_kmcnt 0x0
	s_mov_b32 s18, s8
	s_mov_b32 s19, s17
	s_cmp_eq_u32 s16, s20
	s_mul_u64 s[2:3], s[16:17], s[18:19]
	s_cselect_b32 s7, -1, 0
	s_add_co_i32 s2, s3, s16
	s_mov_b32 s21, s17
	s_lshr_b32 s8, s2, s9
	s_mul_u64 s[2:3], s[20:21], s[18:19]
	s_mul_i32 s2, s8, s10
	s_delay_alu instid0(SALU_CYCLE_1) | instskip(SKIP_2) | instid1(SALU_CYCLE_1)
	s_cmp_eq_u32 s2, s16
	s_cselect_b32 s2, -1, 0
	s_add_co_i32 s3, s3, s20
	s_lshr_b32 s3, s3, s9
	s_delay_alu instid0(SALU_CYCLE_1)
	s_cmp_eq_u32 s8, s3
	s_mul_i32 s3, s3, s10
	s_cselect_b32 s11, -1, 0
	s_cmp_lg_u32 s3, s20
	s_cselect_b32 s3, -1, 0
	s_wait_alu 0xfffe
	s_or_b32 s2, s7, s2
	s_and_b32 s3, s11, s3
	s_delay_alu instid0(SALU_CYCLE_1) | instskip(NEXT) | instid1(SALU_CYCLE_1)
	s_or_b32 s2, s2, s3
	s_and_b32 vcc_lo, exec_lo, s2
	s_cbranch_vccnz .LBB51_24
; %bb.7:
	s_load_b256 s[20:27], s[0:1], 0x20
	s_mov_b32 s3, s17
	s_wait_kmcnt 0x0
	s_mov_b32 s2, s20
	s_delay_alu instid0(SALU_CYCLE_1) | instskip(NEXT) | instid1(SALU_CYCLE_1)
	s_mul_u64 s[2:3], s[16:17], s[2:3]
	s_add_co_i32 s2, s3, s16
	s_delay_alu instid0(SALU_CYCLE_1)
	s_lshr_b32 s3, s2, s21
	s_load_b32 s2, s[0:1], 0x40
	s_mul_i32 s7, s3, s22
	s_mov_b32 s21, s17
	s_wait_alu 0xfffe
	s_sub_co_i32 s11, s16, s7
	s_delay_alu instid0(SALU_CYCLE_1)
	s_mul_hi_u32 s7, s11, s23
	s_wait_alu 0xfffe
	s_add_co_i32 s7, s11, s7
	s_wait_alu 0xfffe
	s_lshr_b32 s7, s7, s24
	s_wait_alu 0xfffe
	s_mul_i32 s20, s7, s25
	s_delay_alu instid0(SALU_CYCLE_1) | instskip(NEXT) | instid1(SALU_CYCLE_1)
	s_sub_co_i32 s11, s11, s20
	s_mul_hi_u32 s20, s11, s26
	s_delay_alu instid0(SALU_CYCLE_1) | instskip(NEXT) | instid1(SALU_CYCLE_1)
	s_add_co_i32 s20, s11, s20
	s_lshr_b32 s24, s20, s27
	s_wait_kmcnt 0x0
	s_mul_i32 s2, s24, s2
	s_delay_alu instid0(SALU_CYCLE_1) | instskip(SKIP_2) | instid1(SALU_CYCLE_1)
	s_sub_co_i32 s20, s11, s2
	s_and_b32 s2, ttmp7, 0xffff
	s_mul_u64 s[22:23], s[20:21], s[18:19]
	s_add_co_i32 s11, s20, s23
	s_lshl_b32 s20, s24, 1
	s_lshr_b32 s17, s11, s9
	s_lshr_b32 s11, ttmp7, 16
	s_add_co_i32 s17, s17, s2
	s_delay_alu instid0(SALU_CYCLE_1) | instskip(SKIP_2) | instid1(SALU_CYCLE_1)
	s_cmp_lt_i32 s17, s4
	s_cselect_b32 s21, -1, 0
	s_add_co_i32 s20, s20, s11
	s_cmp_lt_i32 s20, s6
	s_cselect_b32 s22, -1, 0
	s_delay_alu instid0(SALU_CYCLE_1) | instskip(NEXT) | instid1(SALU_CYCLE_1)
	s_and_b32 s21, s21, s22
	s_and_not1_b32 vcc_lo, exec_lo, s21
	s_cbranch_vccnz .LBB51_24
; %bb.8:
	s_mul_i32 s3, s3, s4
	s_mul_i32 s7, s7, s6
	s_add_co_i32 s3, s17, s3
	s_wait_alu 0xfffe
	s_add_co_i32 s17, s20, s7
	s_mul_i32 s3, s3, s5
	s_load_b128 s[4:7], s[0:1], 0x0
	s_add_co_i32 s17, s17, s3
	s_add_nc_u64 s[0:1], s[12:13], 0
	v_mad_co_u64_u32 v[1:2], null, 0x60, s17, v[0:1]
	s_add_co_i32 s3, s2, ttmp9
	s_xor_b64 s[20:21], s[0:1], 0
	s_lshl_b32 s0, s3, 1
	s_cvt_f32_u32 s3, s20
	s_add_co_i32 s0, s0, s11
	v_cvt_f32_u32_e32 v3, s12
	v_ashrrev_i32_e32 v2, 31, v1
	s_ashr_i32 s1, s0, 31
	s_mov_b32 s22, 0
	s_lshl_b64 s[0:1], s[0:1], 3
	v_rcp_iflag_f32_e32 v3, v3
	v_lshlrev_b64_e32 v[1:2], 2, v[1:2]
	s_add_co_i32 s34, ttmp9, -1
	s_add_co_i32 s13, s12, s2
	s_sub_nc_u64 s[30:31], 0, s[20:21]
	s_wait_kmcnt 0x0
	s_add_nc_u64 s[0:1], s[6:7], s[0:1]
	s_load_b64 s[28:29], s[0:1], 0x0
	v_add_co_u32 v1, vcc_lo, s4, v1
	s_delay_alu instid0(VALU_DEP_1)
	v_add_co_ci_u32_e64 v2, null, s5, v2, vcc_lo
	s_cvt_f32_u32 s4, s21
	s_lshl_b32 s0, s12, 3
	s_mov_b32 s1, s22
	global_load_b32 v5, v[1:2], off
	s_wait_alu 0xfffe
	s_fmamk_f32 s3, s4, 0x4f800000, s3
	s_lshl_b32 s4, s2, 1
	s_lshl_b64 s[0:1], s[0:1], 2
	s_wait_alu 0xfffe
	s_add_co_i32 s4, s4, s11
	v_s_rcp_f32 s3, s3
	v_mul_f32_e32 v6, 0x4f7ffffe, v3
	s_add_nc_u64 s[24:25], s[6:7], s[0:1]
	s_wait_alu 0xfffe
	v_mad_co_u64_u32 v[3:4], null, 0x60, s4, v[0:1]
	s_delay_alu instid0(VALU_DEP_2) | instskip(NEXT) | instid1(TRANS32_DEP_1)
	v_cvt_u32_f32_e32 v0, v6
	s_mul_f32 s3, s3, 0x5f7ffffc
	s_wait_kmcnt 0x0
	v_mov_b32_e32 v4, s29
	s_wait_alu 0xfffe
	s_mul_f32 s5, s3, 0x2f800000
	s_wait_alu 0xfffe
	s_delay_alu instid0(SALU_CYCLE_2) | instskip(SKIP_1) | instid1(SALU_CYCLE_2)
	s_trunc_f32 s5, s5
	s_wait_alu 0xfffe
	s_fmamk_f32 s0, s5, 0xcf800000, s3
	s_cvt_u32_f32 s27, s5
	s_delay_alu instid0(SALU_CYCLE_2)
	s_cvt_u32_f32 s26, s0
.LBB51_9:                               ; =>This Inner Loop Header: Depth=1
	s_ashr_i32 s35, s34, 31
	s_mov_b32 s2, -1
	s_wait_alu 0xfffe
	s_mul_u64 s[0:1], s[34:35], s[14:15]
                                        ; implicit-def: $sgpr38_sgpr39
	s_wait_alu 0xfffe
	s_mov_b32 s23, s1
	s_delay_alu instid0(SALU_CYCLE_1)
	s_cmp_lg_u64 s[22:23], 0
	s_cbranch_scc0 .LBB51_11
; %bb.10:                               ;   in Loop: Header=BB51_9 Depth=1
	s_mul_u64 s[2:3], s[30:31], s[26:27]
	s_mov_b32 s37, s22
	s_wait_alu 0xfffe
	s_mul_hi_u32 s5, s26, s3
	s_mul_i32 s4, s26, s3
	s_mul_hi_u32 s36, s26, s2
	s_mul_hi_u32 s17, s27, s2
	s_wait_alu 0xfffe
	s_add_nc_u64 s[4:5], s[36:37], s[4:5]
	s_mul_i32 s2, s27, s2
	s_mul_hi_u32 s23, s27, s3
	s_wait_alu 0xfffe
	s_add_co_u32 s2, s4, s2
	s_add_co_ci_u32 s2, s5, s17
	s_add_co_ci_u32 s5, s23, 0
	s_mul_i32 s4, s27, s3
	s_mov_b32 s3, s22
	s_mov_b32 s39, s22
	s_wait_alu 0xfffe
	s_add_nc_u64 s[2:3], s[2:3], s[4:5]
	s_wait_alu 0xfffe
	s_add_co_u32 s2, s26, s2
	s_cselect_b32 s4, -1, 0
	s_wait_alu 0xfffe
	s_cmp_lg_u32 s4, 0
	s_add_co_ci_u32 s3, s27, s3
	s_wait_alu 0xfffe
	s_mul_u64 s[4:5], s[30:31], s[2:3]
	s_wait_alu 0xfffe
	s_mul_hi_u32 s37, s2, s5
	s_mul_i32 s36, s2, s5
	s_mul_hi_u32 s38, s2, s4
	s_mul_hi_u32 s17, s3, s4
	s_mul_i32 s4, s3, s4
	s_wait_alu 0xfffe
	s_add_nc_u64 s[36:37], s[38:39], s[36:37]
	s_mul_hi_u32 s23, s3, s5
	s_wait_alu 0xfffe
	s_add_co_u32 s4, s36, s4
	s_add_co_ci_u32 s4, s37, s17
	s_add_co_ci_u32 s37, s23, 0
	s_mul_i32 s36, s3, s5
	s_mov_b32 s5, s22
	s_wait_alu 0xfffe
	s_add_nc_u64 s[4:5], s[4:5], s[36:37]
	s_mov_b32 s37, s22
	s_wait_alu 0xfffe
	s_add_co_u32 s17, s2, s4
	s_cselect_b32 s2, -1, 0
	s_wait_alu 0xfffe
	s_cmp_lg_u32 s2, 0
	s_add_co_ci_u32 s23, s3, s5
	s_ashr_i32 s2, s1, 31
	s_wait_alu 0xfffe
	s_mov_b32 s3, s2
	s_wait_alu 0xfffe
	s_add_nc_u64 s[4:5], s[0:1], s[2:3]
	s_wait_alu 0xfffe
	s_xor_b64 s[4:5], s[4:5], s[2:3]
	s_wait_alu 0xfffe
	s_mul_hi_u32 s39, s4, s23
	s_mul_i32 s38, s4, s23
	s_mul_hi_u32 s36, s4, s17
	s_mul_i32 s29, s5, s17
	s_wait_alu 0xfffe
	s_add_nc_u64 s[36:37], s[36:37], s[38:39]
	s_mul_hi_u32 s17, s5, s17
	s_mul_hi_u32 s1, s5, s23
	s_wait_alu 0xfffe
	s_add_co_u32 s29, s36, s29
	s_add_co_ci_u32 s36, s37, s17
	s_add_co_ci_u32 s39, s1, 0
	s_mul_i32 s38, s5, s23
	s_mov_b32 s37, s22
	s_wait_alu 0xfffe
	s_add_nc_u64 s[36:37], s[36:37], s[38:39]
	s_wait_alu 0xfffe
	s_mul_u64 s[38:39], s[20:21], s[36:37]
	s_add_nc_u64 s[40:41], s[36:37], 1
	s_wait_alu 0xfffe
	s_sub_co_u32 s1, s4, s38
	s_cselect_b32 s4, -1, 0
	s_sub_co_i32 s17, s5, s39
	s_wait_alu 0xfffe
	s_cmp_lg_u32 s4, 0
	s_add_nc_u64 s[42:43], s[36:37], 2
	s_sub_co_ci_u32 s17, s17, s21
	s_sub_co_u32 s23, s1, s20
	s_cselect_b32 s29, -1, 0
	s_wait_alu 0xfffe
	s_cmp_lg_u32 s29, 0
	s_sub_co_ci_u32 s17, s17, 0
	s_wait_alu 0xfffe
	s_cmp_ge_u32 s17, s21
	s_cselect_b32 s29, -1, 0
	s_cmp_ge_u32 s23, s20
	s_cselect_b32 s23, -1, 0
	s_cmp_eq_u32 s17, s21
	s_wait_alu 0xfffe
	s_cselect_b32 s17, s23, s29
	s_wait_alu 0xfffe
	s_cmp_lg_u32 s17, 0
	s_cselect_b32 s17, s42, s40
	s_cselect_b32 s23, s43, s41
	s_cmp_lg_u32 s4, 0
	s_sub_co_ci_u32 s4, s5, s39
	s_wait_alu 0xfffe
	s_cmp_ge_u32 s4, s21
	s_cselect_b32 s5, -1, 0
	s_cmp_ge_u32 s1, s20
	s_cselect_b32 s1, -1, 0
	s_cmp_eq_u32 s4, s21
	s_wait_alu 0xfffe
	s_cselect_b32 s1, s1, s5
	s_wait_alu 0xfffe
	s_cmp_lg_u32 s1, 0
	s_cselect_b32 s5, s23, s37
	s_cselect_b32 s4, s17, s36
	s_xor_b64 s[2:3], s[2:3], 0
	s_wait_alu 0xfffe
	s_xor_b64 s[4:5], s[4:5], s[2:3]
	s_wait_alu 0xfffe
	s_sub_nc_u64 s[38:39], s[4:5], s[2:3]
	s_mov_b32 s2, 0
.LBB51_11:                              ;   in Loop: Header=BB51_9 Depth=1
	s_wait_alu 0xfffe
	s_and_not1_b32 vcc_lo, exec_lo, s2
	s_wait_alu 0xfffe
	s_cbranch_vccnz .LBB51_13
; %bb.12:                               ;   in Loop: Header=BB51_9 Depth=1
	v_readfirstlane_b32 s1, v0
	s_sub_co_i32 s2, 0, s12
	s_wait_alu 0xfffe
	s_mul_i32 s2, s2, s1
	s_wait_alu 0xfffe
	s_mul_hi_u32 s2, s1, s2
	s_wait_alu 0xfffe
	s_add_co_i32 s1, s1, s2
	s_wait_alu 0xfffe
	s_mul_hi_u32 s1, s0, s1
	s_wait_alu 0xfffe
	s_mul_i32 s2, s1, s12
	s_wait_alu 0xfffe
	s_sub_co_i32 s0, s0, s2
	s_add_co_i32 s2, s1, 1
	s_wait_alu 0xfffe
	s_sub_co_i32 s3, s0, s12
	s_cmp_ge_u32 s0, s12
	s_cselect_b32 s1, s2, s1
	s_wait_alu 0xfffe
	s_cselect_b32 s0, s3, s0
	s_add_co_i32 s2, s1, 1
	s_wait_alu 0xfffe
	s_cmp_ge_u32 s0, s12
	s_cselect_b32 s38, s2, s1
.LBB51_13:                              ;   in Loop: Header=BB51_9 Depth=1
	v_readfirstlane_b32 s17, v0
	s_wait_alu 0xfffe
	s_cmp_lg_u32 s16, s38
	s_mov_b32 s0, -1
                                        ; implicit-def: $sgpr29
                                        ; implicit-def: $vgpr6
                                        ; implicit-def: $vgpr7
                                        ; implicit-def: $sgpr23
                                        ; implicit-def: $sgpr33
	s_cbranch_scc1 .LBB51_16
; %bb.14:                               ;   in Loop: Header=BB51_9 Depth=1
	s_wait_alu 0xfffe
	s_and_not1_b32 vcc_lo, exec_lo, s0
	s_wait_alu 0xfffe
	s_cbranch_vccz .LBB51_19
.LBB51_15:                              ;   in Loop: Header=BB51_9 Depth=1
	s_and_not1_b32 vcc_lo, exec_lo, s29
	s_wait_alu 0xfffe
	s_cbranch_vccnz .LBB51_20
	s_branch .LBB51_23
.LBB51_16:                              ;   in Loop: Header=BB51_9 Depth=1
	s_add_co_i32 s0, s13, s34
	s_mov_b32 s1, s22
	s_wait_alu 0xfffe
	s_lshl_b32 s0, s0, 1
	v_max_num_f32_e64 v6, s28, s28
	s_wait_alu 0xfffe
	s_add_co_i32 s0, s0, s11
	s_mov_b32 s39, s22
	s_wait_alu 0xfffe
	s_lshl_b64 s[0:1], s[0:1], 3
	s_mul_u64 s[40:41], s[38:39], s[18:19]
	s_wait_alu 0xfffe
	s_add_nc_u64 s[0:1], s[6:7], s[0:1]
	s_mov_b32 s33, s16
	s_load_b64 s[36:37], s[0:1], 0x0
	v_readfirstlane_b32 s0, v6
	s_wait_kmcnt 0x0
	v_max_num_f32_e64 v7, s36, s36
	s_delay_alu instid0(VALU_DEP_1) | instskip(SKIP_2) | instid1(SALU_CYCLE_2)
	v_readfirstlane_b32 s1, v7
	s_max_num_f32 s17, s0, s1
	s_wait_alu 0xfffe
	s_sub_f32 s35, s28, s17
	s_sub_f32 s36, s36, s17
	s_wait_alu 0xfffe
	s_delay_alu instid0(SALU_CYCLE_1)
	s_cmp_nlt_f32 s35, 0xc2ce8ed0
	s_cselect_b32 s0, -1, 0
	s_cmp_ngt_f32 s35, 0x42b17218
	s_cselect_b32 s1, -1, 0
	s_cmp_ge_f32 s35, 0xc1a00000
	s_cselect_b32 s2, -1, 0
	s_cmp_nlt_f32 s36, 0xc2ce8ed0
	s_cselect_b32 s3, -1, 0
	s_cmp_ngt_f32 s36, 0x42b17218
	s_cselect_b32 s4, -1, 0
	s_cmp_ge_f32 s36, 0xc1a00000
	s_cselect_b32 s5, -1, 0
	s_add_co_i32 s23, s41, s38
	s_delay_alu instid0(SALU_CYCLE_1) | instskip(NEXT) | instid1(SALU_CYCLE_1)
	s_lshr_b32 s23, s23, s9
	s_mul_i32 s29, s23, s10
	s_wait_alu 0xfffe
	s_cmp_eq_u32 s29, s38
	s_cselect_b32 s29, -1, 0
	s_cmp_lt_u32 s23, s8
	s_cselect_b32 s23, -1, 0
	s_wait_alu 0xfffe
	s_or_b32 s23, s23, s29
	s_mov_b32 s29, -1
	s_and_b32 vcc_lo, exec_lo, s23
	s_mov_b32 s23, s34
	s_wait_alu 0xfffe
	s_cbranch_vccnz .LBB51_18
; %bb.17:                               ;   in Loop: Header=BB51_9 Depth=1
	s_add_co_i32 s23, s34, -1
	s_mov_b32 s29, 0
	s_mov_b32 s33, s38
.LBB51_18:                              ;   in Loop: Header=BB51_9 Depth=1
	v_mad_co_u64_u32 v[6:7], null, 0xc0, s34, v[3:4]
	s_mul_f32 s38, s36, 0x3fb8aa3b
	s_mul_f32 s39, s35, 0x3fb8aa3b
	s_wait_alu 0xfffe
	s_delay_alu instid0(SALU_CYCLE_1)
	s_xor_b32 s40, s38, 0x80000000
	s_rndne_f32 s41, s38
	v_ashrrev_i32_e32 v7, 31, v6
	s_fmamk_f32 s40, s36, 0x3fb8aa3b, s40
	s_xor_b32 s42, s39, 0x80000000
	s_sub_f32 s38, s38, s41
	s_rndne_f32 s43, s39
	v_lshlrev_b64_e32 v[6:7], 2, v[6:7]
	s_fmamk_f32 s36, s36, 0x32a5705f, s40
	s_fmamk_f32 s40, s35, 0x3fb8aa3b, s42
	s_sub_f32 s39, s39, s43
	s_wait_alu 0xfffe
	s_add_f32 s36, s38, s36
	v_add_co_u32 v6, vcc_lo, s24, v6
	s_wait_alu 0xfffd
	v_add_co_ci_u32_e64 v7, null, s25, v7, vcc_lo
	s_fmamk_f32 s35, s35, 0x32a5705f, s40
	s_wait_alu 0xfffe
	v_s_exp_f32 s36, s36
	s_cvt_i32_f32 s38, s41
	global_load_b32 v6, v[6:7], off
	s_add_f32 s35, s39, s35
	s_wait_alu 0xfffe
	s_delay_alu instid0(SALU_CYCLE_2) | instskip(SKIP_2) | instid1(VALU_DEP_1)
	v_s_exp_f32 s35, s35
	v_ldexp_f32 v7, s36, s38
	s_cvt_i32_f32 s36, s43
	v_cndmask_b32_e64 v7, 0, v7, s3
	s_wait_alu 0xf1fe
	s_delay_alu instid0(TRANS32_DEP_1) | instid1(SALU_CYCLE_1)
	v_ldexp_f32 v8, s35, s36
	s_delay_alu instid0(VALU_DEP_2) | instskip(NEXT) | instid1(VALU_DEP_2)
	v_cndmask_b32_e64 v7, 0x7f800000, v7, s4
	v_cndmask_b32_e64 v8, 0, v8, s0
	s_delay_alu instid0(VALU_DEP_2) | instskip(NEXT) | instid1(VALU_DEP_2)
	v_cndmask_b32_e64 v7, 0, v7, s5
	v_cndmask_b32_e64 v8, 0x7f800000, v8, s1
	s_delay_alu instid0(VALU_DEP_1) | instskip(SKIP_1) | instid1(VALU_DEP_3)
	v_cndmask_b32_e64 v8, 0, v8, s2
	s_wait_loadcnt 0x0
	v_mul_f32_e32 v6, v6, v7
	v_mul_f32_e32 v7, s37, v7
	s_delay_alu instid0(VALU_DEP_1) | instskip(NEXT) | instid1(VALU_DEP_3)
	v_fmac_f32_e32 v7, v4, v8
	v_fmac_f32_e32 v6, v5, v8
	s_cbranch_execnz .LBB51_15
.LBB51_19:                              ;   in Loop: Header=BB51_9 Depth=1
	s_wait_loadcnt 0x0
	v_dual_mov_b32 v7, v4 :: v_dual_mov_b32 v6, v5
	s_add_co_i32 s23, s34, -1
	s_mov_b32 s33, s16
	s_mov_b32 s17, s28
	s_cbranch_execz .LBB51_23
.LBB51_20:                              ;   in Loop: Header=BB51_9 Depth=1
	s_wait_loadcnt 0x0
	v_dual_mov_b32 v4, v7 :: v_dual_mov_b32 v5, v6
	s_mov_b32 s16, s33
	s_mov_b32 s34, s23
	s_wait_alu 0xfffe
	s_mov_b32 s28, s17
	s_branch .LBB51_9
.LBB51_21:
                                        ; implicit-def: $sgpr16_sgpr17
	s_branch .LBB51_2
.LBB51_22:
                                        ; implicit-def: $sgpr20_sgpr21
	s_load_b96 s[8:10], s[0:1], 0x44
	s_branch .LBB51_5
.LBB51_23:
	v_div_scale_f32 v0, null, v7, v7, v6
	s_delay_alu instid0(VALU_DEP_1) | instskip(NEXT) | instid1(TRANS32_DEP_1)
	v_rcp_f32_e32 v3, v0
	v_fma_f32 v4, -v0, v3, 1.0
	s_delay_alu instid0(VALU_DEP_1) | instskip(SKIP_2) | instid1(VALU_DEP_1)
	v_fmac_f32_e32 v3, v4, v3
	v_div_scale_f32 v4, vcc_lo, v6, v7, v6
	s_wait_loadcnt 0x0
	v_mul_f32_e32 v5, v4, v3
	s_delay_alu instid0(VALU_DEP_1) | instskip(NEXT) | instid1(VALU_DEP_1)
	v_fma_f32 v8, -v0, v5, v4
	v_fmac_f32_e32 v5, v8, v3
	s_delay_alu instid0(VALU_DEP_1) | instskip(SKIP_1) | instid1(VALU_DEP_1)
	v_fma_f32 v0, -v0, v5, v4
	s_wait_alu 0xfffd
	v_div_fmas_f32 v0, v0, v3, v5
	s_delay_alu instid0(VALU_DEP_1)
	v_div_fixup_f32 v0, v0, v7, v6
	global_store_b32 v[1:2], v0, off
.LBB51_24:
	s_endpgm
	.section	.rodata,"a",@progbits
	.p2align	6, 0x0
	.amdhsa_kernel _ZL33flash_attn_stream_k_fixup_generalILi96ELi1ELi2EEvPfPK15HIP_vector_typeIfLj2EEiiiiS1_IjLj3EES5_S5_S5_
		.amdhsa_group_segment_fixed_size 0
		.amdhsa_private_segment_fixed_size 0
		.amdhsa_kernarg_size 336
		.amdhsa_user_sgpr_count 2
		.amdhsa_user_sgpr_dispatch_ptr 0
		.amdhsa_user_sgpr_queue_ptr 0
		.amdhsa_user_sgpr_kernarg_segment_ptr 1
		.amdhsa_user_sgpr_dispatch_id 0
		.amdhsa_user_sgpr_private_segment_size 0
		.amdhsa_wavefront_size32 1
		.amdhsa_uses_dynamic_stack 0
		.amdhsa_enable_private_segment 0
		.amdhsa_system_sgpr_workgroup_id_x 1
		.amdhsa_system_sgpr_workgroup_id_y 1
		.amdhsa_system_sgpr_workgroup_id_z 1
		.amdhsa_system_sgpr_workgroup_info 0
		.amdhsa_system_vgpr_workitem_id 0
		.amdhsa_next_free_vgpr 9
		.amdhsa_next_free_sgpr 44
		.amdhsa_reserve_vcc 1
		.amdhsa_float_round_mode_32 0
		.amdhsa_float_round_mode_16_64 0
		.amdhsa_float_denorm_mode_32 3
		.amdhsa_float_denorm_mode_16_64 3
		.amdhsa_fp16_overflow 0
		.amdhsa_workgroup_processor_mode 1
		.amdhsa_memory_ordered 1
		.amdhsa_forward_progress 1
		.amdhsa_inst_pref_size 28
		.amdhsa_round_robin_scheduling 0
		.amdhsa_exception_fp_ieee_invalid_op 0
		.amdhsa_exception_fp_denorm_src 0
		.amdhsa_exception_fp_ieee_div_zero 0
		.amdhsa_exception_fp_ieee_overflow 0
		.amdhsa_exception_fp_ieee_underflow 0
		.amdhsa_exception_fp_ieee_inexact 0
		.amdhsa_exception_int_div_zero 0
	.end_amdhsa_kernel
	.section	.text._ZL33flash_attn_stream_k_fixup_generalILi96ELi1ELi2EEvPfPK15HIP_vector_typeIfLj2EEiiiiS1_IjLj3EES5_S5_S5_,"axG",@progbits,_ZL33flash_attn_stream_k_fixup_generalILi96ELi1ELi2EEvPfPK15HIP_vector_typeIfLj2EEiiiiS1_IjLj3EES5_S5_S5_,comdat
.Lfunc_end51:
	.size	_ZL33flash_attn_stream_k_fixup_generalILi96ELi1ELi2EEvPfPK15HIP_vector_typeIfLj2EEiiiiS1_IjLj3EES5_S5_S5_, .Lfunc_end51-_ZL33flash_attn_stream_k_fixup_generalILi96ELi1ELi2EEvPfPK15HIP_vector_typeIfLj2EEiiiiS1_IjLj3EES5_S5_S5_
                                        ; -- End function
	.set _ZL33flash_attn_stream_k_fixup_generalILi96ELi1ELi2EEvPfPK15HIP_vector_typeIfLj2EEiiiiS1_IjLj3EES5_S5_S5_.num_vgpr, 9
	.set _ZL33flash_attn_stream_k_fixup_generalILi96ELi1ELi2EEvPfPK15HIP_vector_typeIfLj2EEiiiiS1_IjLj3EES5_S5_S5_.num_agpr, 0
	.set _ZL33flash_attn_stream_k_fixup_generalILi96ELi1ELi2EEvPfPK15HIP_vector_typeIfLj2EEiiiiS1_IjLj3EES5_S5_S5_.numbered_sgpr, 44
	.set _ZL33flash_attn_stream_k_fixup_generalILi96ELi1ELi2EEvPfPK15HIP_vector_typeIfLj2EEiiiiS1_IjLj3EES5_S5_S5_.num_named_barrier, 0
	.set _ZL33flash_attn_stream_k_fixup_generalILi96ELi1ELi2EEvPfPK15HIP_vector_typeIfLj2EEiiiiS1_IjLj3EES5_S5_S5_.private_seg_size, 0
	.set _ZL33flash_attn_stream_k_fixup_generalILi96ELi1ELi2EEvPfPK15HIP_vector_typeIfLj2EEiiiiS1_IjLj3EES5_S5_S5_.uses_vcc, 1
	.set _ZL33flash_attn_stream_k_fixup_generalILi96ELi1ELi2EEvPfPK15HIP_vector_typeIfLj2EEiiiiS1_IjLj3EES5_S5_S5_.uses_flat_scratch, 0
	.set _ZL33flash_attn_stream_k_fixup_generalILi96ELi1ELi2EEvPfPK15HIP_vector_typeIfLj2EEiiiiS1_IjLj3EES5_S5_S5_.has_dyn_sized_stack, 0
	.set _ZL33flash_attn_stream_k_fixup_generalILi96ELi1ELi2EEvPfPK15HIP_vector_typeIfLj2EEiiiiS1_IjLj3EES5_S5_S5_.has_recursion, 0
	.set _ZL33flash_attn_stream_k_fixup_generalILi96ELi1ELi2EEvPfPK15HIP_vector_typeIfLj2EEiiiiS1_IjLj3EES5_S5_S5_.has_indirect_call, 0
	.section	.AMDGPU.csdata,"",@progbits
; Kernel info:
; codeLenInByte = 3540
; TotalNumSgprs: 46
; NumVgprs: 9
; ScratchSize: 0
; MemoryBound: 0
; FloatMode: 240
; IeeeMode: 1
; LDSByteSize: 0 bytes/workgroup (compile time only)
; SGPRBlocks: 0
; VGPRBlocks: 1
; NumSGPRsForWavesPerEU: 46
; NumVGPRsForWavesPerEU: 9
; Occupancy: 16
; WaveLimiterHint : 0
; COMPUTE_PGM_RSRC2:SCRATCH_EN: 0
; COMPUTE_PGM_RSRC2:USER_SGPR: 2
; COMPUTE_PGM_RSRC2:TRAP_HANDLER: 0
; COMPUTE_PGM_RSRC2:TGID_X_EN: 1
; COMPUTE_PGM_RSRC2:TGID_Y_EN: 1
; COMPUTE_PGM_RSRC2:TGID_Z_EN: 1
; COMPUTE_PGM_RSRC2:TIDIG_COMP_CNT: 0
	.section	.text._ZL15flash_attn_tileILi96ELi96ELi64ELi1ELb0EEvPKcS1_S1_S1_S1_PKiPfP15HIP_vector_typeIfLj2EEffffjfiS5_IjLj3EEiiiiiiiiiiiliiliiiiil,"axG",@progbits,_ZL15flash_attn_tileILi96ELi96ELi64ELi1ELb0EEvPKcS1_S1_S1_S1_PKiPfP15HIP_vector_typeIfLj2EEffffjfiS5_IjLj3EEiiiiiiiiiiiliiliiiiil,comdat
	.globl	_ZL15flash_attn_tileILi96ELi96ELi64ELi1ELb0EEvPKcS1_S1_S1_S1_PKiPfP15HIP_vector_typeIfLj2EEffffjfiS5_IjLj3EEiiiiiiiiiiiliiliiiiil ; -- Begin function _ZL15flash_attn_tileILi96ELi96ELi64ELi1ELb0EEvPKcS1_S1_S1_S1_PKiPfP15HIP_vector_typeIfLj2EEffffjfiS5_IjLj3EEiiiiiiiiiiiliiliiiiil
	.p2align	8
	.type	_ZL15flash_attn_tileILi96ELi96ELi64ELi1ELb0EEvPKcS1_S1_S1_S1_PKiPfP15HIP_vector_typeIfLj2EEffffjfiS5_IjLj3EEiiiiiiiiiiiliiliiiiil,@function
_ZL15flash_attn_tileILi96ELi96ELi64ELi1ELb0EEvPKcS1_S1_S1_S1_PKiPfP15HIP_vector_typeIfLj2EEffffjfiS5_IjLj3EEiiiiiiiiiiiliiliiiiil: ; @_ZL15flash_attn_tileILi96ELi96ELi64ELi1ELb0EEvPKcS1_S1_S1_S1_PKiPfP15HIP_vector_typeIfLj2EEffffjfiS5_IjLj3EEiiiiiiiiiiiliiliiiiil
; %bb.0:
	s_clause 0x1
	s_load_b128 s[36:39], s[0:1], 0x5c
	s_load_b64 s[50:51], s[0:1], 0x80
	s_lshr_b32 s10, ttmp7, 16
	s_load_b512 s[16:31], s[0:1], 0x0
	s_mov_b32 s9, 0
	s_mov_b64 s[48:49], 0
	s_wait_kmcnt 0x0
	s_cvt_f32_u32 s2, s39
	s_sub_co_i32 s3, 0, s39
	s_delay_alu instid0(SALU_CYCLE_2) | instskip(NEXT) | instid1(TRANS32_DEP_1)
	v_rcp_iflag_f32_e32 v1, s2
	v_readfirstlane_b32 s2, v1
	s_mul_f32 s2, s2, 0x4f7ffffe
	s_wait_alu 0xfffe
	s_delay_alu instid0(SALU_CYCLE_2) | instskip(SKIP_1) | instid1(SALU_CYCLE_2)
	s_cvt_u32_f32 s2, s2
	s_wait_alu 0xfffe
	s_mul_i32 s3, s3, s2
	s_wait_alu 0xfffe
	s_mul_hi_u32 s3, s2, s3
	s_wait_alu 0xfffe
	s_add_co_i32 s2, s2, s3
	s_wait_alu 0xfffe
	s_mul_hi_u32 s2, s10, s2
	s_wait_alu 0xfffe
	s_mul_i32 s3, s2, s39
	s_add_co_i32 s4, s2, 1
	s_wait_alu 0xfffe
	s_sub_co_i32 s3, s10, s3
	s_wait_alu 0xfffe
	s_sub_co_i32 s5, s3, s39
	s_cmp_ge_u32 s3, s39
	s_cselect_b32 s2, s4, s2
	s_cselect_b32 s3, s5, s3
	s_wait_alu 0xfffe
	s_add_co_i32 s4, s2, 1
	s_cmp_ge_u32 s3, s39
	s_cselect_b32 s40, s4, s2
	s_abs_i32 s2, s51
	s_abs_i32 s5, s39
	s_wait_alu 0xfffe
	s_cvt_f32_u32 s3, s2
	s_sub_co_i32 s4, 0, s2
	s_mul_i32 s11, s40, s39
	s_wait_alu 0xfffe
	v_rcp_iflag_f32_e32 v1, s3
	s_delay_alu instid0(TRANS32_DEP_1) | instskip(SKIP_2) | instid1(SALU_CYCLE_2)
	v_readfirstlane_b32 s3, v1
	s_mul_f32 s3, s3, 0x4f7ffffe
	s_wait_alu 0xfffe
	s_cvt_u32_f32 s3, s3
	s_wait_alu 0xfffe
	s_delay_alu instid0(SALU_CYCLE_2) | instskip(NEXT) | instid1(SALU_CYCLE_1)
	s_mul_i32 s4, s4, s3
	s_mul_hi_u32 s4, s3, s4
	s_delay_alu instid0(SALU_CYCLE_1)
	s_add_co_i32 s3, s3, s4
	s_xor_b32 s4, s39, s51
	s_wait_alu 0xfffe
	s_mul_hi_u32 s3, s5, s3
	s_ashr_i32 s4, s4, 31
	s_wait_alu 0xfffe
	s_mul_i32 s6, s3, s2
	s_delay_alu instid0(SALU_CYCLE_1)
	s_sub_co_i32 s5, s5, s6
	s_add_co_i32 s6, s3, 1
	s_sub_co_i32 s7, s5, s2
	s_cmp_ge_u32 s5, s2
	s_cselect_b32 s3, s6, s3
	s_cselect_b32 s5, s7, s5
	s_wait_alu 0xfffe
	s_add_co_i32 s6, s3, 1
	s_cmp_ge_u32 s5, s2
	s_cselect_b32 s2, s6, s3
	s_wait_alu 0xfffe
	s_xor_b32 s2, s2, s4
	s_wait_alu 0xfffe
	s_sub_co_i32 s13, s2, s4
	s_load_b64 s[2:3], s[0:1], 0xb8
	s_abs_i32 s12, s13
	s_cmp_eq_u64 s[22:23], 0
	s_cvt_f32_u32 s4, s12
	s_delay_alu instid0(SALU_CYCLE_3) | instskip(NEXT) | instid1(TRANS32_DEP_1)
	v_rcp_iflag_f32_e32 v1, s4
	v_readfirstlane_b32 s8, v1
	s_cbranch_scc1 .LBB52_2
; %bb.1:
	s_wait_kmcnt 0x0
	s_abs_i32 s2, s2
	s_wait_alu 0xfffe
	s_cvt_f32_u32 s4, s2
	s_wait_alu 0xfffe
	s_delay_alu instid0(SALU_CYCLE_2) | instskip(NEXT) | instid1(TRANS32_DEP_1)
	v_rcp_iflag_f32_e32 v1, s4
	v_readfirstlane_b32 s4, v1
	s_mul_f32 s4, s4, 0x4f7ffffe
	s_wait_alu 0xfffe
	s_delay_alu instid0(SALU_CYCLE_2) | instskip(SKIP_2) | instid1(SALU_CYCLE_1)
	s_cvt_u32_f32 s6, s4
	s_sub_co_i32 s4, 0, s2
	s_wait_alu 0xfffe
	s_mul_i32 s4, s4, s6
	s_wait_alu 0xfffe
	s_mul_hi_u32 s7, s6, s4
	s_load_b64 s[4:5], s[0:1], 0xc8
	s_add_co_i32 s6, s6, s7
	s_delay_alu instid0(SALU_CYCLE_1) | instskip(NEXT) | instid1(SALU_CYCLE_1)
	s_mul_hi_u32 s6, s40, s6
	s_mul_i32 s6, s6, s2
	s_delay_alu instid0(SALU_CYCLE_1) | instskip(NEXT) | instid1(SALU_CYCLE_1)
	s_sub_co_i32 s6, s40, s6
	s_sub_co_i32 s7, s6, s2
	s_cmp_ge_u32 s6, s2
	s_cselect_b32 s6, s7, s6
	s_delay_alu instid0(SALU_CYCLE_1) | instskip(SKIP_2) | instid1(SALU_CYCLE_1)
	s_sub_co_i32 s7, s6, s2
	s_cmp_ge_u32 s6, s2
	s_cselect_b32 s6, s7, s6
	s_ashr_i32 s7, s6, 31
	s_wait_kmcnt 0x0
	s_mul_u64 s[4:5], s[4:5], s[6:7]
	s_wait_alu 0xfffe
	s_add_nc_u64 s[48:49], s[22:23], s[4:5]
.LBB52_2:
	s_load_b128 s[4:7], s[0:1], 0x40
	s_wait_kmcnt 0x0
	s_load_b32 s2, s[0:1], 0x50
	s_sub_co_i32 s34, s10, s11
	v_mov_b32_e32 v144, 1.0
	s_cmp_le_f32 s5, 0
	s_cbranch_scc1 .LBB52_4
; %bb.3:
	s_wait_kmcnt 0x0
	v_sub_co_u32 v1, s2, s34, s2
	s_and_b32 s10, s2, exec_lo
	s_cselect_b32 s6, s6, s7
	s_add_co_i32 s7, s34, 1
	v_readfirstlane_b32 s5, v1
	s_lshl_b32 s5, s5, 1
	s_wait_alu 0xfffe
	s_or_b32 s5, s5, 1
	s_and_b32 s2, s2, exec_lo
	s_wait_alu 0xfffe
	s_cselect_b32 s2, s7, s5
	s_cmp_neq_f32 s6, 1.0
	s_wait_alu 0xfffe
	s_cvt_f32_i32 s2, s2
	s_wait_alu 0xfffe
	s_delay_alu instid0(SALU_CYCLE_2)
	s_cselect_b32 s5, s2, 1.0
	s_wait_alu 0xfffe
	s_cmp_neq_f32 s5, 0
	s_cselect_b32 s2, s6, 1.0
	s_wait_alu 0xfffe
	v_frexp_mant_f32_e64 v1, |s2|
	s_delay_alu instid0(VALU_DEP_1) | instskip(SKIP_3) | instid1(SALU_CYCLE_1)
	v_readfirstlane_b32 s6, v1
	v_cvt_f64_f32_e64 v[1:2], |s2|
	s_cmp_lt_f32 s6, 0x3f2aaaab
	s_cselect_b32 s7, -1, 0
	s_and_b32 s10, s7, exec_lo
	s_cselect_b32 s10, 2.0, 1.0
	s_delay_alu instid0(SALU_CYCLE_1) | instskip(NEXT) | instid1(SALU_CYCLE_3)
	s_mul_f32 s6, s6, s10
	s_add_f32 s10, s6, 1.0
	s_add_f32 s14, s6, -1.0
	s_delay_alu instid0(SALU_CYCLE_2) | instskip(SKIP_1) | instid1(SALU_CYCLE_3)
	v_s_rcp_f32 s11, s10
	s_add_f32 s23, s10, -1.0
	s_sub_f32 s6, s6, s23
	s_delay_alu instid0(TRANS32_DEP_1) | instskip(NEXT) | instid1(SALU_CYCLE_3)
	s_mul_f32 s15, s14, s11
	s_mul_f32 s22, s10, s15
	s_delay_alu instid0(SALU_CYCLE_3) | instskip(NEXT) | instid1(VALU_DEP_1)
	s_xor_b32 s33, s22, 0x80000000
	v_frexp_exp_i32_f64_e32 v1, v[1:2]
	s_fmac_f32 s33, s15, s10
	s_delay_alu instid0(SALU_CYCLE_3) | instskip(NEXT) | instid1(SALU_CYCLE_3)
	s_fmac_f32 s33, s15, s6
	s_add_f32 s6, s22, s33
	s_delay_alu instid0(SALU_CYCLE_3) | instskip(SKIP_2) | instid1(SALU_CYCLE_1)
	s_sub_f32 s10, s14, s6
	s_sub_f32 s22, s6, s22
	s_wait_alu 0xfffe
	s_sub_f32 s14, s14, s10
	s_delay_alu instid0(SALU_CYCLE_1) | instskip(NEXT) | instid1(SALU_CYCLE_2)
	s_sub_f32 s22, s22, s33
	s_sub_f32 s6, s14, s6
	s_delay_alu instid0(SALU_CYCLE_3) | instskip(SKIP_1) | instid1(SALU_CYCLE_2)
	s_add_f32 s6, s22, s6
	s_mov_b32 s22, 0x3e76c4e1
	s_add_f32 s6, s10, s6
	s_delay_alu instid0(SALU_CYCLE_3) | instskip(NEXT) | instid1(SALU_CYCLE_3)
	s_mul_f32 s6, s11, s6
	s_add_f32 s10, s15, s6
	s_wait_alu 0xfffe
	s_delay_alu instid0(SALU_CYCLE_2) | instskip(SKIP_2) | instid1(SALU_CYCLE_1)
	s_sub_f32 s11, s10, s15
	s_mul_f32 s14, s10, s10
	s_wait_alu 0xfffe
	s_sub_f32 s6, s6, s11
	s_delay_alu instid0(SALU_CYCLE_1) | instskip(SKIP_4) | instid1(SALU_CYCLE_2)
	s_xor_b32 s11, s14, 0x80000000
	s_wait_alu 0xfffe
	s_fmac_f32 s11, s10, s10
	s_add_f32 s15, s6, s6
	s_wait_alu 0xfffe
	s_fmac_f32 s11, s10, s15
	s_wait_alu 0xfffe
	s_delay_alu instid0(SALU_CYCLE_2) | instskip(NEXT) | instid1(SALU_CYCLE_3)
	s_add_f32 s15, s14, s11
	s_fmaak_f32 s22, s15, s22, 0x3e91f4c4
	s_sub_f32 s14, s15, s14
	s_delay_alu instid0(SALU_CYCLE_2) | instskip(NEXT) | instid1(SALU_CYCLE_2)
	s_fmaak_f32 s22, s15, s22, 0x3ecccdef
	s_sub_f32 s11, s11, s14
	s_mul_f32 s14, s10, s15
	s_delay_alu instid0(SALU_CYCLE_1) | instskip(NEXT) | instid1(SALU_CYCLE_2)
	s_mul_f32 s23, s15, s22
	s_xor_b32 s35, s14, 0x80000000
	s_delay_alu instid0(SALU_CYCLE_2) | instskip(SKIP_4) | instid1(SALU_CYCLE_1)
	s_xor_b32 s33, s23, 0x80000000
	s_wait_alu 0xfffe
	s_fmac_f32 s35, s15, s10
	s_fmac_f32 s33, s15, s22
	s_wait_alu 0xfffe
	s_fmac_f32 s35, s15, s6
	s_delay_alu instid0(SALU_CYCLE_1) | instskip(SKIP_1) | instid1(SALU_CYCLE_1)
	s_fmac_f32 s33, s11, s22
	s_wait_alu 0xfffe
	s_fmac_f32 s35, s11, s10
	s_delay_alu instid0(SALU_CYCLE_1) | instskip(NEXT) | instid1(SALU_CYCLE_3)
	s_add_f32 s22, s23, s33
	s_sub_f32 s23, s22, s23
	s_add_f32 s41, s22, 0x3f2aaaaa
	s_delay_alu instid0(SALU_CYCLE_2) | instskip(NEXT) | instid1(SALU_CYCLE_2)
	s_sub_f32 s23, s33, s23
	s_add_f32 s33, s41, 0xbf2aaaaa
	s_delay_alu instid0(SALU_CYCLE_2) | instskip(NEXT) | instid1(SALU_CYCLE_2)
	s_add_f32 s15, s23, 0x31739010
	s_sub_f32 s22, s22, s33
	s_delay_alu instid0(SALU_CYCLE_3) | instskip(SKIP_2) | instid1(SALU_CYCLE_1)
	s_add_f32 s11, s15, s22
	s_wait_alu 0xfffe
	s_add_f32 s15, s14, s35
	s_add_f32 s22, s41, s11
	s_delay_alu instid0(SALU_CYCLE_2) | instskip(NEXT) | instid1(SALU_CYCLE_2)
	s_sub_f32 s14, s15, s14
	s_mul_f32 s23, s15, s22
	s_sub_f32 s33, s41, s22
	s_delay_alu instid0(SALU_CYCLE_1) | instskip(NEXT) | instid1(SALU_CYCLE_1)
	s_sub_f32 s14, s35, s14
	s_xor_b32 s41, s23, 0x80000000
	s_delay_alu instid0(SALU_CYCLE_1)
	s_add_f32 s11, s11, s33
	s_fmac_f32 s41, s15, s22
	v_readfirstlane_b32 s33, v1
	v_ldexp_f32 v1, s10, 1
	s_cmp_lg_u32 s7, 0
	s_wait_alu 0xfffe
	s_fmac_f32 s41, s15, s11
	s_sub_co_ci_u32 s7, s33, 0
	v_readfirstlane_b32 s10, v1
	s_delay_alu instid0(SALU_CYCLE_1) | instskip(SKIP_2) | instid1(SALU_CYCLE_1)
	s_fmac_f32 s41, s14, s22
	s_cvt_f32_i32 s7, s7
	v_ldexp_f32 v1, s6, 1
	s_add_f32 s11, s23, s41
	s_delay_alu instid0(SALU_CYCLE_1) | instskip(NEXT) | instid1(VALU_DEP_1)
	s_mul_f32 s6, s7, 0x3f317218
	v_readfirstlane_b32 s22, v1
	s_wait_alu 0xfffe
	s_add_f32 s14, s10, s11
	s_sub_f32 s15, s11, s23
	s_xor_b32 s23, s6, 0x80000000
	s_delay_alu instid0(SALU_CYCLE_1) | instskip(NEXT) | instid1(SALU_CYCLE_1)
	s_sub_f32 s10, s14, s10
	s_sub_f32 s15, s41, s15
	s_fmamk_f32 s23, s7, 0x3f317218, s23
	s_wait_alu 0xfffe
	s_sub_f32 s10, s11, s10
	s_add_f32 s11, s22, s15
	s_fmamk_f32 s7, s7, 0xb102e308, s23
	s_wait_alu 0xfffe
	s_delay_alu instid0(SALU_CYCLE_1) | instskip(NEXT) | instid1(SALU_CYCLE_1)
	s_add_f32 s10, s11, s10
	s_add_f32 s11, s6, s7
	s_wait_alu 0xfffe
	s_delay_alu instid0(SALU_CYCLE_1) | instskip(NEXT) | instid1(SALU_CYCLE_1)
	s_add_f32 s15, s14, s10
	s_sub_f32 s6, s11, s6
	s_delay_alu instid0(SALU_CYCLE_2)
	s_add_f32 s22, s11, s15
	s_sub_f32 s14, s15, s14
	s_wait_alu 0xfffe
	s_sub_f32 s6, s7, s6
	s_sub_f32 s23, s22, s11
	;; [unrolled: 1-line block ×3, first 2 shown]
	s_delay_alu instid0(SALU_CYCLE_2)
	s_sub_f32 s33, s22, s23
	s_sub_f32 s10, s15, s23
	s_wait_alu 0xfffe
	s_add_f32 s14, s6, s7
	s_sub_f32 s11, s11, s33
	s_wait_alu 0xfffe
	s_delay_alu instid0(SALU_CYCLE_2) | instskip(SKIP_2) | instid1(SALU_CYCLE_1)
	s_add_f32 s10, s10, s11
	s_sub_f32 s11, s14, s6
	s_wait_alu 0xfffe
	s_add_f32 s10, s14, s10
	s_delay_alu instid0(SALU_CYCLE_1) | instskip(SKIP_4) | instid1(SALU_CYCLE_2)
	s_sub_f32 s14, s14, s11
	s_sub_f32 s7, s7, s11
	s_wait_alu 0xfffe
	s_add_f32 s15, s22, s10
	s_sub_f32 s6, s6, s14
	s_sub_f32 s11, s15, s22
	s_wait_alu 0xfffe
	s_delay_alu instid0(SALU_CYCLE_1) | instskip(NEXT) | instid1(SALU_CYCLE_1)
	s_add_f32 s6, s7, s6
	s_sub_f32 s7, s10, s11
	s_wait_alu 0xfffe
	s_delay_alu instid0(SALU_CYCLE_2) | instskip(SKIP_1) | instid1(SALU_CYCLE_2)
	s_add_f32 s6, s6, s7
	s_wait_alu 0xfffe
	s_add_f32 s7, s15, s6
	s_wait_alu 0xfffe
	s_delay_alu instid0(SALU_CYCLE_2) | instskip(SKIP_2) | instid1(SALU_CYCLE_1)
	s_mul_f32 s10, s5, s7
	s_sub_f32 s11, s7, s15
	s_wait_alu 0xfffe
	s_xor_b32 s14, s10, 0x80000000
	s_delay_alu instid0(SALU_CYCLE_1) | instskip(SKIP_2) | instid1(SALU_CYCLE_2)
	s_sub_f32 s6, s6, s11
	s_fmac_f32 s14, s5, s7
	s_wait_alu 0xfffe
	s_fmac_f32 s14, s5, s6
	v_cmp_class_f32_e64 s6, s10, 0x204
	s_delay_alu instid0(SALU_CYCLE_2) | instskip(SKIP_2) | instid1(SALU_CYCLE_1)
	s_add_f32 s7, s10, s14
	s_and_b32 s6, s6, exec_lo
	s_wait_alu 0xfffe
	s_sub_f32 s6, s7, s10
	s_cselect_b32 s7, s10, s7
	s_wait_alu 0xfffe
	s_and_b32 s10, s7, 0x7fffffff
	s_sub_f32 s6, s14, s6
	s_wait_alu 0xfffe
	s_cmp_neq_f32 s10, 0x7f800000
	s_delay_alu instid0(SALU_CYCLE_1)
	s_cselect_b32 s6, s6, 0
	s_cmp_eq_f32 s7, 0x42b17218
	s_cselect_b32 s10, 0x37000000, 0
	s_wait_alu 0xfffe
	s_sub_f32 s7, s7, s10
	s_add_f32 s6, s10, s6
	s_wait_alu 0xfffe
	s_delay_alu instid0(SALU_CYCLE_1) | instskip(SKIP_1) | instid1(SALU_CYCLE_2)
	s_mul_f32 s11, s7, 0x3fb8aa3b
	s_wait_alu 0xfffe
	s_xor_b32 s14, s11, 0x80000000
	s_rndne_f32 s15, s11
	s_fmamk_f32 s14, s7, 0x3fb8aa3b, s14
	s_cmp_nlt_f32 s7, 0xc2ce8ed0
	s_delay_alu instid0(SALU_CYCLE_1) | instskip(NEXT) | instid1(SALU_CYCLE_1)
	s_sub_f32 s11, s11, s15
	s_fmamk_f32 s14, s7, 0x32a5705f, s14
	s_cselect_b32 vcc_lo, -1, 0
	s_cmp_ngt_f32 s7, 0x42b17218
	s_trunc_f32 s7, s5
	s_wait_alu 0xfffe
	s_add_f32 s11, s11, s14
	s_cvt_i32_f32 s14, s15
	s_wait_alu 0xfffe
	s_delay_alu instid0(SALU_CYCLE_1) | instskip(SKIP_1) | instid1(TRANS32_DEP_1)
	v_s_exp_f32 s11, s11
	s_wait_alu 0xf1ff
	v_ldexp_f32 v1, s11, s14
	s_mul_f32 s11, s5, 0.5
	s_delay_alu instid0(VALU_DEP_1)
	v_cndmask_b32_e32 v1, 0, v1, vcc_lo
	s_cselect_b32 vcc_lo, -1, 0
	s_cmp_eq_f32 s7, s5
	s_wait_alu 0xfffe
	s_trunc_f32 s14, s11
	v_cndmask_b32_e32 v1, 0x7f800000, v1, vcc_lo
	s_cselect_b32 s15, -1, 0
	s_wait_alu 0xfffe
	s_cmp_neq_f32 s14, s11
	s_delay_alu instid0(VALU_DEP_1)
	v_fma_f32 v2, s6, v1, v1
	v_cmp_class_f32_e64 vcc_lo, v1, 0x204
	s_cselect_b32 s10, -1, 0
	s_wait_alu 0xfffe
	s_and_b32 s6, s15, s10
	s_wait_alu 0xfffd
	v_cndmask_b32_e32 v1, v2, v1, vcc_lo
	s_wait_alu 0xfffe
	s_and_b32 s10, s6, exec_lo
	s_cselect_b32 s10, s2, 1.0
	s_cmp_eq_f32 s7, s5
	v_cmp_class_f32_e64 s7, s2, 0x204
	s_wait_alu 0xfffe
	v_bfi_b32 v1, 0x7fffffff, v1, s10
	s_cselect_b32 vcc_lo, -1, 0
	s_cmp_lt_f32 s2, 0
	s_wait_alu 0xfffe
	s_delay_alu instid0(VALU_DEP_1) | instskip(SKIP_3) | instid1(VALU_DEP_1)
	v_cndmask_b32_e32 v2, 0x7fc00000, v1, vcc_lo
	s_cselect_b32 vcc_lo, -1, 0
	s_cmp_eq_f32 s2, 0
	s_wait_alu 0xfffe
	v_cndmask_b32_e32 v1, v1, v2, vcc_lo
	s_cselect_b32 s10, -1, 0
	s_wait_alu 0xfffe
	s_or_b32 vcc_lo, s10, s7
	s_cmp_lt_f32 s5, 0
	s_cselect_b32 s5, -1, 0
	s_wait_alu 0xfffe
	s_xor_b32 s5, s5, s10
	s_wait_alu 0xfffe
	s_and_b32 s5, s5, exec_lo
	s_cselect_b32 s5, 0, 0x7f800000
	s_and_b32 s6, s6, exec_lo
	s_cselect_b32 s6, s2, 0
	s_cmp_o_f32 s2, s2
	s_wait_alu 0xfffe
	v_mov_b32_e32 v2, s6
	s_delay_alu instid0(VALU_DEP_1) | instskip(NEXT) | instid1(VALU_DEP_1)
	v_bfi_b32 v2, 0x7fffffff, s5, v2
	v_cndmask_b32_e32 v1, v1, v2, vcc_lo
	s_cselect_b32 vcc_lo, -1, 0
	s_wait_alu 0xfffe
	s_delay_alu instid0(VALU_DEP_1)
	v_cndmask_b32_e32 v144, 0x7fc00000, v1, vcc_lo
.LBB52_4:
	s_load_b96 s[44:46], s[0:1], 0x70
	v_bfe_u32 v139, v0, 10, 10
	v_and_b32_e32 v1, 0x3ff, v0
	s_lshl_b32 s33, ttmp9, 6
	s_delay_alu instid0(VALU_DEP_2) | instskip(SKIP_1) | instid1(VALU_DEP_2)
	v_lshlrev_b32_e32 v15, 3, v139
	s_wait_kmcnt 0x0
	v_cmp_gt_u32_e64 s2, 24, v1
	v_lshlrev_b32_e32 v0, 4, v1
	scratch_store_b32 off, v1, off offset:20 ; 4-byte Folded Spill
	v_lshlrev_b32_e32 v1, 3, v1
	v_add_nc_u32_e32 v3, s33, v15
	s_clause 0x1
	scratch_store_b32 off, v1, off offset:16
	scratch_store_b32 off, v3, off offset:24
	s_mul_i32 s6, s40, s46
	s_mul_i32 s10, s34, s45
	s_wait_alu 0xfffe
	s_ashr_i32 s7, s6, 31
	s_ashr_i32 s11, s10, 31
	s_wait_alu 0xfffe
	s_add_nc_u64 s[6:7], s[16:17], s[6:7]
	s_ashr_i32 s45, s44, 31
	s_wait_alu 0xfffe
	s_add_nc_u64 s[6:7], s[6:7], s[10:11]
	s_wait_alu 0xfffe
	v_add_co_u32 v1, s5, s6, v0
	s_wait_alu 0xf1ff
	v_add_co_ci_u32_e64 v2, null, s7, 0, s5
	s_lshr_b64 s[6:7], s[44:45], 2
	s_and_saveexec_b32 s5, s2
	s_cbranch_execz .LBB52_6
; %bb.5:
	scratch_load_b32 v4, off, off offset:24 ; 4-byte Folded Reload
	s_wait_loadcnt 0x0
	v_mul_hi_u32 v3, v4, s36
	s_delay_alu instid0(VALU_DEP_1) | instskip(NEXT) | instid1(VALU_DEP_1)
	v_add_nc_u32_e32 v3, v4, v3
	v_lshrrev_b32_e32 v3, s37, v3
	s_delay_alu instid0(VALU_DEP_1) | instskip(NEXT) | instid1(VALU_DEP_1)
	v_mul_lo_u32 v3, v3, s38
	v_sub_nc_u32_e32 v5, v4, v3
	s_wait_alu 0xfffe
	s_delay_alu instid0(VALU_DEP_1) | instskip(NEXT) | instid1(VALU_DEP_1)
	v_mad_co_u64_u32 v[3:4], null, s6, v5, 0
	v_mad_co_u64_u32 v[4:5], null, s7, v5, v[4:5]
	s_delay_alu instid0(VALU_DEP_1) | instskip(NEXT) | instid1(VALU_DEP_1)
	v_lshlrev_b64_e32 v[3:4], 2, v[3:4]
	v_add_co_u32 v3, vcc_lo, v1, v3
	s_wait_alu 0xfffd
	s_delay_alu instid0(VALU_DEP_2)
	v_add_co_ci_u32_e64 v4, null, v2, v4, vcc_lo
	global_load_b128 v[3:6], v[3:4], off
	s_wait_loadcnt 0x0
	v_fma_mixlo_f16 v4, s4, v4, 0
	v_fma_mixlo_f16 v3, s4, v3, 0
	;; [unrolled: 1-line block ×4, first 2 shown]
	s_delay_alu instid0(VALU_DEP_4) | instskip(NEXT) | instid1(VALU_DEP_4)
	v_lshlrev_b32_e32 v4, 16, v4
	v_and_b32_e32 v3, 0xffff, v3
	s_delay_alu instid0(VALU_DEP_4) | instskip(NEXT) | instid1(VALU_DEP_4)
	v_and_b32_e32 v5, 0xffff, v5
	v_lshlrev_b32_e32 v6, 16, v6
	s_delay_alu instid0(VALU_DEP_3)
	v_or_b32_e32 v3, v4, v3
	scratch_load_b32 v4, off, off offset:16 ; 4-byte Folded Reload
	v_or3_b32 v3, 0, 0, v3
	s_wait_loadcnt 0x0
	v_mad_u32_u24 v7, 0x600, v139, v4
	v_or3_b32 v4, v6, v5, 0
	ds_store_b64 v7, v[3:4]
.LBB52_6:
	s_wait_alu 0xfffe
	s_or_b32 exec_lo, exec_lo, s5
	v_or_b32_e32 v13, 1, v15
	s_delay_alu instid0(VALU_DEP_1)
	v_add_nc_u32_e32 v14, s33, v13
	s_and_saveexec_b32 s5, s2
	s_cbranch_execz .LBB52_8
; %bb.7:
	s_delay_alu instid0(VALU_DEP_1) | instskip(NEXT) | instid1(VALU_DEP_1)
	v_mul_hi_u32 v3, v14, s36
	v_add_nc_u32_e32 v3, v14, v3
	s_delay_alu instid0(VALU_DEP_1) | instskip(NEXT) | instid1(VALU_DEP_1)
	v_lshrrev_b32_e32 v3, s37, v3
	v_mul_lo_u32 v3, v3, s38
	s_delay_alu instid0(VALU_DEP_1) | instskip(NEXT) | instid1(VALU_DEP_1)
	v_sub_nc_u32_e32 v5, v14, v3
	v_mad_co_u64_u32 v[3:4], null, s6, v5, 0
	s_delay_alu instid0(VALU_DEP_1) | instskip(NEXT) | instid1(VALU_DEP_1)
	v_mad_co_u64_u32 v[4:5], null, s7, v5, v[4:5]
	v_lshlrev_b64_e32 v[3:4], 2, v[3:4]
	s_delay_alu instid0(VALU_DEP_1) | instskip(SKIP_1) | instid1(VALU_DEP_2)
	v_add_co_u32 v3, vcc_lo, v1, v3
	s_wait_alu 0xfffd
	v_add_co_ci_u32_e64 v4, null, v2, v4, vcc_lo
	global_load_b128 v[3:6], v[3:4], off
	s_wait_loadcnt 0x0
	v_fma_mixlo_f16 v4, s4, v4, 0
	v_fma_mixlo_f16 v3, s4, v3, 0
	;; [unrolled: 1-line block ×4, first 2 shown]
	s_delay_alu instid0(VALU_DEP_4) | instskip(NEXT) | instid1(VALU_DEP_4)
	v_lshlrev_b32_e32 v4, 16, v4
	v_and_b32_e32 v3, 0xffff, v3
	s_delay_alu instid0(VALU_DEP_4) | instskip(NEXT) | instid1(VALU_DEP_4)
	v_and_b32_e32 v5, 0xffff, v5
	v_lshlrev_b32_e32 v6, 16, v6
	s_delay_alu instid0(VALU_DEP_3)
	v_or_b32_e32 v3, v4, v3
	scratch_load_b32 v4, off, off offset:16 ; 4-byte Folded Reload
	v_or3_b32 v3, 0, 0, v3
	s_wait_loadcnt 0x0
	v_mad_u32_u24 v7, 0xc0, v13, v4
	v_or3_b32 v4, v6, v5, 0
	ds_store_b64 v7, v[3:4]
.LBB52_8:
	s_wait_alu 0xfffe
	s_or_b32 exec_lo, exec_lo, s5
	v_or_b32_e32 v12, 2, v15
	s_mul_f32 s5, s8, 0x4f7ffffe
	s_and_saveexec_b32 s8, s2
	s_cbranch_execz .LBB52_10
; %bb.9:
	s_delay_alu instid0(VALU_DEP_1) | instskip(NEXT) | instid1(VALU_DEP_1)
	v_add_nc_u32_e32 v3, s33, v12
	v_mul_hi_u32 v4, v3, s36
	s_delay_alu instid0(VALU_DEP_1) | instskip(NEXT) | instid1(VALU_DEP_1)
	v_add_nc_u32_e32 v4, v3, v4
	v_lshrrev_b32_e32 v4, s37, v4
	s_delay_alu instid0(VALU_DEP_1) | instskip(NEXT) | instid1(VALU_DEP_1)
	v_mul_lo_u32 v4, v4, s38
	v_sub_nc_u32_e32 v5, v3, v4
	s_delay_alu instid0(VALU_DEP_1) | instskip(NEXT) | instid1(VALU_DEP_1)
	v_mad_co_u64_u32 v[3:4], null, s6, v5, 0
	v_mad_co_u64_u32 v[4:5], null, s7, v5, v[4:5]
	s_delay_alu instid0(VALU_DEP_1) | instskip(NEXT) | instid1(VALU_DEP_1)
	v_lshlrev_b64_e32 v[3:4], 2, v[3:4]
	v_add_co_u32 v3, vcc_lo, v1, v3
	s_wait_alu 0xfffd
	s_delay_alu instid0(VALU_DEP_2)
	v_add_co_ci_u32_e64 v4, null, v2, v4, vcc_lo
	global_load_b128 v[3:6], v[3:4], off
	s_wait_loadcnt 0x0
	v_fma_mixlo_f16 v4, s4, v4, 0
	v_fma_mixlo_f16 v3, s4, v3, 0
	v_fma_mixlo_f16 v5, s4, v5, 0
	v_fma_mixlo_f16 v6, s4, v6, 0
	s_delay_alu instid0(VALU_DEP_4) | instskip(NEXT) | instid1(VALU_DEP_4)
	v_lshlrev_b32_e32 v4, 16, v4
	v_and_b32_e32 v3, 0xffff, v3
	s_delay_alu instid0(VALU_DEP_4) | instskip(NEXT) | instid1(VALU_DEP_4)
	v_and_b32_e32 v5, 0xffff, v5
	v_lshlrev_b32_e32 v6, 16, v6
	s_delay_alu instid0(VALU_DEP_3)
	v_or_b32_e32 v3, v4, v3
	scratch_load_b32 v4, off, off offset:16 ; 4-byte Folded Reload
	v_or3_b32 v3, 0, 0, v3
	s_wait_loadcnt 0x0
	v_mad_u32_u24 v7, 0xc0, v12, v4
	v_or3_b32 v4, v6, v5, 0
	ds_store_b64 v7, v[3:4]
.LBB52_10:
	s_or_b32 exec_lo, exec_lo, s8
	v_or_b32_e32 v11, 3, v15
	s_wait_alu 0xfffe
	s_cvt_u32_f32 s5, s5
	s_sub_co_i32 s8, 0, s12
	s_and_saveexec_b32 s10, s2
	s_cbranch_execz .LBB52_12
; %bb.11:
	v_add_nc_u32_e32 v3, s33, v11
	s_delay_alu instid0(VALU_DEP_1) | instskip(NEXT) | instid1(VALU_DEP_1)
	v_mul_hi_u32 v4, v3, s36
	v_add_nc_u32_e32 v4, v3, v4
	s_delay_alu instid0(VALU_DEP_1) | instskip(NEXT) | instid1(VALU_DEP_1)
	v_lshrrev_b32_e32 v4, s37, v4
	v_mul_lo_u32 v4, v4, s38
	s_delay_alu instid0(VALU_DEP_1) | instskip(NEXT) | instid1(VALU_DEP_1)
	v_sub_nc_u32_e32 v5, v3, v4
	v_mad_co_u64_u32 v[3:4], null, s6, v5, 0
	s_delay_alu instid0(VALU_DEP_1) | instskip(NEXT) | instid1(VALU_DEP_1)
	v_mad_co_u64_u32 v[4:5], null, s7, v5, v[4:5]
	v_lshlrev_b64_e32 v[3:4], 2, v[3:4]
	s_delay_alu instid0(VALU_DEP_1) | instskip(SKIP_1) | instid1(VALU_DEP_2)
	v_add_co_u32 v3, vcc_lo, v1, v3
	s_wait_alu 0xfffd
	v_add_co_ci_u32_e64 v4, null, v2, v4, vcc_lo
	global_load_b128 v[3:6], v[3:4], off
	s_wait_loadcnt 0x0
	v_fma_mixlo_f16 v4, s4, v4, 0
	v_fma_mixlo_f16 v3, s4, v3, 0
	;; [unrolled: 1-line block ×4, first 2 shown]
	s_delay_alu instid0(VALU_DEP_4) | instskip(NEXT) | instid1(VALU_DEP_4)
	v_lshlrev_b32_e32 v4, 16, v4
	v_and_b32_e32 v3, 0xffff, v3
	s_delay_alu instid0(VALU_DEP_4) | instskip(NEXT) | instid1(VALU_DEP_4)
	v_and_b32_e32 v5, 0xffff, v5
	v_lshlrev_b32_e32 v6, 16, v6
	s_delay_alu instid0(VALU_DEP_3)
	v_or_b32_e32 v3, v4, v3
	scratch_load_b32 v4, off, off offset:16 ; 4-byte Folded Reload
	v_or3_b32 v3, 0, 0, v3
	s_wait_loadcnt 0x0
	v_mad_u32_u24 v7, 0xc0, v11, v4
	v_or3_b32 v4, v6, v5, 0
	ds_store_b64 v7, v[3:4]
.LBB52_12:
	s_wait_alu 0xfffe
	s_or_b32 exec_lo, exec_lo, s10
	v_or_b32_e32 v10, 4, v15
	s_mul_i32 s8, s8, s5
	s_and_saveexec_b32 s10, s2
	s_cbranch_execz .LBB52_14
; %bb.13:
	s_delay_alu instid0(VALU_DEP_1) | instskip(NEXT) | instid1(VALU_DEP_1)
	v_add_nc_u32_e32 v3, s33, v10
	v_mul_hi_u32 v4, v3, s36
	s_delay_alu instid0(VALU_DEP_1) | instskip(NEXT) | instid1(VALU_DEP_1)
	v_add_nc_u32_e32 v4, v3, v4
	v_lshrrev_b32_e32 v4, s37, v4
	s_delay_alu instid0(VALU_DEP_1) | instskip(NEXT) | instid1(VALU_DEP_1)
	v_mul_lo_u32 v4, v4, s38
	v_sub_nc_u32_e32 v5, v3, v4
	s_delay_alu instid0(VALU_DEP_1) | instskip(NEXT) | instid1(VALU_DEP_1)
	v_mad_co_u64_u32 v[3:4], null, s6, v5, 0
	v_mad_co_u64_u32 v[4:5], null, s7, v5, v[4:5]
	s_delay_alu instid0(VALU_DEP_1) | instskip(NEXT) | instid1(VALU_DEP_1)
	v_lshlrev_b64_e32 v[3:4], 2, v[3:4]
	v_add_co_u32 v3, vcc_lo, v1, v3
	s_wait_alu 0xfffd
	s_delay_alu instid0(VALU_DEP_2)
	v_add_co_ci_u32_e64 v4, null, v2, v4, vcc_lo
	global_load_b128 v[3:6], v[3:4], off
	s_wait_loadcnt 0x0
	v_fma_mixlo_f16 v4, s4, v4, 0
	v_fma_mixlo_f16 v3, s4, v3, 0
	;; [unrolled: 1-line block ×4, first 2 shown]
	s_delay_alu instid0(VALU_DEP_4) | instskip(NEXT) | instid1(VALU_DEP_4)
	v_lshlrev_b32_e32 v4, 16, v4
	v_and_b32_e32 v3, 0xffff, v3
	s_delay_alu instid0(VALU_DEP_4) | instskip(NEXT) | instid1(VALU_DEP_4)
	v_and_b32_e32 v5, 0xffff, v5
	v_lshlrev_b32_e32 v6, 16, v6
	s_delay_alu instid0(VALU_DEP_3)
	v_or_b32_e32 v3, v4, v3
	scratch_load_b32 v4, off, off offset:16 ; 4-byte Folded Reload
	v_or3_b32 v3, 0, 0, v3
	s_wait_loadcnt 0x0
	v_mad_u32_u24 v7, 0xc0, v10, v4
	v_or3_b32 v4, v6, v5, 0
	ds_store_b64 v7, v[3:4]
.LBB52_14:
	s_wait_alu 0xfffe
	s_or_b32 exec_lo, exec_lo, s10
	v_or_b32_e32 v9, 5, v15
	s_mul_hi_u32 s10, s5, s8
	s_and_saveexec_b32 s8, s2
	s_cbranch_execz .LBB52_16
; %bb.15:
	s_delay_alu instid0(VALU_DEP_1) | instskip(NEXT) | instid1(VALU_DEP_1)
	v_add_nc_u32_e32 v3, s33, v9
	v_mul_hi_u32 v4, v3, s36
	s_delay_alu instid0(VALU_DEP_1) | instskip(NEXT) | instid1(VALU_DEP_1)
	v_add_nc_u32_e32 v4, v3, v4
	v_lshrrev_b32_e32 v4, s37, v4
	s_delay_alu instid0(VALU_DEP_1) | instskip(NEXT) | instid1(VALU_DEP_1)
	v_mul_lo_u32 v4, v4, s38
	v_sub_nc_u32_e32 v5, v3, v4
	s_delay_alu instid0(VALU_DEP_1) | instskip(NEXT) | instid1(VALU_DEP_1)
	v_mad_co_u64_u32 v[3:4], null, s6, v5, 0
	v_mad_co_u64_u32 v[4:5], null, s7, v5, v[4:5]
	s_delay_alu instid0(VALU_DEP_1) | instskip(NEXT) | instid1(VALU_DEP_1)
	v_lshlrev_b64_e32 v[3:4], 2, v[3:4]
	v_add_co_u32 v3, vcc_lo, v1, v3
	s_wait_alu 0xfffd
	s_delay_alu instid0(VALU_DEP_2)
	v_add_co_ci_u32_e64 v4, null, v2, v4, vcc_lo
	global_load_b128 v[3:6], v[3:4], off
	s_wait_loadcnt 0x0
	v_fma_mixlo_f16 v4, s4, v4, 0
	v_fma_mixlo_f16 v3, s4, v3, 0
	;; [unrolled: 1-line block ×4, first 2 shown]
	s_delay_alu instid0(VALU_DEP_4) | instskip(NEXT) | instid1(VALU_DEP_4)
	v_lshlrev_b32_e32 v4, 16, v4
	v_and_b32_e32 v3, 0xffff, v3
	s_delay_alu instid0(VALU_DEP_4) | instskip(NEXT) | instid1(VALU_DEP_4)
	v_and_b32_e32 v5, 0xffff, v5
	v_lshlrev_b32_e32 v6, 16, v6
	s_delay_alu instid0(VALU_DEP_3)
	v_or_b32_e32 v3, v4, v3
	scratch_load_b32 v4, off, off offset:16 ; 4-byte Folded Reload
	v_or3_b32 v3, 0, 0, v3
	s_wait_loadcnt 0x0
	v_mad_u32_u24 v7, 0xc0, v9, v4
	v_or3_b32 v4, v6, v5, 0
	ds_store_b64 v7, v[3:4]
.LBB52_16:
	s_or_b32 exec_lo, exec_lo, s8
	v_or_b32_e32 v8, 6, v15
	s_abs_i32 s8, s34
	s_wait_alu 0xfffe
	s_add_co_i32 s10, s5, s10
	s_and_saveexec_b32 s5, s2
	s_cbranch_execz .LBB52_18
; %bb.17:
	v_add_nc_u32_e32 v3, s33, v8
	s_delay_alu instid0(VALU_DEP_1) | instskip(NEXT) | instid1(VALU_DEP_1)
	v_mul_hi_u32 v4, v3, s36
	v_add_nc_u32_e32 v4, v3, v4
	s_delay_alu instid0(VALU_DEP_1) | instskip(NEXT) | instid1(VALU_DEP_1)
	v_lshrrev_b32_e32 v4, s37, v4
	v_mul_lo_u32 v4, v4, s38
	s_delay_alu instid0(VALU_DEP_1) | instskip(NEXT) | instid1(VALU_DEP_1)
	v_sub_nc_u32_e32 v5, v3, v4
	v_mad_co_u64_u32 v[3:4], null, s6, v5, 0
	s_delay_alu instid0(VALU_DEP_1) | instskip(NEXT) | instid1(VALU_DEP_1)
	v_mad_co_u64_u32 v[4:5], null, s7, v5, v[4:5]
	v_lshlrev_b64_e32 v[3:4], 2, v[3:4]
	s_delay_alu instid0(VALU_DEP_1) | instskip(SKIP_1) | instid1(VALU_DEP_2)
	v_add_co_u32 v3, vcc_lo, v1, v3
	s_wait_alu 0xfffd
	v_add_co_ci_u32_e64 v4, null, v2, v4, vcc_lo
	global_load_b128 v[3:6], v[3:4], off
	s_wait_loadcnt 0x0
	v_fma_mixlo_f16 v4, s4, v4, 0
	v_fma_mixlo_f16 v3, s4, v3, 0
	;; [unrolled: 1-line block ×4, first 2 shown]
	s_delay_alu instid0(VALU_DEP_4) | instskip(NEXT) | instid1(VALU_DEP_4)
	v_lshlrev_b32_e32 v4, 16, v4
	v_and_b32_e32 v3, 0xffff, v3
	s_delay_alu instid0(VALU_DEP_4) | instskip(NEXT) | instid1(VALU_DEP_4)
	v_and_b32_e32 v5, 0xffff, v5
	v_lshlrev_b32_e32 v6, 16, v6
	s_delay_alu instid0(VALU_DEP_3)
	v_or_b32_e32 v3, v4, v3
	scratch_load_b32 v4, off, off offset:16 ; 4-byte Folded Reload
	v_or3_b32 v3, 0, 0, v3
	s_wait_loadcnt 0x0
	v_mad_u32_u24 v7, 0xc0, v8, v4
	v_or3_b32 v4, v6, v5, 0
	ds_store_b64 v7, v[3:4]
.LBB52_18:
	s_wait_alu 0xfffe
	s_or_b32 exec_lo, exec_lo, s5
	v_or_b32_e32 v6, 7, v15
	s_mov_b32 s11, s9
	s_and_saveexec_b32 s5, s2
	s_cbranch_execz .LBB52_20
; %bb.19:
	s_delay_alu instid0(VALU_DEP_1) | instskip(NEXT) | instid1(VALU_DEP_1)
	v_add_nc_u32_e32 v3, s33, v6
	v_mul_hi_u32 v4, v3, s36
	s_delay_alu instid0(VALU_DEP_1) | instskip(NEXT) | instid1(VALU_DEP_1)
	v_add_nc_u32_e32 v4, v3, v4
	v_lshrrev_b32_e32 v4, s37, v4
	s_delay_alu instid0(VALU_DEP_1) | instskip(NEXT) | instid1(VALU_DEP_1)
	v_mul_lo_u32 v4, v4, s38
	v_sub_nc_u32_e32 v5, v3, v4
	s_delay_alu instid0(VALU_DEP_1) | instskip(NEXT) | instid1(VALU_DEP_1)
	v_mad_co_u64_u32 v[3:4], null, s6, v5, 0
	v_mad_co_u64_u32 v[4:5], null, s7, v5, v[4:5]
	s_delay_alu instid0(VALU_DEP_1) | instskip(NEXT) | instid1(VALU_DEP_1)
	v_lshlrev_b64_e32 v[3:4], 2, v[3:4]
	v_add_co_u32 v1, vcc_lo, v1, v3
	s_wait_alu 0xfffd
	s_delay_alu instid0(VALU_DEP_2)
	v_add_co_ci_u32_e64 v2, null, v2, v4, vcc_lo
	global_load_b128 v[1:4], v[1:2], off
	s_wait_loadcnt 0x0
	v_fma_mixlo_f16 v2, s4, v2, 0
	v_fma_mixlo_f16 v1, s4, v1, 0
	;; [unrolled: 1-line block ×4, first 2 shown]
	s_delay_alu instid0(VALU_DEP_4) | instskip(NEXT) | instid1(VALU_DEP_4)
	v_lshlrev_b32_e32 v2, 16, v2
	v_and_b32_e32 v1, 0xffff, v1
	s_delay_alu instid0(VALU_DEP_4) | instskip(NEXT) | instid1(VALU_DEP_4)
	v_and_b32_e32 v3, 0xffff, v3
	v_lshlrev_b32_e32 v4, 16, v4
	s_delay_alu instid0(VALU_DEP_3)
	v_or_b32_e32 v1, v2, v1
	scratch_load_b32 v2, off, off offset:16 ; 4-byte Folded Reload
	v_or3_b32 v1, 0, 0, v1
	s_wait_loadcnt 0x0
	v_mad_u32_u24 v5, 0xc0, v6, v2
	v_or3_b32 v2, v4, v3, 0
	ds_store_b64 v5, v[1:2]
.LBB52_20:
	s_wait_alu 0xfffe
	s_or_b32 exec_lo, exec_lo, s5
	s_ashr_i32 s35, s34, 31
	s_ashr_i32 s13, s13, 31
	s_mul_u64 s[10:11], s[8:9], s[10:11]
	s_cmp_eq_u64 s[26:27], 0
	s_wait_storecnt_dscnt 0x0
	s_barrier_signal -1
	s_barrier_wait -1
	global_inv scope:SCOPE_SE
	s_cbranch_scc1 .LBB52_22
; %bb.21:
	s_load_b32 s4, s[0:1], 0xd0
	s_mov_b32 s5, 0
	s_wait_kmcnt 0x0
	s_mul_i32 s4, s4, s40
	s_wait_alu 0xfffe
	s_add_co_i32 s4, s4, ttmp9
	s_wait_alu 0xfffe
	s_lshl_b64 s[4:5], s[4:5], 2
	s_wait_alu 0xfffe
	s_add_nc_u64 s[4:5], s[26:27], s[4:5]
	s_load_b32 s50, s[4:5], 0x0
.LBB52_22:
	s_clause 0x7
	scratch_store_b32 off, v14, off offset:56
	scratch_store_b32 off, v13, off offset:68
	;; [unrolled: 1-line block ×8, first 2 shown]
	s_clause 0x2
	s_load_b64 s[14:15], s[0:1], 0x8c
	s_load_b128 s[4:7], s[0:1], 0x98
	s_load_b64 s[16:17], s[0:1], 0xa8
	scratch_load_b32 v1, off, off offset:20 ; 4-byte Folded Reload
	s_mul_i32 s9, s11, s12
	s_ashr_i32 s27, s3, 1
	s_xor_b32 s3, s35, s13
	s_sub_co_i32 s13, s8, s9
	s_add_co_i32 s10, s11, 1
	s_sub_co_i32 s22, s13, s12
	s_mov_b32 s41, 0
	v_mul_u32_u24_e32 v148, 0x600, v139
	v_lshl_add_u32 v126, v139, 9, 0x3000
	scratch_store_b32 off, v15, off offset:60 ; 4-byte Folded Spill
	s_wait_kmcnt 0x0
	s_ashr_i32 s52, s14, 2
	s_ashr_i32 s42, s6, 2
	s_cmp_ge_u32 s13, s12
	s_mul_u64 s[4:5], s[4:5], s[40:41]
	s_wait_alu 0xfffe
	s_cselect_b32 s6, s10, s11
	s_cselect_b32 s10, s22, s13
	s_wait_alu 0xfffe
	s_add_co_i32 s11, s6, 1
	s_cmp_ge_u32 s10, s12
	s_mul_u64 s[8:9], s[16:17], s[40:41]
	s_wait_alu 0xfffe
	s_cselect_b32 s6, s11, s6
	s_and_b32 s26, ttmp7, 0xffff
	s_wait_alu 0xfffe
	s_xor_b32 s6, s6, s3
	s_add_nc_u64 s[4:5], s[18:19], s[4:5]
	s_wait_alu 0xfffe
	s_sub_co_i32 s3, s6, s3
	s_add_nc_u64 s[8:9], s[20:21], s[8:9]
	s_wait_alu 0xfffe
	s_mul_i32 s10, s3, s15
	s_mul_i32 s6, s3, s7
	s_sub_co_i32 s41, s50, 32
	s_lshl_b32 s46, s26, 5
	s_wait_alu 0xfffe
	s_ashr_i32 s11, s10, 31
	s_ashr_i32 s7, s6, 31
	s_wait_alu 0xfffe
	s_add_nc_u64 s[54:55], s[4:5], s[10:11]
	s_cmp_ge_i32 s46, s41
	s_add_nc_u64 s[44:45], s[8:9], s[6:7]
	s_wait_loadcnt 0x0
	v_lshlrev_b32_e32 v2, 2, v1
	v_lshrrev_b32_e32 v160, 1, v1
	v_lshrrev_b32_e32 v158, 2, v1
	v_mul_u32_u24_e32 v149, 0x70, v1
	v_lshrrev_b32_e32 v146, 3, v1
	v_mov_b32_e32 v1, v2
	v_and_b32_e32 v159, 4, v2
	v_and_b32_e32 v147, 12, v2
	;; [unrolled: 1-line block ×3, first 2 shown]
	scratch_store_b64 off, v[1:2], off offset:72 ; 8-byte Folded Spill
	v_mbcnt_lo_u32_b32 v1, -1, 0
	scratch_store_b32 off, v1, off offset:28 ; 4-byte Folded Spill
	s_cbranch_scc1 .LBB52_58
; %bb.23:
	scratch_load_b32 v17, off, off offset:24 ; 4-byte Folded Reload
	v_lshl_add_u32 v2, v139, 4, v160
	v_lshlrev_b32_e32 v4, 2, v159
	v_dual_mov_b32 v127, 0 :: v_dual_add_nc_u32 v6, v158, v15
	v_dual_mov_b32 v128, 0 :: v_dual_lshlrev_b32 v7, 2, v147
	s_delay_alu instid0(VALU_DEP_4) | instskip(SKIP_1) | instid1(VALU_DEP_4)
	v_mul_u32_u24_e32 v11, 0x70, v2
	v_cmp_gt_u32_e64 s3, 32, v2
	v_mul_lo_u32 v3, s52, v6
	v_cmp_gt_u32_e64 s4, 32, v6
	v_cmp_gt_u32_e64 s5, 16, v6
	v_add3_u32 v161, v11, v4, 0x4040
	s_ashr_i32 s53, s52, 31
	v_dual_mov_b32 v140, 0 :: v_dual_add_nc_u32 v173, v126, v0
	v_dual_mov_b32 v141, 0 :: v_dual_lshlrev_b32 v174, 2, v159
	v_ashrrev_i32_e32 v4, 31, v3
	v_dual_mov_b32 v142, 0 :: v_dual_lshlrev_b32 v175, 2, v147
	v_mbcnt_lo_u32_b32 v176, -1, 0
	v_mov_b32_e32 v143, 0
	s_delay_alu instid0(VALU_DEP_4)
	v_lshlrev_b64_e32 v[107:108], 2, v[3:4]
	v_dual_mov_b32 v183, 0 :: v_dual_mov_b32 v184, 0
	v_dual_mov_b32 v182, 0 :: v_dual_mov_b32 v179, 0
	;; [unrolled: 1-line block ×4, first 2 shown]
	s_cmp_lg_u64 s[48:49], 0
	s_add_nc_u64 s[56:57], s[0:1], 0xd0
	s_cselect_b32 s51, -1, 0
	s_ashr_i32 s43, s42, 31
	v_mov_b32_e32 v130, 0
	v_mov_b32_e32 v132, 0
	v_dual_mov_b32 v136, 0 :: v_dual_mov_b32 v129, 0
	v_dual_mov_b32 v131, 0 :: v_dual_mov_b32 v134, 0
	v_mov_b32_e32 v133, 0
	v_mov_b32_e32 v135, 0
	v_dual_mov_b32 v137, 0 :: v_dual_mov_b32 v138, 0
	s_wait_loadcnt 0x0
	v_mul_hi_u32 v1, s36, v17
	v_or_b32_e32 v5, 1, v17
	v_or_b32_e32 v8, 2, v17
	;; [unrolled: 1-line block ×5, first 2 shown]
	v_mul_hi_u32 v12, s36, v5
	v_mul_hi_u32 v14, s36, v8
	v_add_nc_u32_e32 v1, v17, v1
	v_mul_hi_u32 v15, s36, v9
	v_mul_hi_u32 v19, s36, v16
	s_delay_alu instid0(VALU_DEP_3) | instskip(SKIP_1) | instid1(VALU_DEP_2)
	v_lshrrev_b32_e32 v1, s37, v1
	v_add_nc_u32_e32 v11, v5, v12
	v_mul_lo_u32 v13, v1, s38
	s_delay_alu instid0(VALU_DEP_2) | instskip(SKIP_3) | instid1(VALU_DEP_4)
	v_lshrrev_b32_e32 v11, s37, v11
	v_add_nc_u32_e32 v19, v16, v19
	v_mul_lo_u32 v1, s52, v2
	v_mul_u32_u24_e32 v2, 0x70, v6
	v_mul_lo_u32 v11, v11, s38
	v_sub_nc_u32_e32 v12, v17, v13
	v_or_b32_e32 v13, 5, v17
	v_or_b32_e32 v17, 7, v17
	v_add3_u32 v162, v2, v7, 0x4000
	v_ashrrev_i32_e32 v2, 31, v1
	v_mul_lo_u32 v163, v12, s27
	v_add_nc_u32_e32 v12, v8, v14
	v_add_nc_u32_e32 v14, v9, v15
	v_mul_hi_u32 v15, s36, v10
	v_mul_hi_u32 v18, s36, v13
	v_mul_hi_u32 v20, s36, v17
	v_lshrrev_b32_e32 v12, s37, v12
	v_sub_nc_u32_e32 v5, v5, v11
	v_lshrrev_b32_e32 v14, s37, v14
	v_lshlrev_b64_e32 v[105:106], 2, v[1:2]
	v_add_nc_u32_e32 v15, v10, v15
	v_add_nc_u32_e32 v18, v13, v18
	v_mul_lo_u32 v12, v12, s38
	v_add_nc_u32_e32 v20, v17, v20
	v_mul_lo_u32 v14, v14, s38
	v_lshrrev_b32_e32 v15, s37, v15
	v_lshrrev_b32_e32 v18, s37, v18
	v_mul_lo_u32 v164, v5, s27
	s_delay_alu instid0(VALU_DEP_3) | instskip(SKIP_1) | instid1(VALU_DEP_4)
	v_mul_lo_u32 v11, v15, s38
	v_lshrrev_b32_e32 v15, s37, v19
	v_mul_lo_u32 v18, v18, s38
	v_sub_nc_u32_e32 v8, v8, v12
	v_lshrrev_b32_e32 v19, s37, v20
	v_sub_nc_u32_e32 v9, v9, v14
	v_mul_lo_u32 v12, v15, s38
	v_mov_b32_e32 v15, 0xfeffffff
	v_sub_nc_u32_e32 v10, v10, v11
	v_mul_lo_u32 v165, v8, s27
	v_sub_nc_u32_e32 v5, v13, v18
	v_lshl_add_u32 v11, v139, 2, v146
	v_mul_lo_u32 v14, v19, s38
	v_mul_lo_u32 v167, v10, s27
	v_sub_nc_u32_e32 v8, v16, v12
	v_mul_u32_u24_e32 v10, 0xc0, v6
	v_mul_lo_u32 v168, v5, s27
	v_mul_lo_u32 v5, s42, v6
	;; [unrolled: 1-line block ×4, first 2 shown]
	v_or_b32_e32 v8, v10, v7
	v_mul_lo_u32 v7, s42, v11
	v_sub_nc_u32_e32 v9, v17, v14
	v_lshlrev_b32_e32 v10, 2, v145
	v_cmp_gt_u32_e64 s6, 16, v11
	v_add_nc_u32_e32 v171, 0x4080, v8
	v_ashrrev_i32_e32 v6, 31, v5
	v_mul_lo_u32 v170, v9, s27
	v_mul_u32_u24_e32 v9, 0xc0, v11
	v_ashrrev_i32_e32 v8, 31, v7
	v_mov_b32_e32 v14, 0xfeffffff
	v_lshlrev_b64_e32 v[109:110], 2, v[5:6]
	v_dual_mov_b32 v11, 0xfeffffff :: v_dual_mov_b32 v12, 0xfeffffff
	s_delay_alu instid0(VALU_DEP_4)
	v_lshlrev_b64_e32 v[111:112], 2, v[7:8]
	v_add3_u32 v172, v9, v10, 0x4000
	v_dual_mov_b32 v9, 0xfeffffff :: v_dual_mov_b32 v10, 0xfeffffff
	v_dual_mov_b32 v13, 0xfeffffff :: v_dual_mov_b32 v8, 0xfeffffff
.LBB52_24:                              ; =>This Inner Loop Header: Depth=1
	s_ashr_i32 s47, s46, 31
	s_wait_alu 0xfffe
	s_mul_u64 s[8:9], s[46:47], s[52:53]
	s_wait_alu 0xfffe
	s_lshl_b64 s[8:9], s[8:9], 2
	s_wait_alu 0xfffe
	s_add_nc_u64 s[8:9], s[54:55], s[8:9]
	s_and_saveexec_b32 s7, s3
	s_cbranch_execz .LBB52_26
; %bb.25:                               ;   in Loop: Header=BB52_24 Depth=1
	s_wait_alu 0xfffe
	v_add_co_u32 v0, vcc_lo, s8, v105
	s_wait_alu 0xfffd
	v_add_co_ci_u32_e64 v1, null, s9, v106, vcc_lo
	s_delay_alu instid0(VALU_DEP_2) | instskip(SKIP_1) | instid1(VALU_DEP_2)
	v_add_co_u32 v0, vcc_lo, v0, v174
	s_wait_alu 0xfffd
	v_add_co_ci_u32_e64 v1, null, 0, v1, vcc_lo
	global_load_b128 v[0:3], v[0:1], off offset:64
	s_wait_loadcnt 0x0
	ds_store_b128 v161, v[0:3]
.LBB52_26:                              ;   in Loop: Header=BB52_24 Depth=1
	s_wait_alu 0xfffe
	s_or_b32 exec_lo, exec_lo, s7
	s_and_saveexec_b32 s7, s4
	s_cbranch_execz .LBB52_28
; %bb.27:                               ;   in Loop: Header=BB52_24 Depth=1
	v_add_co_u32 v0, vcc_lo, s8, v107
	s_wait_alu 0xfffd
	v_add_co_ci_u32_e64 v1, null, s9, v108, vcc_lo
	s_delay_alu instid0(VALU_DEP_2) | instskip(SKIP_1) | instid1(VALU_DEP_2)
	v_add_co_u32 v0, vcc_lo, v0, v175
	s_wait_alu 0xfffd
	v_add_co_ci_u32_e64 v1, null, 0, v1, vcc_lo
	global_load_b128 v[0:3], v[0:1], off
	s_wait_loadcnt 0x0
	ds_store_b128 v162, v[0:3]
.LBB52_28:                              ;   in Loop: Header=BB52_24 Depth=1
	s_wait_alu 0xfffe
	s_or_b32 exec_lo, exec_lo, s7
	s_wait_storecnt_dscnt 0x0
	s_barrier_signal -1
	s_barrier_wait -1
	global_inv scope:SCOPE_SE
	ds_load_b128 v[16:19], v149 offset:16384
	ds_load_b128 v[0:3], v148
	ds_load_b128 v[20:23], v148 offset:192
	ds_load_b128 v[24:27], v148 offset:384
	;; [unrolled: 1-line block ×6, first 2 shown]
	v_dual_mov_b32 v7, 0 :: v_dual_mov_b32 v6, 0
	ds_load_b128 v[44:47], v148 offset:1344
	v_dual_mov_b32 v5, 0 :: v_dual_mov_b32 v4, 0
	s_wait_dscnt 0x7
	;;#ASMSTART
	v_dot2_f32_f16 v7, v16, v0, v7
	;;#ASMEND
	;;#ASMSTART
	v_dot2_f32_f16 v7, v17, v1, v7
	;;#ASMEND
	;;#ASMSTART
	v_dot2_f32_f16 v7, v18, v2, v7
	;;#ASMEND
	;;#ASMSTART
	v_dot2_f32_f16 v7, v19, v3, v7
	;;#ASMEND
	s_wait_dscnt 0x6
	;;#ASMSTART
	v_dot2_f32_f16 v6, v16, v20, v6
	;;#ASMEND
	;;#ASMSTART
	v_dot2_f32_f16 v6, v17, v21, v6
	;;#ASMEND
	;;#ASMSTART
	v_dot2_f32_f16 v6, v18, v22, v6
	;;#ASMEND
	;;#ASMSTART
	v_dot2_f32_f16 v6, v19, v23, v6
	;;#ASMEND
	;; [unrolled: 13-line block ×3, first 2 shown]
	s_wait_dscnt 0x4
	;;#ASMSTART
	v_dot2_f32_f16 v4, v16, v28, v4
	;;#ASMEND
	;;#ASMSTART
	v_dot2_f32_f16 v4, v17, v29, v4
	;;#ASMEND
	v_dual_mov_b32 v3, 0 :: v_dual_mov_b32 v2, 0
	;;#ASMSTART
	v_dot2_f32_f16 v4, v18, v30, v4
	;;#ASMEND
	;;#ASMSTART
	v_dot2_f32_f16 v4, v19, v31, v4
	;;#ASMEND
	s_wait_dscnt 0x3
	;;#ASMSTART
	v_dot2_f32_f16 v3, v16, v32, v3
	;;#ASMEND
	;;#ASMSTART
	v_dot2_f32_f16 v3, v17, v33, v3
	;;#ASMEND
	;; [unrolled: 3-line block ×4, first 2 shown]
	s_wait_dscnt 0x2
	;;#ASMSTART
	v_dot2_f32_f16 v2, v16, v36, v2
	;;#ASMEND
	;;#ASMSTART
	v_dot2_f32_f16 v2, v17, v37, v2
	;;#ASMEND
	v_dual_mov_b32 v1, 0 :: v_dual_mov_b32 v0, 0
	;;#ASMSTART
	v_dot2_f32_f16 v2, v18, v38, v2
	;;#ASMEND
	;;#ASMSTART
	v_dot2_f32_f16 v2, v19, v39, v2
	;;#ASMEND
	s_wait_dscnt 0x1
	;;#ASMSTART
	v_dot2_f32_f16 v1, v16, v40, v1
	;;#ASMEND
	;;#ASMSTART
	v_dot2_f32_f16 v1, v17, v41, v1
	;;#ASMEND
	;; [unrolled: 3-line block ×4, first 2 shown]
	s_wait_dscnt 0x0
	;;#ASMSTART
	v_dot2_f32_f16 v0, v16, v44, v0
	;;#ASMEND
	;;#ASMSTART
	v_dot2_f32_f16 v0, v17, v45, v0
	;;#ASMEND
	;; [unrolled: 3-line block ×4, first 2 shown]
	ds_load_b128 v[16:19], v149 offset:16400
	ds_load_b128 v[20:23], v148 offset:16
	ds_load_b128 v[24:27], v148 offset:208
	ds_load_b128 v[28:31], v148 offset:400
	ds_load_b128 v[32:35], v148 offset:592
	ds_load_b128 v[36:39], v148 offset:784
	ds_load_b128 v[40:43], v148 offset:976
	ds_load_b128 v[44:47], v148 offset:1168
	ds_load_b128 v[48:51], v148 offset:1360
	s_wait_dscnt 0x7
	;;#ASMSTART
	v_dot2_f32_f16 v7, v16, v20, v7
	;;#ASMEND
	;;#ASMSTART
	v_dot2_f32_f16 v7, v17, v21, v7
	;;#ASMEND
	;;#ASMSTART
	v_dot2_f32_f16 v7, v18, v22, v7
	;;#ASMEND
	;;#ASMSTART
	v_dot2_f32_f16 v7, v19, v23, v7
	;;#ASMEND
	s_wait_dscnt 0x6
	;;#ASMSTART
	v_dot2_f32_f16 v6, v16, v24, v6
	;;#ASMEND
	;;#ASMSTART
	v_dot2_f32_f16 v6, v17, v25, v6
	;;#ASMEND
	;;#ASMSTART
	v_dot2_f32_f16 v6, v18, v26, v6
	;;#ASMEND
	;;#ASMSTART
	v_dot2_f32_f16 v6, v19, v27, v6
	;;#ASMEND
	;; [unrolled: 13-line block ×8, first 2 shown]
	ds_load_b128 v[16:19], v149 offset:16416
	ds_load_b128 v[20:23], v148 offset:32
	;; [unrolled: 1-line block ×9, first 2 shown]
	s_wait_dscnt 0x7
	;;#ASMSTART
	v_dot2_f32_f16 v7, v16, v20, v7
	;;#ASMEND
	;;#ASMSTART
	v_dot2_f32_f16 v7, v17, v21, v7
	;;#ASMEND
	;;#ASMSTART
	v_dot2_f32_f16 v7, v18, v22, v7
	;;#ASMEND
	;;#ASMSTART
	v_dot2_f32_f16 v7, v19, v23, v7
	;;#ASMEND
	s_wait_dscnt 0x6
	;;#ASMSTART
	v_dot2_f32_f16 v6, v16, v24, v6
	;;#ASMEND
	;;#ASMSTART
	v_dot2_f32_f16 v6, v17, v25, v6
	;;#ASMEND
	;;#ASMSTART
	v_dot2_f32_f16 v6, v18, v26, v6
	;;#ASMEND
	;;#ASMSTART
	v_dot2_f32_f16 v6, v19, v27, v6
	;;#ASMEND
	;; [unrolled: 13-line block ×8, first 2 shown]
	ds_load_b128 v[16:19], v149 offset:16432
	ds_load_b128 v[20:23], v148 offset:48
	;; [unrolled: 1-line block ×9, first 2 shown]
	s_wait_dscnt 0x7
	;;#ASMSTART
	v_dot2_f32_f16 v7, v16, v20, v7
	;;#ASMEND
	;;#ASMSTART
	v_dot2_f32_f16 v7, v17, v21, v7
	;;#ASMEND
	;;#ASMSTART
	v_dot2_f32_f16 v7, v18, v22, v7
	;;#ASMEND
	;;#ASMSTART
	v_dot2_f32_f16 v7, v19, v23, v7
	;;#ASMEND
	s_wait_dscnt 0x6
	;;#ASMSTART
	v_dot2_f32_f16 v6, v16, v24, v6
	;;#ASMEND
	;;#ASMSTART
	v_dot2_f32_f16 v6, v17, v25, v6
	;;#ASMEND
	;;#ASMSTART
	v_dot2_f32_f16 v6, v18, v26, v6
	;;#ASMEND
	;;#ASMSTART
	v_dot2_f32_f16 v6, v19, v27, v6
	;;#ASMEND
	;; [unrolled: 13-line block ×8, first 2 shown]
	ds_load_b128 v[16:19], v149 offset:16448
	ds_load_b128 v[20:23], v148 offset:64
	;; [unrolled: 1-line block ×9, first 2 shown]
	s_wait_dscnt 0x7
	;;#ASMSTART
	v_dot2_f32_f16 v7, v16, v20, v7
	;;#ASMEND
	;;#ASMSTART
	v_dot2_f32_f16 v7, v17, v21, v7
	;;#ASMEND
	;;#ASMSTART
	v_dot2_f32_f16 v7, v18, v22, v7
	;;#ASMEND
	;;#ASMSTART
	v_dot2_f32_f16 v7, v19, v23, v7
	;;#ASMEND
	s_wait_dscnt 0x6
	;;#ASMSTART
	v_dot2_f32_f16 v6, v16, v24, v6
	;;#ASMEND
	;;#ASMSTART
	v_dot2_f32_f16 v6, v17, v25, v6
	;;#ASMEND
	;;#ASMSTART
	v_dot2_f32_f16 v6, v18, v26, v6
	;;#ASMEND
	;;#ASMSTART
	v_dot2_f32_f16 v6, v19, v27, v6
	;;#ASMEND
	;; [unrolled: 13-line block ×8, first 2 shown]
	ds_load_b128 v[16:19], v149 offset:16464
	ds_load_b128 v[20:23], v148 offset:80
	;; [unrolled: 1-line block ×9, first 2 shown]
	s_wait_dscnt 0x7
	;;#ASMSTART
	v_dot2_f32_f16 v7, v16, v20, v7
	;;#ASMEND
	;;#ASMSTART
	v_dot2_f32_f16 v7, v17, v21, v7
	;;#ASMEND
	;;#ASMSTART
	v_dot2_f32_f16 v7, v18, v22, v7
	;;#ASMEND
	;;#ASMSTART
	v_dot2_f32_f16 v7, v19, v23, v7
	;;#ASMEND
	s_wait_dscnt 0x6
	;;#ASMSTART
	v_dot2_f32_f16 v6, v16, v24, v6
	;;#ASMEND
	;;#ASMSTART
	v_dot2_f32_f16 v6, v17, v25, v6
	;;#ASMEND
	;;#ASMSTART
	v_dot2_f32_f16 v6, v18, v26, v6
	;;#ASMEND
	;;#ASMSTART
	v_dot2_f32_f16 v6, v19, v27, v6
	;;#ASMEND
	;; [unrolled: 13-line block ×8, first 2 shown]
	s_wait_loadcnt 0x0
	s_barrier_signal -1
	s_barrier_wait -1
	global_inv scope:SCOPE_SE
	s_and_saveexec_b32 s7, s3
	s_cbranch_execz .LBB52_30
; %bb.29:                               ;   in Loop: Header=BB52_24 Depth=1
	v_add_co_u32 v16, vcc_lo, s8, v105
	s_wait_alu 0xfffd
	v_add_co_ci_u32_e64 v17, null, s9, v106, vcc_lo
	s_delay_alu instid0(VALU_DEP_2) | instskip(SKIP_1) | instid1(VALU_DEP_2)
	v_add_co_u32 v16, vcc_lo, v16, v174
	s_wait_alu 0xfffd
	v_add_co_ci_u32_e64 v17, null, 0, v17, vcc_lo
	global_load_b128 v[16:19], v[16:17], off offset:160
	s_wait_loadcnt 0x0
	ds_store_b128 v161, v[16:19]
.LBB52_30:                              ;   in Loop: Header=BB52_24 Depth=1
	s_wait_alu 0xfffe
	s_or_b32 exec_lo, exec_lo, s7
	s_and_saveexec_b32 s7, s4
	s_cbranch_execz .LBB52_32
; %bb.31:                               ;   in Loop: Header=BB52_24 Depth=1
	v_add_co_u32 v16, vcc_lo, s8, v107
	s_wait_alu 0xfffd
	v_add_co_ci_u32_e64 v17, null, s9, v108, vcc_lo
	s_delay_alu instid0(VALU_DEP_2) | instskip(SKIP_1) | instid1(VALU_DEP_2)
	v_add_co_u32 v16, vcc_lo, v16, v175
	s_wait_alu 0xfffd
	v_add_co_ci_u32_e64 v17, null, 0, v17, vcc_lo
	global_load_b128 v[16:19], v[16:17], off offset:96
	s_wait_loadcnt 0x0
	ds_store_b128 v162, v[16:19]
.LBB52_32:                              ;   in Loop: Header=BB52_24 Depth=1
	s_wait_alu 0xfffe
	s_or_b32 exec_lo, exec_lo, s7
	s_wait_loadcnt_dscnt 0x0
	s_barrier_signal -1
	s_barrier_wait -1
	global_inv scope:SCOPE_SE
	ds_load_b128 v[16:19], v149 offset:16384
	ds_load_b128 v[20:23], v148 offset:96
	;; [unrolled: 1-line block ×9, first 2 shown]
	s_and_not1_b32 vcc_lo, exec_lo, s51
	s_wait_dscnt 0x7
	;;#ASMSTART
	v_dot2_f32_f16 v7, v16, v20, v7
	;;#ASMEND
	;;#ASMSTART
	v_dot2_f32_f16 v7, v17, v21, v7
	;;#ASMEND
	;;#ASMSTART
	v_dot2_f32_f16 v7, v18, v22, v7
	;;#ASMEND
	;;#ASMSTART
	v_dot2_f32_f16 v7, v19, v23, v7
	;;#ASMEND
	s_wait_dscnt 0x6
	;;#ASMSTART
	v_dot2_f32_f16 v6, v16, v24, v6
	;;#ASMEND
	;;#ASMSTART
	v_dot2_f32_f16 v6, v17, v25, v6
	;;#ASMEND
	;;#ASMSTART
	v_dot2_f32_f16 v6, v18, v26, v6
	;;#ASMEND
	;;#ASMSTART
	v_dot2_f32_f16 v6, v19, v27, v6
	;;#ASMEND
	;; [unrolled: 13-line block ×8, first 2 shown]
	ds_load_b128 v[16:19], v149 offset:16400
	ds_load_b128 v[20:23], v148 offset:112
	;; [unrolled: 1-line block ×9, first 2 shown]
	s_wait_dscnt 0x7
	;;#ASMSTART
	v_dot2_f32_f16 v7, v16, v20, v7
	;;#ASMEND
	;;#ASMSTART
	v_dot2_f32_f16 v7, v17, v21, v7
	;;#ASMEND
	;;#ASMSTART
	v_dot2_f32_f16 v7, v18, v22, v7
	;;#ASMEND
	;;#ASMSTART
	v_dot2_f32_f16 v7, v19, v23, v7
	;;#ASMEND
	s_wait_dscnt 0x6
	;;#ASMSTART
	v_dot2_f32_f16 v6, v16, v24, v6
	;;#ASMEND
	;;#ASMSTART
	v_dot2_f32_f16 v6, v17, v25, v6
	;;#ASMEND
	;;#ASMSTART
	v_dot2_f32_f16 v6, v18, v26, v6
	;;#ASMEND
	;;#ASMSTART
	v_dot2_f32_f16 v6, v19, v27, v6
	;;#ASMEND
	;; [unrolled: 13-line block ×8, first 2 shown]
	ds_load_b128 v[16:19], v149 offset:16416
	ds_load_b128 v[20:23], v148 offset:128
	;; [unrolled: 1-line block ×9, first 2 shown]
	s_wait_dscnt 0x7
	;;#ASMSTART
	v_dot2_f32_f16 v7, v16, v20, v7
	;;#ASMEND
	;;#ASMSTART
	v_dot2_f32_f16 v7, v17, v21, v7
	;;#ASMEND
	;;#ASMSTART
	v_dot2_f32_f16 v7, v18, v22, v7
	;;#ASMEND
	;;#ASMSTART
	v_dot2_f32_f16 v7, v19, v23, v7
	;;#ASMEND
	s_wait_dscnt 0x6
	;;#ASMSTART
	v_dot2_f32_f16 v6, v16, v24, v6
	;;#ASMEND
	;;#ASMSTART
	v_dot2_f32_f16 v6, v17, v25, v6
	;;#ASMEND
	;;#ASMSTART
	v_dot2_f32_f16 v6, v18, v26, v6
	;;#ASMEND
	;;#ASMSTART
	v_dot2_f32_f16 v6, v19, v27, v6
	;;#ASMEND
	;; [unrolled: 13-line block ×8, first 2 shown]
	ds_load_b128 v[16:19], v149 offset:16432
	ds_load_b128 v[20:23], v148 offset:144
	;; [unrolled: 1-line block ×9, first 2 shown]
	s_wait_dscnt 0x7
	;;#ASMSTART
	v_dot2_f32_f16 v7, v16, v20, v7
	;;#ASMEND
	;;#ASMSTART
	v_dot2_f32_f16 v7, v17, v21, v7
	;;#ASMEND
	;;#ASMSTART
	v_dot2_f32_f16 v7, v18, v22, v7
	;;#ASMEND
	;;#ASMSTART
	v_dot2_f32_f16 v7, v19, v23, v7
	;;#ASMEND
	s_wait_dscnt 0x6
	;;#ASMSTART
	v_dot2_f32_f16 v6, v16, v24, v6
	;;#ASMEND
	;;#ASMSTART
	v_dot2_f32_f16 v6, v17, v25, v6
	;;#ASMEND
	;;#ASMSTART
	v_dot2_f32_f16 v6, v18, v26, v6
	;;#ASMEND
	;;#ASMSTART
	v_dot2_f32_f16 v6, v19, v27, v6
	;;#ASMEND
	;; [unrolled: 13-line block ×8, first 2 shown]
	ds_load_b128 v[16:19], v149 offset:16448
	ds_load_b128 v[20:23], v148 offset:160
	;; [unrolled: 1-line block ×9, first 2 shown]
	s_wait_dscnt 0x7
	;;#ASMSTART
	v_dot2_f32_f16 v7, v16, v20, v7
	;;#ASMEND
	;;#ASMSTART
	v_dot2_f32_f16 v7, v17, v21, v7
	;;#ASMEND
	;;#ASMSTART
	v_dot2_f32_f16 v7, v18, v22, v7
	;;#ASMEND
	;;#ASMSTART
	v_dot2_f32_f16 v7, v19, v23, v7
	;;#ASMEND
	s_wait_dscnt 0x6
	;;#ASMSTART
	v_dot2_f32_f16 v6, v16, v24, v6
	;;#ASMEND
	;;#ASMSTART
	v_dot2_f32_f16 v6, v17, v25, v6
	;;#ASMEND
	;;#ASMSTART
	v_dot2_f32_f16 v6, v18, v26, v6
	;;#ASMEND
	;;#ASMSTART
	v_dot2_f32_f16 v6, v19, v27, v6
	;;#ASMEND
	s_wait_dscnt 0x5
	;;#ASMSTART
	v_dot2_f32_f16 v5, v16, v28, v5
	;;#ASMEND
	;;#ASMSTART
	v_dot2_f32_f16 v5, v17, v29, v5
	;;#ASMEND
	;;#ASMSTART
	v_dot2_f32_f16 v5, v18, v30, v5
	;;#ASMEND
	;;#ASMSTART
	v_dot2_f32_f16 v5, v19, v31, v5
	;;#ASMEND
	s_wait_dscnt 0x4
	;;#ASMSTART
	v_dot2_f32_f16 v4, v16, v32, v4
	;;#ASMEND
	;;#ASMSTART
	v_dot2_f32_f16 v4, v17, v33, v4
	;;#ASMEND
	;;#ASMSTART
	v_dot2_f32_f16 v4, v18, v34, v4
	;;#ASMEND
	;;#ASMSTART
	v_dot2_f32_f16 v4, v19, v35, v4
	;;#ASMEND
	s_wait_dscnt 0x3
	;;#ASMSTART
	v_dot2_f32_f16 v3, v16, v36, v3
	;;#ASMEND
	;;#ASMSTART
	v_dot2_f32_f16 v3, v17, v37, v3
	;;#ASMEND
	;;#ASMSTART
	v_dot2_f32_f16 v3, v18, v38, v3
	;;#ASMEND
	;;#ASMSTART
	v_dot2_f32_f16 v3, v19, v39, v3
	;;#ASMEND
	s_wait_dscnt 0x2
	;;#ASMSTART
	v_dot2_f32_f16 v2, v16, v40, v2
	;;#ASMEND
	;;#ASMSTART
	v_dot2_f32_f16 v2, v17, v41, v2
	;;#ASMEND
	;;#ASMSTART
	v_dot2_f32_f16 v2, v18, v42, v2
	;;#ASMEND
	;;#ASMSTART
	v_dot2_f32_f16 v2, v19, v43, v2
	;;#ASMEND
	s_wait_dscnt 0x1
	;;#ASMSTART
	v_dot2_f32_f16 v1, v16, v44, v1
	;;#ASMEND
	;;#ASMSTART
	v_dot2_f32_f16 v1, v17, v45, v1
	;;#ASMEND
	;;#ASMSTART
	v_dot2_f32_f16 v1, v18, v46, v1
	;;#ASMEND
	;;#ASMSTART
	v_dot2_f32_f16 v1, v19, v47, v1
	;;#ASMEND
	s_wait_dscnt 0x0
	;;#ASMSTART
	v_dot2_f32_f16 v0, v16, v48, v0
	;;#ASMEND
	;;#ASMSTART
	v_dot2_f32_f16 v0, v17, v49, v0
	;;#ASMEND
	;;#ASMSTART
	v_dot2_f32_f16 v0, v18, v50, v0
	;;#ASMEND
	;;#ASMSTART
	v_dot2_f32_f16 v0, v19, v51, v0
	;;#ASMEND
	ds_load_b128 v[23:26], v149 offset:16464
	ds_load_b128 v[27:30], v148 offset:176
	;; [unrolled: 1-line block ×4, first 2 shown]
	scratch_load_b32 v16, off, off offset:20 ; 4-byte Folded Reload
	ds_load_b128 v[39:42], v148 offset:752
	ds_load_b128 v[43:46], v148 offset:944
	;; [unrolled: 1-line block ×5, first 2 shown]
	s_wait_dscnt 0x7
	;;#ASMSTART
	v_dot2_f32_f16 v7, v23, v27, v7
	;;#ASMEND
	;;#ASMSTART
	v_dot2_f32_f16 v7, v24, v28, v7
	;;#ASMEND
	;;#ASMSTART
	v_dot2_f32_f16 v7, v25, v29, v7
	;;#ASMEND
	;;#ASMSTART
	v_dot2_f32_f16 v7, v26, v30, v7
	;;#ASMEND
	s_wait_dscnt 0x6
	;;#ASMSTART
	v_dot2_f32_f16 v6, v23, v31, v6
	;;#ASMEND
	;;#ASMSTART
	v_dot2_f32_f16 v6, v24, v32, v6
	;;#ASMEND
	;;#ASMSTART
	v_dot2_f32_f16 v6, v25, v33, v6
	;;#ASMEND
	;;#ASMSTART
	v_dot2_f32_f16 v6, v26, v34, v6
	;;#ASMEND
	;; [unrolled: 13-line block ×8, first 2 shown]
	s_wait_loadcnt 0x0
	v_dual_mov_b32 v19, 0 :: v_dual_add_nc_u32 v22, s46, v16
	v_mov_b32_e32 v16, 0
	s_wait_alu 0xfffe
	s_cbranch_vccnz .LBB52_34
; %bb.33:                               ;   in Loop: Header=BB52_24 Depth=1
	s_delay_alu instid0(VALU_DEP_2) | instskip(NEXT) | instid1(VALU_DEP_1)
	v_add_nc_u32_e32 v16, v22, v163
	v_ashrrev_i32_e32 v17, 31, v16
	s_delay_alu instid0(VALU_DEP_1) | instskip(NEXT) | instid1(VALU_DEP_1)
	v_lshlrev_b64_e32 v[16:17], 1, v[16:17]
	v_add_co_u32 v16, vcc_lo, s48, v16
	s_wait_alu 0xfffd
	s_delay_alu instid0(VALU_DEP_2) | instskip(SKIP_3) | instid1(VALU_DEP_1)
	v_add_co_ci_u32_e64 v17, null, s49, v17, vcc_lo
	global_load_u16 v16, v[16:17], off
	s_wait_loadcnt 0x0
	v_cvt_f32_f16_e32 v16, v16
	v_mul_f32_e32 v16, v144, v16
.LBB52_34:                              ;   in Loop: Header=BB52_24 Depth=1
	v_xor_b32_e32 v18, 16, v176
	v_xor_b32_e32 v20, 2, v176
	s_delay_alu instid0(VALU_DEP_2) | instskip(NEXT) | instid1(VALU_DEP_4)
	v_cmp_gt_i32_e32 vcc_lo, 32, v18
	v_add_f32_e32 v17, v7, v16
	s_wait_alu 0xfffd
	v_dual_max_num_f32 v7, v9, v9 :: v_dual_cndmask_b32 v16, v176, v18
	s_delay_alu instid0(VALU_DEP_1) | instskip(NEXT) | instid1(VALU_DEP_1)
	v_dual_add_f32 v18, 0x40051340, v17 :: v_dual_lshlrev_b32 v25, 2, v16
	v_max_num_f32_e32 v7, v7, v18
	v_xor_b32_e32 v18, 8, v176
	ds_bpermute_b32 v16, v25, v7
	v_cmp_gt_i32_e32 vcc_lo, 32, v18
	s_wait_alu 0xfffd
	v_cndmask_b32_e32 v18, v176, v18, vcc_lo
	s_wait_dscnt 0x0
	v_max_num_f32_e32 v16, v16, v16
	s_delay_alu instid0(VALU_DEP_2) | instskip(SKIP_1) | instid1(VALU_DEP_3)
	v_lshlrev_b32_e32 v26, 2, v18
	v_xor_b32_e32 v18, 4, v176
	v_max_num_f32_e32 v7, v7, v16
	s_delay_alu instid0(VALU_DEP_2)
	v_cmp_gt_i32_e32 vcc_lo, 32, v18
	ds_bpermute_b32 v16, v26, v7
	s_wait_dscnt 0x0
	v_max_num_f32_e32 v16, v16, v16
	s_wait_alu 0xfffd
	v_cndmask_b32_e32 v18, v176, v18, vcc_lo
	v_cmp_gt_i32_e32 vcc_lo, 32, v20
	s_delay_alu instid0(VALU_DEP_2)
	v_dual_max_num_f32 v7, v7, v16 :: v_dual_lshlrev_b32 v18, 2, v18
	s_wait_alu 0xfffd
	v_cndmask_b32_e32 v20, v176, v20, vcc_lo
	ds_bpermute_b32 v16, v18, v7
	s_wait_dscnt 0x0
	v_max_num_f32_e32 v21, v16, v16
	v_lshlrev_b32_e32 v16, 2, v20
	s_delay_alu instid0(VALU_DEP_2) | instskip(SKIP_1) | instid1(VALU_DEP_1)
	v_max_num_f32_e32 v20, v7, v21
	v_xor_b32_e32 v21, 1, v176
	v_cmp_gt_i32_e32 vcc_lo, 32, v21
	s_wait_alu 0xfffd
	v_cndmask_b32_e32 v21, v176, v21, vcc_lo
	ds_bpermute_b32 v7, v16, v20
	s_and_not1_b32 vcc_lo, exec_lo, s51
	s_wait_dscnt 0x0
	v_max_num_f32_e32 v23, v7, v7
	v_lshlrev_b32_e32 v7, 2, v21
	s_delay_alu instid0(VALU_DEP_2)
	v_max_num_f32_e32 v27, v20, v23
	ds_bpermute_b32 v28, v7, v27
	s_wait_alu 0xfffe
	s_cbranch_vccnz .LBB52_36
; %bb.35:                               ;   in Loop: Header=BB52_24 Depth=1
	v_add_nc_u32_e32 v19, v22, v164
	s_delay_alu instid0(VALU_DEP_1) | instskip(NEXT) | instid1(VALU_DEP_1)
	v_ashrrev_i32_e32 v20, 31, v19
	v_lshlrev_b64_e32 v[19:20], 1, v[19:20]
	s_delay_alu instid0(VALU_DEP_1) | instskip(SKIP_1) | instid1(VALU_DEP_2)
	v_add_co_u32 v19, vcc_lo, s48, v19
	s_wait_alu 0xfffd
	v_add_co_ci_u32_e64 v20, null, s49, v20, vcc_lo
	global_load_u16 v19, v[19:20], off
	s_wait_loadcnt 0x0
	v_cvt_f32_f16_e32 v19, v19
	s_delay_alu instid0(VALU_DEP_1)
	v_mul_f32_e32 v19, v144, v19
.LBB52_36:                              ;   in Loop: Header=BB52_24 Depth=1
	v_max_num_f32_e32 v20, v14, v14
	s_delay_alu instid0(VALU_DEP_2) | instskip(SKIP_1) | instid1(VALU_DEP_1)
	v_add_f32_e32 v19, v6, v19
	s_and_not1_b32 vcc_lo, exec_lo, s51
	v_dual_mov_b32 v21, 0 :: v_dual_add_f32 v6, 0x40051340, v19
	s_delay_alu instid0(VALU_DEP_1) | instskip(SKIP_3) | instid1(VALU_DEP_1)
	v_max_num_f32_e32 v6, v20, v6
	ds_bpermute_b32 v20, v25, v6
	s_wait_dscnt 0x0
	v_max_num_f32_e32 v20, v20, v20
	v_max_num_f32_e32 v6, v6, v20
	ds_bpermute_b32 v20, v26, v6
	s_wait_dscnt 0x0
	v_max_num_f32_e32 v20, v20, v20
	s_delay_alu instid0(VALU_DEP_1) | instskip(SKIP_3) | instid1(VALU_DEP_1)
	v_max_num_f32_e32 v6, v6, v20
	ds_bpermute_b32 v20, v18, v6
	s_wait_dscnt 0x0
	v_max_num_f32_e32 v20, v20, v20
	v_max_num_f32_e32 v6, v6, v20
	ds_bpermute_b32 v20, v16, v6
	s_wait_dscnt 0x0
	v_max_num_f32_e32 v20, v20, v20
	s_delay_alu instid0(VALU_DEP_1)
	v_max_num_f32_e32 v6, v6, v20
	v_mov_b32_e32 v20, 0
	ds_bpermute_b32 v30, v7, v6
	s_wait_alu 0xfffe
	s_cbranch_vccnz .LBB52_38
; %bb.37:                               ;   in Loop: Header=BB52_24 Depth=1
	v_add_nc_u32_e32 v23, v22, v165
	s_delay_alu instid0(VALU_DEP_1) | instskip(NEXT) | instid1(VALU_DEP_1)
	v_ashrrev_i32_e32 v24, 31, v23
	v_lshlrev_b64_e32 v[23:24], 1, v[23:24]
	s_delay_alu instid0(VALU_DEP_1) | instskip(SKIP_1) | instid1(VALU_DEP_2)
	v_add_co_u32 v23, vcc_lo, s48, v23
	s_wait_alu 0xfffd
	v_add_co_ci_u32_e64 v24, null, s49, v24, vcc_lo
	global_load_u16 v20, v[23:24], off
	s_wait_loadcnt 0x0
	v_cvt_f32_f16_e32 v20, v20
	s_delay_alu instid0(VALU_DEP_1)
	v_mul_f32_e32 v20, v144, v20
.LBB52_38:                              ;   in Loop: Header=BB52_24 Depth=1
	s_delay_alu instid0(VALU_DEP_1) | instskip(SKIP_1) | instid1(VALU_DEP_1)
	v_dual_add_f32 v20, v5, v20 :: v_dual_max_num_f32 v23, v15, v15
	s_and_not1_b32 vcc_lo, exec_lo, s51
	v_add_f32_e32 v5, 0x40051340, v20
	s_delay_alu instid0(VALU_DEP_1) | instskip(SKIP_3) | instid1(VALU_DEP_1)
	v_max_num_f32_e32 v5, v23, v5
	ds_bpermute_b32 v23, v25, v5
	s_wait_dscnt 0x0
	v_max_num_f32_e32 v23, v23, v23
	v_max_num_f32_e32 v5, v5, v23
	ds_bpermute_b32 v23, v26, v5
	s_wait_dscnt 0x0
	v_max_num_f32_e32 v23, v23, v23
	s_delay_alu instid0(VALU_DEP_1) | instskip(SKIP_3) | instid1(VALU_DEP_1)
	v_max_num_f32_e32 v5, v5, v23
	ds_bpermute_b32 v23, v18, v5
	s_wait_dscnt 0x0
	v_max_num_f32_e32 v23, v23, v23
	v_max_num_f32_e32 v5, v5, v23
	ds_bpermute_b32 v23, v16, v5
	s_wait_dscnt 0x0
	v_max_num_f32_e32 v23, v23, v23
	s_delay_alu instid0(VALU_DEP_1)
	v_max_num_f32_e32 v5, v5, v23
	ds_bpermute_b32 v31, v7, v5
	s_wait_alu 0xfffe
	s_cbranch_vccnz .LBB52_40
; %bb.39:                               ;   in Loop: Header=BB52_24 Depth=1
	v_add_nc_u32_e32 v23, v22, v166
	s_delay_alu instid0(VALU_DEP_1) | instskip(NEXT) | instid1(VALU_DEP_1)
	v_ashrrev_i32_e32 v24, 31, v23
	v_lshlrev_b64_e32 v[23:24], 1, v[23:24]
	s_delay_alu instid0(VALU_DEP_1) | instskip(SKIP_1) | instid1(VALU_DEP_2)
	v_add_co_u32 v23, vcc_lo, s48, v23
	s_wait_alu 0xfffd
	v_add_co_ci_u32_e64 v24, null, s49, v24, vcc_lo
	global_load_u16 v21, v[23:24], off
	s_wait_loadcnt 0x0
	v_cvt_f32_f16_e32 v21, v21
	s_delay_alu instid0(VALU_DEP_1)
	v_mul_f32_e32 v21, v144, v21
.LBB52_40:                              ;   in Loop: Header=BB52_24 Depth=1
	v_dual_max_num_f32 v23, v10, v10 :: v_dual_mov_b32 v24, 0
	s_delay_alu instid0(VALU_DEP_2) | instskip(SKIP_1) | instid1(VALU_DEP_1)
	v_add_f32_e32 v21, v4, v21
	s_and_not1_b32 vcc_lo, exec_lo, s51
	v_add_f32_e32 v4, 0x40051340, v21
	s_delay_alu instid0(VALU_DEP_1) | instskip(SKIP_3) | instid1(VALU_DEP_1)
	v_max_num_f32_e32 v4, v23, v4
	ds_bpermute_b32 v23, v25, v4
	s_wait_dscnt 0x0
	v_max_num_f32_e32 v23, v23, v23
	v_max_num_f32_e32 v4, v4, v23
	ds_bpermute_b32 v23, v26, v4
	s_wait_dscnt 0x0
	v_max_num_f32_e32 v23, v23, v23
	s_delay_alu instid0(VALU_DEP_1) | instskip(SKIP_3) | instid1(VALU_DEP_1)
	v_max_num_f32_e32 v4, v4, v23
	ds_bpermute_b32 v23, v18, v4
	s_wait_dscnt 0x0
	v_max_num_f32_e32 v23, v23, v23
	v_max_num_f32_e32 v4, v4, v23
	ds_bpermute_b32 v23, v16, v4
	s_wait_dscnt 0x0
	v_max_num_f32_e32 v23, v23, v23
	s_delay_alu instid0(VALU_DEP_1)
	v_dual_max_num_f32 v4, v4, v23 :: v_dual_mov_b32 v23, 0
	ds_bpermute_b32 v32, v7, v4
	s_wait_alu 0xfffe
	s_cbranch_vccnz .LBB52_42
; %bb.41:                               ;   in Loop: Header=BB52_24 Depth=1
	v_add_nc_u32_e32 v33, v22, v167
	s_delay_alu instid0(VALU_DEP_1) | instskip(NEXT) | instid1(VALU_DEP_1)
	v_ashrrev_i32_e32 v34, 31, v33
	v_lshlrev_b64_e32 v[33:34], 1, v[33:34]
	s_delay_alu instid0(VALU_DEP_1) | instskip(SKIP_1) | instid1(VALU_DEP_2)
	v_add_co_u32 v33, vcc_lo, s48, v33
	s_wait_alu 0xfffd
	v_add_co_ci_u32_e64 v34, null, s49, v34, vcc_lo
	global_load_u16 v23, v[33:34], off
	s_wait_loadcnt 0x0
	v_cvt_f32_f16_e32 v23, v23
	s_delay_alu instid0(VALU_DEP_1)
	v_mul_f32_e32 v23, v144, v23
.LBB52_42:                              ;   in Loop: Header=BB52_24 Depth=1
	s_delay_alu instid0(VALU_DEP_1) | instskip(SKIP_2) | instid1(VALU_DEP_2)
	v_add_f32_e32 v23, v3, v23
	v_max_num_f32_e32 v29, v11, v11
	s_and_not1_b32 vcc_lo, exec_lo, s51
	v_add_f32_e32 v3, 0x40051340, v23
	s_delay_alu instid0(VALU_DEP_1) | instskip(SKIP_3) | instid1(VALU_DEP_1)
	v_max_num_f32_e32 v3, v29, v3
	ds_bpermute_b32 v29, v25, v3
	s_wait_dscnt 0x0
	v_max_num_f32_e32 v29, v29, v29
	v_max_num_f32_e32 v3, v3, v29
	ds_bpermute_b32 v29, v26, v3
	s_wait_dscnt 0x0
	v_max_num_f32_e32 v29, v29, v29
	s_delay_alu instid0(VALU_DEP_1) | instskip(SKIP_3) | instid1(VALU_DEP_1)
	v_max_num_f32_e32 v3, v3, v29
	ds_bpermute_b32 v29, v18, v3
	s_wait_dscnt 0x0
	v_max_num_f32_e32 v29, v29, v29
	v_max_num_f32_e32 v3, v3, v29
	ds_bpermute_b32 v29, v16, v3
	s_wait_dscnt 0x0
	v_max_num_f32_e32 v29, v29, v29
	s_delay_alu instid0(VALU_DEP_1)
	v_max_num_f32_e32 v3, v3, v29
	ds_bpermute_b32 v33, v7, v3
	s_wait_alu 0xfffe
	s_cbranch_vccnz .LBB52_44
; %bb.43:                               ;   in Loop: Header=BB52_24 Depth=1
	v_add_nc_u32_e32 v34, v22, v168
	s_delay_alu instid0(VALU_DEP_1) | instskip(NEXT) | instid1(VALU_DEP_1)
	v_ashrrev_i32_e32 v35, 31, v34
	v_lshlrev_b64_e32 v[34:35], 1, v[34:35]
	s_delay_alu instid0(VALU_DEP_1) | instskip(SKIP_1) | instid1(VALU_DEP_2)
	v_add_co_u32 v34, vcc_lo, s48, v34
	s_wait_alu 0xfffd
	v_add_co_ci_u32_e64 v35, null, s49, v35, vcc_lo
	global_load_u16 v24, v[34:35], off
	s_wait_loadcnt 0x0
	v_cvt_f32_f16_e32 v24, v24
	s_delay_alu instid0(VALU_DEP_1)
	v_mul_f32_e32 v24, v144, v24
.LBB52_44:                              ;   in Loop: Header=BB52_24 Depth=1
	s_delay_alu instid0(VALU_DEP_1) | instskip(SKIP_2) | instid1(VALU_DEP_2)
	v_add_f32_e32 v24, v2, v24
	v_max_num_f32_e32 v29, v12, v12
	s_and_not1_b32 vcc_lo, exec_lo, s51
	v_dual_mov_b32 v35, 0 :: v_dual_add_f32 v2, 0x40051340, v24
	s_delay_alu instid0(VALU_DEP_1) | instskip(SKIP_3) | instid1(VALU_DEP_1)
	v_max_num_f32_e32 v2, v29, v2
	ds_bpermute_b32 v29, v25, v2
	s_wait_dscnt 0x0
	v_max_num_f32_e32 v29, v29, v29
	v_max_num_f32_e32 v2, v2, v29
	ds_bpermute_b32 v29, v26, v2
	s_wait_dscnt 0x0
	v_max_num_f32_e32 v29, v29, v29
	s_delay_alu instid0(VALU_DEP_1) | instskip(SKIP_3) | instid1(VALU_DEP_1)
	v_max_num_f32_e32 v2, v2, v29
	ds_bpermute_b32 v29, v18, v2
	s_wait_dscnt 0x0
	v_max_num_f32_e32 v29, v29, v29
	v_max_num_f32_e32 v2, v2, v29
	ds_bpermute_b32 v29, v16, v2
	s_wait_dscnt 0x0
	v_max_num_f32_e32 v29, v29, v29
	s_delay_alu instid0(VALU_DEP_1)
	v_dual_max_num_f32 v2, v2, v29 :: v_dual_mov_b32 v29, 0
	ds_bpermute_b32 v34, v7, v2
	s_wait_alu 0xfffe
	s_cbranch_vccnz .LBB52_46
; %bb.45:                               ;   in Loop: Header=BB52_24 Depth=1
	v_add_nc_u32_e32 v36, v22, v169
	s_delay_alu instid0(VALU_DEP_1) | instskip(NEXT) | instid1(VALU_DEP_1)
	v_ashrrev_i32_e32 v37, 31, v36
	v_lshlrev_b64_e32 v[36:37], 1, v[36:37]
	s_delay_alu instid0(VALU_DEP_1) | instskip(SKIP_1) | instid1(VALU_DEP_2)
	v_add_co_u32 v36, vcc_lo, s48, v36
	s_wait_alu 0xfffd
	v_add_co_ci_u32_e64 v37, null, s49, v37, vcc_lo
	global_load_u16 v29, v[36:37], off
	s_wait_loadcnt 0x0
	v_cvt_f32_f16_e32 v29, v29
	s_delay_alu instid0(VALU_DEP_1)
	v_mul_f32_e32 v29, v144, v29
.LBB52_46:                              ;   in Loop: Header=BB52_24 Depth=1
	s_delay_alu instid0(VALU_DEP_1) | instskip(SKIP_2) | instid1(VALU_DEP_2)
	v_add_f32_e32 v29, v1, v29
	v_max_num_f32_e32 v36, v13, v13
	s_and_not1_b32 vcc_lo, exec_lo, s51
	v_add_f32_e32 v1, 0x40051340, v29
	s_delay_alu instid0(VALU_DEP_1) | instskip(SKIP_3) | instid1(VALU_DEP_1)
	v_max_num_f32_e32 v1, v36, v1
	ds_bpermute_b32 v36, v25, v1
	s_wait_dscnt 0x0
	v_max_num_f32_e32 v36, v36, v36
	v_max_num_f32_e32 v1, v1, v36
	ds_bpermute_b32 v36, v26, v1
	s_wait_dscnt 0x0
	v_max_num_f32_e32 v36, v36, v36
	s_delay_alu instid0(VALU_DEP_1) | instskip(SKIP_3) | instid1(VALU_DEP_1)
	v_max_num_f32_e32 v1, v1, v36
	ds_bpermute_b32 v36, v18, v1
	s_wait_dscnt 0x0
	v_max_num_f32_e32 v36, v36, v36
	v_max_num_f32_e32 v1, v1, v36
	ds_bpermute_b32 v36, v16, v1
	s_wait_dscnt 0x0
	v_max_num_f32_e32 v36, v36, v36
	s_delay_alu instid0(VALU_DEP_1)
	v_max_num_f32_e32 v1, v1, v36
	ds_bpermute_b32 v36, v7, v1
	s_wait_alu 0xfffe
	s_cbranch_vccnz .LBB52_48
; %bb.47:                               ;   in Loop: Header=BB52_24 Depth=1
	v_add_nc_u32_e32 v37, v22, v170
	s_delay_alu instid0(VALU_DEP_1) | instskip(NEXT) | instid1(VALU_DEP_1)
	v_ashrrev_i32_e32 v38, 31, v37
	v_lshlrev_b64_e32 v[37:38], 1, v[37:38]
	s_delay_alu instid0(VALU_DEP_1) | instskip(SKIP_1) | instid1(VALU_DEP_2)
	v_add_co_u32 v37, vcc_lo, s48, v37
	s_wait_alu 0xfffd
	v_add_co_ci_u32_e64 v38, null, s49, v38, vcc_lo
	global_load_u16 v22, v[37:38], off
	s_wait_loadcnt 0x0
	v_cvt_f32_f16_e32 v22, v22
	s_delay_alu instid0(VALU_DEP_1)
	v_mul_f32_e32 v35, v144, v22
.LBB52_48:                              ;   in Loop: Header=BB52_24 Depth=1
	s_delay_alu instid0(VALU_DEP_1) | instskip(SKIP_3) | instid1(VALU_DEP_4)
	v_add_f32_e32 v22, v0, v35
	v_max_num_f32_e32 v0, v8, v8
	v_dual_max_num_f32 v2, v2, v2 :: v_dual_max_num_f32 v3, v3, v3
	v_dual_max_num_f32 v32, v32, v32 :: v_dual_max_num_f32 v31, v31, v31
	v_add_f32_e32 v35, 0x40051340, v22
	v_dual_max_num_f32 v30, v30, v30 :: v_dual_max_num_f32 v27, v27, v27
	v_dual_max_num_f32 v37, v6, v6 :: v_dual_max_num_f32 v28, v28, v28
	s_delay_alu instid0(VALU_DEP_3)
	v_dual_max_num_f32 v0, v0, v35 :: v_dual_max_num_f32 v1, v1, v1
	v_max_num_f32_e32 v35, v4, v4
	s_mul_u64 s[22:23], s[46:47], s[42:43]
	s_wait_dscnt 0x0
	ds_bpermute_b32 v25, v25, v0
	s_wait_alu 0xfffe
	s_lshl_b64 s[22:23], s[22:23], 2
	s_barrier_signal -1
	s_wait_alu 0xfffe
	s_add_nc_u64 s[58:59], s[44:45], s[22:23]
	s_barrier_wait -1
	s_wait_dscnt 0x0
	global_inv scope:SCOPE_SE
	v_dual_max_num_f32 v34, v34, v34 :: v_dual_max_num_f32 v33, v33, v33
	s_delay_alu instid0(VALU_DEP_1) | instskip(SKIP_1) | instid1(VALU_DEP_1)
	v_max_num_f32_e32 v4, v3, v33
	v_max_num_f32_e32 v25, v25, v25
	;; [unrolled: 1-line block ×4, first 2 shown]
	v_dual_max_num_f32 v36, v5, v5 :: v_dual_max_num_f32 v5, v2, v34
	ds_bpermute_b32 v26, v26, v25
	v_max_num_f32_e32 v6, v1, v0
	v_max_num_f32_e32 v3, v35, v32
	v_dual_max_num_f32 v1, v37, v30 :: v_dual_sub_f32 v190, v11, v4
	v_sub_f32_e32 v189, v12, v5
	v_dual_sub_f32 v12, v24, v5 :: v_dual_sub_f32 v11, v23, v4
	s_delay_alu instid0(VALU_DEP_3) | instskip(NEXT) | instid1(VALU_DEP_4)
	v_sub_f32_e32 v193, v14, v1
	v_cmp_ngt_f32_e64 s12, 0xc2ce8ed0, v190
	v_cmp_nlt_f32_e64 s9, 0x42b17218, v190
	v_cmp_ngt_f32_e64 s13, 0xc2ce8ed0, v189
	v_cmp_nlt_f32_e64 s11, 0x42b17218, v189
	v_mul_f32_e32 v24, 0x3fb8aa3b, v11
	v_cmp_ngt_f32_e64 s18, 0xc2ce8ed0, v193
	v_cmp_nlt_f32_e64 s15, 0x42b17218, v193
	s_delay_alu instid0(VALU_DEP_3)
	v_fma_f32 v34, 0x3fb8aa3b, v11, -v24
	v_rndne_f32_e32 v35, v24
	s_wait_dscnt 0x0
	v_max_num_f32_e32 v26, v26, v26
	v_max_num_f32_e32 v0, v27, v28
	;; [unrolled: 1-line block ×3, first 2 shown]
	v_sub_f32_e32 v191, v10, v3
	v_sub_f32_e32 v10, v21, v3
	s_delay_alu instid0(VALU_DEP_4)
	v_sub_f32_e32 v192, v9, v0
	v_sub_f32_e32 v9, v17, v0
	v_max_num_f32_e32 v17, v25, v26
	v_sub_f32_e32 v188, v13, v6
	v_dual_sub_f32 v13, v29, v6 :: v_dual_sub_f32 v14, v19, v1
	v_sub_f32_e32 v194, v15, v2
	ds_bpermute_b32 v18, v18, v17
	v_sub_f32_e32 v15, v20, v2
	v_dual_mul_f32 v19, 0x3fb8aa3b, v9 :: v_dual_mul_f32 v20, 0x3fb8aa3b, v14
	v_mul_f32_e32 v23, 0x3fb8aa3b, v10
	v_cmp_ngt_f32_e64 s20, 0xc2ce8ed0, v9
	s_delay_alu instid0(VALU_DEP_4) | instskip(NEXT) | instid1(VALU_DEP_4)
	v_mul_f32_e32 v21, 0x3fb8aa3b, v15
	v_fma_f32 v26, 0x3fb8aa3b, v9, -v19
	v_rndne_f32_e32 v27, v19
	v_fma_f32 v28, 0x3fb8aa3b, v14, -v20
	v_fma_f32 v32, 0x3fb8aa3b, v10, -v23
	v_rndne_f32_e32 v31, v21
	v_fma_f32 v30, 0x3fb8aa3b, v15, -v21
	v_dual_fmac_f32 v26, 0x32a5705f, v9 :: v_dual_sub_f32 v19, v19, v27
	v_rndne_f32_e32 v33, v23
	v_mul_f32_e32 v25, 0x3fb8aa3b, v13
	s_delay_alu instid0(VALU_DEP_4)
	v_fmac_f32_e32 v30, 0x32a5705f, v15
	v_rndne_f32_e32 v29, v20
	v_add_f32_e32 v19, v19, v26
	s_wait_dscnt 0x0
	v_max_num_f32_e32 v18, v18, v18
	v_fma_f32 v38, 0x3fb8aa3b, v13, -v25
	v_rndne_f32_e32 v39, v25
	v_dual_fmac_f32 v28, 0x32a5705f, v14 :: v_dual_sub_f32 v23, v23, v33
	s_delay_alu instid0(VALU_DEP_4) | instskip(NEXT) | instid1(VALU_DEP_3)
	v_dual_max_num_f32 v17, v17, v18 :: v_dual_mul_f32 v18, 0x3fb8aa3b, v12
	v_dual_sub_f32 v20, v20, v29 :: v_dual_sub_f32 v25, v25, v39
	v_exp_f32_e32 v19, v19
	ds_bpermute_b32 v16, v16, v17
	v_fma_f32 v36, 0x3fb8aa3b, v12, -v18
	v_cvt_i32_f32_e32 v27, v27
	v_rndne_f32_e32 v37, v18
	v_cvt_i32_f32_e32 v29, v29
	v_cmp_ngt_f32_e64 s17, 0xc2ce8ed0, v192
	v_cmp_nlt_f32_e64 s14, 0x42b17218, v192
	v_cmp_ngt_f32_e64 s19, 0xc2ce8ed0, v194
	v_cmp_nlt_f32_e64 s16, 0x42b17218, v194
	v_ldexp_f32 v19, v19, v27
	v_cmp_ngt_f32_e64 s10, 0xc2ce8ed0, v191
	v_cmp_nlt_f32_e64 s7, 0x42b17218, v191
	v_cmp_ngt_f32_e64 s8, 0xc2ce8ed0, v188
	v_cmp_nlt_f32_e32 vcc_lo, 0x42b17218, v188
	s_wait_alu 0xf1ff
	v_cndmask_b32_e64 v19, 0, v19, s20
	v_cmp_ngt_f32_e64 s20, 0xc2ce8ed0, v14
	s_wait_dscnt 0x0
	v_max_num_f32_e32 v16, v16, v16
	s_delay_alu instid0(VALU_DEP_1)
	v_max_num_f32_e32 v16, v17, v16
	v_sub_f32_e32 v17, v21, v31
	v_fmac_f32_e32 v34, 0x32a5705f, v11
	v_cvt_i32_f32_e32 v21, v31
	v_cvt_i32_f32_e32 v31, v33
	ds_bpermute_b32 v7, v7, v16
	v_add_f32_e32 v17, v17, v30
	v_cvt_i32_f32_e32 v33, v35
	s_delay_alu instid0(VALU_DEP_2) | instskip(NEXT) | instid1(TRANS32_DEP_1)
	v_exp_f32_e32 v17, v17
	v_ldexp_f32 v17, v17, v21
	s_wait_dscnt 0x0
	v_dual_max_num_f32 v7, v7, v7 :: v_dual_fmac_f32 v32, 0x32a5705f, v10
	s_delay_alu instid0(VALU_DEP_1) | instskip(NEXT) | instid1(VALU_DEP_2)
	v_max_num_f32_e32 v7, v16, v7
	v_dual_sub_f32 v24, v24, v35 :: v_dual_add_f32 v23, v23, v32
	v_fmac_f32_e32 v38, 0x32a5705f, v13
	v_cvt_i32_f32_e32 v16, v39
	s_delay_alu instid0(VALU_DEP_3) | instskip(NEXT) | instid1(VALU_DEP_3)
	v_dual_sub_f32 v21, v22, v7 :: v_dual_add_f32 v24, v24, v34
	v_dual_fmac_f32 v36, 0x32a5705f, v12 :: v_dual_add_f32 v25, v25, v38
	v_exp_f32_e32 v23, v23
	v_dual_sub_f32 v18, v18, v37 :: v_dual_sub_f32 v195, v8, v7
	s_delay_alu instid0(VALU_DEP_3) | instskip(NEXT) | instid1(VALU_DEP_2)
	v_exp_f32_e32 v24, v24
	v_exp_f32_e32 v25, v25
	v_cvt_i32_f32_e32 v35, v37
	s_delay_alu instid0(VALU_DEP_2) | instskip(SKIP_1) | instid1(TRANS32_DEP_3)
	v_add_f32_e32 v18, v18, v36
	v_cmp_ngt_f32_e64 s21, 0xc2ce8ed0, v195
	v_ldexp_f32 v22, v23, v31
	s_delay_alu instid0(VALU_DEP_3) | instskip(NEXT) | instid1(TRANS32_DEP_3)
	v_exp_f32_e32 v18, v18
	v_ldexp_f32 v23, v24, v33
	v_mul_f32_e32 v24, 0x3fb8aa3b, v21
	s_delay_alu instid0(TRANS32_DEP_2) | instskip(NEXT) | instid1(VALU_DEP_2)
	v_ldexp_f32 v16, v25, v16
	v_fma_f32 v25, 0x3fb8aa3b, v21, -v24
	v_add_f32_e32 v20, v20, v28
	s_delay_alu instid0(TRANS32_DEP_1) | instskip(SKIP_1) | instid1(VALU_DEP_4)
	v_ldexp_f32 v18, v18, v35
	v_rndne_f32_e32 v26, v24
	v_fmac_f32_e32 v25, 0x32a5705f, v21
	s_delay_alu instid0(VALU_DEP_4) | instskip(NEXT) | instid1(VALU_DEP_2)
	v_exp_f32_e32 v20, v20
	v_sub_f32_e32 v24, v24, v26
	s_delay_alu instid0(VALU_DEP_1) | instskip(NEXT) | instid1(TRANS32_DEP_1)
	v_add_f32_e32 v24, v24, v25
	v_ldexp_f32 v20, v20, v29
	s_wait_alu 0xf1ff
	s_delay_alu instid0(VALU_DEP_1) | instskip(SKIP_2) | instid1(VALU_DEP_1)
	v_cndmask_b32_e64 v20, 0, v20, s20
	v_cmp_ngt_f32_e64 s20, 0xc2ce8ed0, v15
	s_wait_alu 0xf1ff
	v_cndmask_b32_e64 v17, 0, v17, s20
	v_cmp_ngt_f32_e64 s20, 0xc2ce8ed0, v10
	s_wait_alu 0xf1ff
	s_delay_alu instid0(VALU_DEP_1) | instskip(SKIP_2) | instid1(VALU_DEP_1)
	v_cndmask_b32_e64 v22, 0, v22, s20
	v_cmp_ngt_f32_e64 s20, 0xc2ce8ed0, v11
	s_wait_alu 0xf1ff
	v_cndmask_b32_e64 v23, 0, v23, s20
	v_cmp_ngt_f32_e64 s20, 0xc2ce8ed0, v12
	s_wait_alu 0xf1ff
	s_delay_alu instid0(VALU_DEP_1) | instskip(SKIP_2) | instid1(VALU_DEP_1)
	v_cndmask_b32_e64 v18, 0, v18, s20
	v_cmp_ngt_f32_e64 s20, 0xc2ce8ed0, v13
	s_wait_alu 0xf1ff
	v_cndmask_b32_e64 v16, 0, v16, s20
	v_cmp_nlt_f32_e64 s20, 0x42b17218, v9
	v_exp_f32_e32 v9, v24
	s_wait_alu 0xf1ff
	s_delay_alu instid0(VALU_DEP_1) | instskip(SKIP_3) | instid1(VALU_DEP_2)
	v_cndmask_b32_e64 v157, 0x7f800000, v19, s20
	v_cmp_nlt_f32_e64 s20, 0x42b17218, v14
	v_cvt_i32_f32_e32 v14, v26
	s_wait_alu 0xf1ff
	v_cndmask_b32_e64 v156, 0x7f800000, v20, s20
	v_cmp_nlt_f32_e64 s20, 0x42b17218, v15
	s_delay_alu instid0(TRANS32_DEP_1) | instid1(VALU_DEP_3)
	v_ldexp_f32 v9, v9, v14
	s_delay_alu instid0(VALU_DEP_3) | instskip(SKIP_1) | instid1(VALU_DEP_3)
	v_cvt_f16_f32_e64 v15, v156
	s_wait_alu 0xf1ff
	v_cndmask_b32_e64 v155, 0x7f800000, v17, s20
	v_cmp_nlt_f32_e64 s20, 0x42b17218, v10
	s_wait_alu 0xf1ff
	s_delay_alu instid0(VALU_DEP_1) | instskip(SKIP_3) | instid1(VALU_DEP_2)
	v_cndmask_b32_e64 v154, 0x7f800000, v22, s20
	v_cmp_nlt_f32_e64 s20, 0x42b17218, v11
	v_cvt_f16_f32_e64 v11, v155
	s_wait_alu 0xf1ff
	v_cndmask_b32_e64 v153, 0x7f800000, v23, s20
	v_cmp_nlt_f32_e64 s20, 0x42b17218, v12
	v_cvt_f16_f32_e64 v12, v157
	s_wait_alu 0xf1ff
	s_delay_alu instid0(VALU_DEP_2) | instskip(SKIP_2) | instid1(VALU_DEP_3)
	v_cndmask_b32_e64 v152, 0x7f800000, v18, s20
	v_cmp_nlt_f32_e64 s20, 0x42b17218, v13
	v_cvt_f16_f32_e64 v13, v154
	v_cvt_f16_f32_e64 v10, v152
	s_wait_alu 0xf1ff
	s_delay_alu instid0(VALU_DEP_3) | instskip(SKIP_1) | instid1(VALU_DEP_2)
	v_cndmask_b32_e64 v150, 0x7f800000, v16, s20
	v_cmp_ngt_f32_e64 s20, 0xc2ce8ed0, v21
	v_cvt_f16_f32_e64 v14, v150
	s_wait_alu 0xf1ff
	s_delay_alu instid0(VALU_DEP_2) | instskip(SKIP_2) | instid1(VALU_DEP_1)
	v_cndmask_b32_e64 v9, 0, v9, s20
	v_cmp_nlt_f32_e64 s20, 0x42b17218, v21
	s_wait_alu 0xf1ff
	v_cndmask_b32_e64 v151, 0x7f800000, v9, s20
	v_cvt_f16_f32_e64 v9, v153
	v_cmp_nlt_f32_e64 s20, 0x42b17218, v195
	s_delay_alu instid0(VALU_DEP_3) | instskip(NEXT) | instid1(VALU_DEP_3)
	v_cvt_f16_f32_e64 v8, v151
	v_pack_b32_f16 v10, v9, v10
	v_pack_b32_f16 v9, v11, v13
	s_delay_alu instid0(VALU_DEP_3)
	v_pack_b32_f16 v11, v14, v8
	v_pack_b32_f16 v8, v12, v15
	ds_store_b128 v173, v[8:11]
	s_and_saveexec_b32 s23, s5
	s_cbranch_execz .LBB52_50
; %bb.49:                               ;   in Loop: Header=BB52_24 Depth=1
	s_wait_alu 0xfffe
	v_add_co_u32 v8, s22, s58, v109
	s_wait_alu 0xf1ff
	v_add_co_ci_u32_e64 v9, null, s59, v110, s22
	s_delay_alu instid0(VALU_DEP_2) | instskip(SKIP_1) | instid1(VALU_DEP_2)
	v_add_co_u32 v8, s22, v8, v175
	s_wait_alu 0xf1ff
	v_add_co_ci_u32_e64 v9, null, 0, v9, s22
	global_load_b128 v[8:11], v[8:9], off offset:128
	s_wait_loadcnt 0x0
	ds_store_b128 v171, v[8:11]
.LBB52_50:                              ;   in Loop: Header=BB52_24 Depth=1
	s_wait_alu 0xfffe
	s_or_b32 exec_lo, exec_lo, s23
	v_lshlrev_b32_e32 v104, 2, v145
	s_and_saveexec_b32 s23, s6
	s_cbranch_execz .LBB52_52
; %bb.51:                               ;   in Loop: Header=BB52_24 Depth=1
	v_add_co_u32 v8, s22, s58, v111
	s_wait_alu 0xf1ff
	v_add_co_ci_u32_e64 v9, null, s59, v112, s22
	s_delay_alu instid0(VALU_DEP_2) | instskip(SKIP_1) | instid1(VALU_DEP_2)
	v_add_co_u32 v8, s22, v8, v104
	s_wait_alu 0xf1ff
	v_add_co_ci_u32_e64 v9, null, 0, v9, s22
	global_load_b128 v[8:11], v[8:9], off
	s_wait_loadcnt 0x0
	ds_store_b128 v172, v[8:11]
.LBB52_52:                              ;   in Loop: Header=BB52_24 Depth=1
	s_wait_alu 0xfffe
	s_or_b32 exec_lo, exec_lo, s23
	scratch_load_b32 v8, off, off offset:16 ; 4-byte Folded Reload
	s_wait_loadcnt_dscnt 0x0
	s_barrier_signal -1
	s_barrier_wait -1
	global_inv scope:SCOPE_SE
	s_or_b32 s22, s46, 16
	s_wait_alu 0xfffe
	s_ashr_i32 s23, s22, 31
	s_wait_alu 0xfffe
	s_mul_u64 s[22:23], s[22:23], s[42:43]
	s_wait_alu 0xfffe
	s_lshl_b64 s[22:23], s[22:23], 2
	s_wait_alu 0xfffe
	s_add_nc_u64 s[58:59], s[44:45], s[22:23]
	v_add_nc_u32_e32 v187, 0x4000, v8
	v_add_nc_u32_e32 v186, 0x4400, v8
	v_add_nc_u32_e32 v185, 0x4800, v8
	ds_load_2addr_b64 v[36:39], v187 offset1:24
	ds_load_b128 v[100:103], v126
	ds_load_b128 v[96:99], v126 offset:16
	ds_load_b128 v[92:95], v126 offset:32
	;; [unrolled: 1-line block ×3, first 2 shown]
	ds_load_2addr_b64 v[32:35], v187 offset0:48 offset1:72
	ds_load_2addr_b64 v[28:31], v187 offset0:96 offset1:120
	ds_load_b128 v[84:87], v126 offset:64
	ds_load_b128 v[80:83], v126 offset:80
	ds_load_2addr_b64 v[24:27], v187 offset0:144 offset1:168
	ds_load_b128 v[76:79], v126 offset:96
	ds_load_b128 v[72:75], v126 offset:112
	;; [unrolled: 3-line block ×6, first 2 shown]
	s_wait_loadcnt_dscnt 0x0
	s_barrier_signal -1
	s_barrier_wait -1
	global_inv scope:SCOPE_SE
	s_and_saveexec_b32 s23, s5
	s_cbranch_execz .LBB52_54
; %bb.53:                               ;   in Loop: Header=BB52_24 Depth=1
	s_wait_alu 0xfffe
	v_add_co_u32 v113, s22, s58, v109
	s_wait_alu 0xf1ff
	v_add_co_ci_u32_e64 v114, null, s59, v110, s22
	s_delay_alu instid0(VALU_DEP_2) | instskip(SKIP_1) | instid1(VALU_DEP_2)
	v_add_co_u32 v113, s22, v113, v175
	s_wait_alu 0xf1ff
	v_add_co_ci_u32_e64 v114, null, 0, v114, s22
	global_load_b128 v[113:116], v[113:114], off offset:128
	s_wait_loadcnt 0x0
	ds_store_b128 v171, v[113:116]
.LBB52_54:                              ;   in Loop: Header=BB52_24 Depth=1
	s_wait_alu 0xfffe
	s_or_b32 exec_lo, exec_lo, s23
	s_and_saveexec_b32 s23, s6
	s_cbranch_execz .LBB52_56
; %bb.55:                               ;   in Loop: Header=BB52_24 Depth=1
	v_add_co_u32 v113, s22, s58, v111
	s_wait_alu 0xf1ff
	v_add_co_ci_u32_e64 v114, null, s59, v112, s22
	s_delay_alu instid0(VALU_DEP_2) | instskip(SKIP_1) | instid1(VALU_DEP_2)
	v_add_co_u32 v113, s22, v113, v104
	s_wait_alu 0xf1ff
	v_add_co_ci_u32_e64 v114, null, 0, v114, s22
	global_load_b128 v[113:116], v[113:114], off
	s_wait_loadcnt 0x0
	ds_store_b128 v172, v[113:116]
.LBB52_56:                              ;   in Loop: Header=BB52_24 Depth=1
	s_wait_alu 0xfffe
	s_or_b32 exec_lo, exec_lo, s23
	v_dual_mul_f32 v104, 0x3fb8aa3b, v192 :: v_dual_mul_f32 v113, 0x3fb8aa3b, v193
	v_lshrrev_b32_e32 v196, 16, v82
	v_lshrrev_b32_e32 v197, 16, v83
	v_and_b32_e32 v82, 0xffff, v82
	s_delay_alu instid0(VALU_DEP_4) | instskip(SKIP_3) | instid1(VALU_DEP_4)
	v_rndne_f32_e32 v116, v104
	v_fma_f32 v117, 0x3fb8aa3b, v193, -v113
	v_rndne_f32_e32 v118, v113
	v_fma_f32 v115, 0x3fb8aa3b, v192, -v104
	v_dual_sub_f32 v104, v104, v116 :: v_dual_and_b32 v83, 0xffff, v83
	s_delay_alu instid0(VALU_DEP_4) | instskip(NEXT) | instid1(VALU_DEP_4)
	v_fmac_f32_e32 v117, 0x32a5705f, v193
	v_sub_f32_e32 v113, v113, v118
	v_mul_f32_e32 v114, 0x3fb8aa3b, v194
	v_cvt_i32_f32_e32 v118, v118
	v_cvt_i32_f32_e32 v116, v116
	v_lshrrev_b32_e32 v193, 16, v87
	v_add_f32_e32 v113, v113, v117
	v_fma_f32 v119, 0x3fb8aa3b, v194, -v114
	v_rndne_f32_e32 v120, v114
	v_and_b32_e32 v87, 0xffff, v87
	v_mul_u32_u24_e32 v193, 0x10001, v193
	v_exp_f32_e32 v113, v113
	s_delay_alu instid0(VALU_DEP_3)
	v_dual_fmac_f32 v119, 0x32a5705f, v194 :: v_dual_sub_f32 v114, v114, v120
	v_fmac_f32_e32 v115, 0x32a5705f, v192
	v_cvt_i32_f32_e32 v120, v120
	v_lshrrev_b32_e32 v192, 16, v86
	v_and_b32_e32 v86, 0xffff, v86
	v_add_f32_e32 v114, v114, v119
	v_add_f32_e32 v104, v104, v115
	v_lshrrev_b32_e32 v194, 16, v80
	s_delay_alu instid0(TRANS32_DEP_1)
	v_ldexp_f32 v113, v113, v118
	v_and_b32_e32 v80, 0xffff, v80
	v_exp_f32_e32 v114, v114
	v_exp_f32_e32 v104, v104
	v_mul_u32_u24_e32 v86, 0x10001, v86
	v_cndmask_b32_e64 v113, 0, v113, s18
	v_mul_u32_u24_e32 v192, 0x10001, v192
	v_mul_u32_u24_e32 v87, 0x10001, v87
	;; [unrolled: 1-line block ×3, first 2 shown]
	v_lshrrev_b32_e32 v198, 16, v76
	v_cndmask_b32_e64 v113, 0x7f800000, v113, s15
	v_mul_f32_e32 v115, 0x3fb8aa3b, v191
	v_ldexp_f32 v114, v114, v120
	v_ldexp_f32 v104, v104, v116
	v_and_b32_e32 v76, 0xffff, v76
	v_fmac_f32_e32 v156, v184, v113
	v_fma_f32 v121, 0x3fb8aa3b, v191, -v115
	v_rndne_f32_e32 v122, v115
	v_cndmask_b32_e64 v114, 0, v114, s19
	v_cndmask_b32_e64 v104, 0, v104, s17
	v_cvt_f16_f32_e32 v113, v113
	v_fmac_f32_e32 v121, 0x32a5705f, v191
	v_sub_f32_e32 v115, v115, v122
	v_cvt_i32_f32_e32 v122, v122
	v_cndmask_b32_e64 v114, 0x7f800000, v114, s16
	v_cndmask_b32_e64 v104, 0x7f800000, v104, s14
	v_and_b32_e32 v113, 0xffff, v113
	v_add_f32_e32 v115, v115, v121
	v_mul_f32_e32 v121, 0x3fb8aa3b, v195
	v_lshrrev_b32_e32 v184, 16, v89
	v_and_b32_e32 v89, 0xffff, v89
	v_mul_u32_u24_e32 v113, 0x10001, v113
	v_exp_f32_e32 v115, v115
	v_fma_f32 v125, 0x3fb8aa3b, v195, -v121
	v_mul_u32_u24_e32 v184, 0x10001, v184
	v_mul_u32_u24_e32 v89, 0x10001, v89
	v_pk_mul_f16 v140, v140, v113
	v_pk_mul_f16 v113, v141, v113
	v_fmac_f32_e32 v125, 0x32a5705f, v195
	v_lshrrev_b32_e32 v191, 16, v85
	v_and_b32_e32 v85, 0xffff, v85
	v_lshrrev_b32_e32 v195, 16, v81
	v_ldexp_f32 v115, v115, v122
	v_lshrrev_b32_e32 v122, 16, v102
	v_mul_u32_u24_e32 v191, 0x10001, v191
	v_mul_u32_u24_e32 v85, 0x10001, v85
	v_and_b32_e32 v81, 0xffff, v81
	v_cndmask_b32_e64 v115, 0, v115, s10
	v_mul_u32_u24_e32 v122, 0x10001, v122
	v_mul_u32_u24_e32 v194, 0x10001, v194
	v_mul_u32_u24_e32 v195, 0x10001, v195
	v_mul_u32_u24_e32 v81, 0x10001, v81
	v_cndmask_b32_e64 v115, 0x7f800000, v115, s7
	v_fmac_f32_e32 v155, v182, v114
	v_rndne_f32_e32 v182, v121
	v_cvt_f16_f32_e32 v114, v114
	v_mul_u32_u24_e32 v82, 0x10001, v82
	v_fmac_f32_e32 v154, v179, v115
	v_cvt_f16_f32_e32 v115, v115
	v_sub_f32_e32 v121, v121, v182
	v_mul_f32_e32 v117, 0x3fb8aa3b, v190
	v_lshrrev_b32_e32 v179, 16, v92
	v_and_b32_e32 v92, 0xffff, v92
	v_and_b32_e32 v115, 0xffff, v115
	v_mul_u32_u24_e32 v196, 0x10001, v196
	v_fma_f32 v116, 0x3fb8aa3b, v190, -v117
	v_rndne_f32_e32 v118, v117
	v_mul_u32_u24_e32 v92, 0x10001, v92
	v_mul_u32_u24_e32 v115, 0x10001, v115
	;; [unrolled: 1-line block ×3, first 2 shown]
	v_fmac_f32_e32 v116, 0x32a5705f, v190
	v_sub_f32_e32 v117, v117, v118
	v_mul_f32_e32 v119, 0x3fb8aa3b, v189
	v_cvt_i32_f32_e32 v118, v118
	v_pk_mul_f16 v135, v135, v115
	v_pk_mul_f16 v115, v136, v115
	v_add_f32_e32 v116, v117, v116
	v_fma_f32 v120, 0x3fb8aa3b, v189, -v119
	v_rndne_f32_e32 v123, v119
	v_and_b32_e32 v114, 0xffff, v114
	v_lshrrev_b32_e32 v190, 16, v84
	v_exp_f32_e32 v116, v116
	s_delay_alu instid0(VALU_DEP_3)
	v_dual_fmac_f32 v120, 0x32a5705f, v189 :: v_dual_sub_f32 v117, v119, v123
	v_mul_f32_e32 v119, 0x3fb8aa3b, v188
	v_cvt_i32_f32_e32 v123, v123
	v_mul_u32_u24_e32 v114, 0x10001, v114
	v_lshrrev_b32_e32 v189, 16, v91
	v_add_f32_e32 v117, v117, v120
	v_fma_f32 v120, 0x3fb8aa3b, v188, -v119
	v_rndne_f32_e32 v124, v119
	s_delay_alu instid0(TRANS32_DEP_1)
	v_ldexp_f32 v116, v116, v118
	v_and_b32_e32 v102, 0xffff, v102
	v_exp_f32_e32 v117, v117
	v_fmac_f32_e32 v120, 0x32a5705f, v188
	v_sub_f32_e32 v119, v119, v124
	v_cndmask_b32_e64 v116, 0, v116, s12
	v_mul_u32_u24_e32 v102, 0x10001, v102
	v_pk_mul_f16 v137, v137, v114
	v_pk_mul_f16 v114, v138, v114
	v_add_f32_e32 v119, v119, v120
	v_cndmask_b32_e64 v116, 0x7f800000, v116, s9
	v_lshrrev_b32_e32 v188, 16, v90
	v_ldexp_f32 v117, v117, v123
	v_lshrrev_b32_e32 v123, 16, v103
	v_exp_f32_e32 v118, v119
	v_fmac_f32_e32 v153, v180, v116
	v_cvt_f16_f32_e32 v116, v116
	v_cndmask_b32_e64 v117, 0, v117, s13
	v_and_b32_e32 v103, 0xffff, v103
	v_mul_u32_u24_e32 v123, 0x10001, v123
	v_lshrrev_b32_e32 v180, 16, v93
	v_and_b32_e32 v116, 0xffff, v116
	v_add_f32_e32 v120, v121, v125
	v_cvt_i32_f32_e32 v121, v182
	v_cndmask_b32_e64 v117, 0x7f800000, v117, s11
	v_fmac_f32_e32 v157, v183, v104
	v_cvt_f16_f32_e32 v104, v104
	v_exp_f32_e32 v119, v120
	v_cvt_i32_f32_e32 v120, v124
	v_fmac_f32_e32 v152, v181, v117
	v_cvt_f16_f32_e32 v117, v117
	v_and_b32_e32 v104, 0xffff, v104
	v_mul_u32_u24_e32 v116, 0x10001, v116
	v_ldexp_f32 v118, v118, v120
	v_lshrrev_b32_e32 v120, 16, v100
	v_and_b32_e32 v117, 0xffff, v117
	v_mul_u32_u24_e32 v104, 0x10001, v104
	v_ldexp_f32 v119, v119, v121
	v_cndmask_b32_e64 v118, 0, v118, s8
	v_lshrrev_b32_e32 v121, 16, v101
	v_mul_u32_u24_e32 v117, 0x10001, v117
	v_and_b32_e32 v101, 0xffff, v101
	v_cndmask_b32_e64 v119, 0, v119, s21
	s_wait_alu 0xfffd
	v_cndmask_b32_e32 v118, 0x7f800000, v118, vcc_lo
	v_and_b32_e32 v100, 0xffff, v100
	v_lshrrev_b32_e32 v124, 16, v96
	v_and_b32_e32 v96, 0xffff, v96
	v_cndmask_b32_e64 v119, 0x7f800000, v119, s20
	v_fmac_f32_e32 v150, v177, v118
	v_cvt_f16_f32_e32 v118, v118
	v_mul_u32_u24_e32 v100, 0x10001, v100
	v_pk_mul_f16 v142, v142, v104
	v_fmac_f32_e32 v151, v178, v119
	v_cvt_f16_f32_e32 v119, v119
	v_and_b32_e32 v118, 0xffff, v118
	v_mul_u32_u24_e32 v120, 0x10001, v120
	v_mul_u32_u24_e32 v101, 0x10001, v101
	v_mul_u32_u24_e32 v121, 0x10001, v121
	v_and_b32_e32 v119, 0xffff, v119
	v_mul_u32_u24_e32 v118, 0x10001, v118
	v_mul_u32_u24_e32 v103, 0x10001, v103
	v_lshrrev_b32_e32 v125, 16, v97
	v_lshrrev_b32_e32 v177, 16, v98
	v_mul_u32_u24_e32 v119, 0x10001, v119
	v_lshrrev_b32_e32 v178, 16, v99
	v_and_b32_e32 v97, 0xffff, v97
	v_mul_u32_u24_e32 v96, 0x10001, v96
	v_and_b32_e32 v98, 0xffff, v98
	v_and_b32_e32 v99, 0xffff, v99
	v_pk_mul_f16 v104, v143, v104
	v_pk_mul_f16 v133, v133, v116
	;; [unrolled: 1-line block ×9, first 2 shown]
	v_pk_fma_f16 v127, v36, v100, v142
	v_mul_u32_u24_e32 v124, 0x10001, v124
	v_mul_u32_u24_e32 v97, 0x10001, v97
	;; [unrolled: 1-line block ×7, first 2 shown]
	v_lshrrev_b32_e32 v181, 16, v94
	v_lshrrev_b32_e32 v182, 16, v95
	v_and_b32_e32 v93, 0xffff, v93
	v_and_b32_e32 v94, 0xffff, v94
	;; [unrolled: 1-line block ×3, first 2 shown]
	v_lshrrev_b32_e32 v183, 16, v88
	v_and_b32_e32 v88, 0xffff, v88
	v_pk_fma_f16 v130, v36, v120, v140
	v_pk_fma_f16 v132, v36, v101, v137
	;; [unrolled: 1-line block ×16, first 2 shown]
	v_mul_u32_u24_e32 v93, 0x10001, v93
	v_mul_u32_u24_e32 v180, 0x10001, v180
	;; [unrolled: 1-line block ×7, first 2 shown]
	v_and_b32_e32 v90, 0xffff, v90
	v_and_b32_e32 v91, 0xffff, v91
	;; [unrolled: 1-line block ×3, first 2 shown]
	v_pk_fma_f16 v116, v38, v124, v130
	v_pk_fma_f16 v117, v38, v97, v132
	;; [unrolled: 1-line block ×16, first 2 shown]
	v_mul_u32_u24_e32 v183, 0x10001, v183
	v_mul_u32_u24_e32 v90, 0x10001, v90
	;; [unrolled: 1-line block ×6, first 2 shown]
	v_pk_fma_f16 v102, v32, v179, v116
	v_pk_fma_f16 v103, v32, v93, v117
	v_pk_fma_f16 v104, v32, v180, v118
	v_pk_fma_f16 v113, v32, v94, v119
	v_pk_fma_f16 v114, v32, v181, v120
	v_pk_fma_f16 v115, v32, v95, v121
	v_pk_fma_f16 v32, v32, v182, v36
	v_pk_fma_f16 v36, v33, v92, v38
	v_pk_fma_f16 v38, v33, v179, v96
	v_pk_fma_f16 v92, v33, v93, v97
	v_pk_fma_f16 v93, v33, v180, v100
	v_pk_fma_f16 v94, v33, v94, v98
	v_pk_fma_f16 v96, v33, v181, v101
	v_pk_fma_f16 v95, v33, v95, v99
	v_pk_fma_f16 v33, v33, v182, v37
	v_pk_fma_f16 v37, v34, v88, v39
	v_mul_u32_u24_e32 v190, 0x10001, v190
	v_pk_fma_f16 v39, v34, v183, v102
	v_pk_fma_f16 v97, v34, v89, v103
	;; [unrolled: 1-line block ×16, first 2 shown]
	v_mul_u32_u24_e32 v83, 0x10001, v83
	v_mul_u32_u24_e32 v197, 0x10001, v197
	v_lshrrev_b32_e32 v199, 16, v77
	v_lshrrev_b32_e32 v200, 16, v78
	v_lshrrev_b32_e32 v201, 16, v79
	v_and_b32_e32 v77, 0xffff, v77
	v_mul_u32_u24_e32 v76, 0x10001, v76
	v_and_b32_e32 v78, 0xffff, v78
	v_and_b32_e32 v79, 0xffff, v79
	v_lshrrev_b32_e32 v202, 16, v72
	v_and_b32_e32 v72, 0xffff, v72
	v_pk_fma_f16 v37, v28, v190, v39
	v_pk_fma_f16 v39, v28, v85, v97
	v_pk_fma_f16 v92, v28, v191, v98
	v_pk_fma_f16 v93, v28, v86, v99
	v_pk_fma_f16 v94, v28, v192, v100
	v_pk_fma_f16 v95, v28, v87, v101
	v_pk_fma_f16 v28, v28, v193, v32
	v_pk_fma_f16 v32, v29, v84, v34
	v_pk_fma_f16 v34, v29, v190, v36
	v_pk_fma_f16 v36, v29, v85, v38
	v_pk_fma_f16 v38, v29, v191, v88
	v_pk_fma_f16 v84, v29, v86, v89
	v_pk_fma_f16 v85, v29, v192, v90
	v_pk_fma_f16 v86, v29, v87, v91
	v_pk_fma_f16 v29, v29, v193, v33
	v_pk_fma_f16 v33, v30, v80, v35
	v_mul_u32_u24_e32 v198, 0x10001, v198
	v_mul_u32_u24_e32 v77, 0x10001, v77
	v_mul_u32_u24_e32 v199, 0x10001, v199
	v_mul_u32_u24_e32 v78, 0x10001, v78
	v_mul_u32_u24_e32 v200, 0x10001, v200
	v_mul_u32_u24_e32 v79, 0x10001, v79
	v_mul_u32_u24_e32 v201, 0x10001, v201
	v_lshrrev_b32_e32 v203, 16, v73
	v_lshrrev_b32_e32 v204, 16, v74
	v_lshrrev_b32_e32 v205, 16, v75
	v_and_b32_e32 v73, 0xffff, v73
	v_mul_u32_u24_e32 v72, 0x10001, v72
	v_and_b32_e32 v74, 0xffff, v74
	v_and_b32_e32 v75, 0xffff, v75
	v_lshrrev_b32_e32 v206, 16, v68
	v_and_b32_e32 v68, 0xffff, v68
	v_pk_fma_f16 v35, v30, v194, v37
	v_pk_fma_f16 v37, v30, v81, v39
	v_pk_fma_f16 v39, v30, v195, v92
	v_pk_fma_f16 v87, v30, v82, v93
	v_pk_fma_f16 v88, v30, v196, v94
	v_pk_fma_f16 v89, v30, v83, v95
	v_pk_fma_f16 v28, v30, v197, v28
	v_pk_fma_f16 v30, v31, v80, v32
	v_pk_fma_f16 v32, v31, v194, v34
	v_pk_fma_f16 v34, v31, v81, v36
	v_pk_fma_f16 v36, v31, v195, v38
	v_pk_fma_f16 v38, v31, v82, v84
	v_pk_fma_f16 v80, v31, v196, v85
	v_pk_fma_f16 v81, v31, v83, v86
	v_pk_fma_f16 v29, v31, v197, v29
	v_pk_fma_f16 v31, v24, v76, v33
	v_mul_u32_u24_e32 v202, 0x10001, v202
	v_mul_u32_u24_e32 v73, 0x10001, v73
	v_mul_u32_u24_e32 v203, 0x10001, v203
	v_mul_u32_u24_e32 v74, 0x10001, v74
	v_mul_u32_u24_e32 v204, 0x10001, v204
	;; [unrolled: 32-line block ×9, first 2 shown]
	v_mul_u32_u24_e32 v47, 0x10001, v47
	v_mul_u32_u24_e32 v233, 0x10001, v233
	;; [unrolled: 1-line block ×3, first 2 shown]
	v_pk_fma_f16 v19, v14, v226, v21
	v_pk_fma_f16 v21, v14, v49, v23
	;; [unrolled: 1-line block ×32, first 2 shown]
	s_wait_loadcnt_dscnt 0x0
	s_barrier_signal -1
	s_barrier_wait -1
	global_inv scope:SCOPE_SE
	ds_load_b128 v[12:15], v126 offset:256
	v_lshrrev_b32_e32 v235, 16, v41
	v_lshrrev_b32_e32 v236, 16, v42
	;; [unrolled: 1-line block ×3, first 2 shown]
	v_and_b32_e32 v41, 0xffff, v41
	v_and_b32_e32 v42, 0xffff, v42
	;; [unrolled: 1-line block ×3, first 2 shown]
	v_mul_u32_u24_e32 v234, 0x10001, v234
	v_mul_u32_u24_e32 v235, 0x10001, v235
	;; [unrolled: 1-line block ×7, first 2 shown]
	v_pk_fma_f16 v30, v10, v234, v17
	v_pk_fma_f16 v31, v10, v41, v19
	;; [unrolled: 1-line block ×15, first 2 shown]
	ds_load_2addr_b64 v[8:11], v187 offset1:24
	ds_load_b128 v[16:19], v126 offset:272
	ds_load_b128 v[20:23], v126 offset:288
	;; [unrolled: 1-line block ×3, first 2 shown]
	s_wait_dscnt 0x4
	v_lshrrev_b32_e32 v44, 16, v12
	v_and_b32_e32 v12, 0xffff, v12
	v_lshrrev_b32_e32 v45, 16, v13
	v_lshrrev_b32_e32 v46, 16, v14
	;; [unrolled: 1-line block ×3, first 2 shown]
	v_and_b32_e32 v13, 0xffff, v13
	v_and_b32_e32 v14, 0xffff, v14
	v_and_b32_e32 v15, 0xffff, v15
	v_mul_u32_u24_e32 v12, 0x10001, v12
	v_mul_u32_u24_e32 v44, 0x10001, v44
	;; [unrolled: 1-line block ×8, first 2 shown]
	s_wait_dscnt 0x3
	v_pk_fma_f16 v29, v8, v12, v29
	v_pk_fma_f16 v30, v8, v44, v30
	v_pk_fma_f16 v31, v8, v13, v31
	v_pk_fma_f16 v32, v8, v45, v32
	v_pk_fma_f16 v33, v8, v14, v33
	v_pk_fma_f16 v34, v8, v46, v34
	v_pk_fma_f16 v35, v8, v15, v35
	v_pk_fma_f16 v8, v8, v47, v36
	v_pk_fma_f16 v12, v9, v12, v28
	v_pk_fma_f16 v28, v9, v44, v37
	v_pk_fma_f16 v13, v9, v13, v38
	v_pk_fma_f16 v36, v9, v45, v39
	v_pk_fma_f16 v14, v9, v14, v40
	v_pk_fma_f16 v37, v9, v46, v41
	v_pk_fma_f16 v38, v9, v15, v42
	s_wait_dscnt 0x2
	v_lshrrev_b32_e32 v15, 16, v16
	v_and_b32_e32 v16, 0xffff, v16
	v_lshrrev_b32_e32 v39, 16, v17
	v_lshrrev_b32_e32 v40, 16, v18
	;; [unrolled: 1-line block ×3, first 2 shown]
	v_and_b32_e32 v17, 0xffff, v17
	v_and_b32_e32 v18, 0xffff, v18
	;; [unrolled: 1-line block ×3, first 2 shown]
	v_mul_u32_u24_e32 v16, 0x10001, v16
	v_mul_u32_u24_e32 v15, 0x10001, v15
	;; [unrolled: 1-line block ×8, first 2 shown]
	v_pk_fma_f16 v29, v10, v16, v29
	v_pk_fma_f16 v30, v10, v15, v30
	;; [unrolled: 1-line block ×12, first 2 shown]
	ds_load_2addr_b64 v[12:15], v187 offset0:48 offset1:72
	v_pk_fma_f16 v9, v9, v47, v43
	v_pk_fma_f16 v28, v11, v39, v36
	;; [unrolled: 1-line block ×4, first 2 shown]
	s_wait_dscnt 0x2
	v_lshrrev_b32_e32 v37, 16, v21
	v_pk_fma_f16 v9, v11, v41, v9
	v_lshrrev_b32_e32 v11, 16, v20
	v_and_b32_e32 v20, 0xffff, v20
	v_lshrrev_b32_e32 v38, 16, v22
	v_lshrrev_b32_e32 v39, 16, v23
	v_and_b32_e32 v21, 0xffff, v21
	v_and_b32_e32 v22, 0xffff, v22
	v_and_b32_e32 v23, 0xffff, v23
	v_mul_u32_u24_e32 v20, 0x10001, v20
	v_mul_u32_u24_e32 v11, 0x10001, v11
	;; [unrolled: 1-line block ×8, first 2 shown]
	s_wait_dscnt 0x0
	v_pk_fma_f16 v29, v12, v20, v29
	v_pk_fma_f16 v30, v12, v11, v30
	;; [unrolled: 1-line block ×16, first 2 shown]
	v_lshrrev_b32_e32 v8, 16, v24
	v_and_b32_e32 v9, 0xffff, v24
	v_lshrrev_b32_e32 v10, 16, v25
	v_lshrrev_b32_e32 v11, 16, v26
	v_and_b32_e32 v24, 0xffff, v25
	v_lshrrev_b32_e32 v19, 16, v27
	v_mul_u32_u24_e32 v25, 0x10001, v9
	v_and_b32_e32 v9, 0xffff, v26
	v_mul_u32_u24_e32 v26, 0x10001, v8
	v_and_b32_e32 v8, 0xffff, v27
	v_mul_u32_u24_e32 v27, 0x10001, v10
	v_mul_u32_u24_e32 v36, 0x10001, v11
	;; [unrolled: 1-line block ×5, first 2 shown]
	ds_load_b128 v[8:11], v126 offset:320
	v_mul_u32_u24_e32 v38, 0x10001, v19
	v_pk_fma_f16 v29, v14, v25, v29
	v_pk_fma_f16 v30, v14, v26, v30
	;; [unrolled: 1-line block ×14, first 2 shown]
	ds_load_2addr_b64 v[16:19], v187 offset0:96 offset1:120
	v_pk_fma_f16 v23, v15, v37, v23
	v_pk_fma_f16 v27, v15, v38, v13
	ds_load_b128 v[12:15], v126 offset:336
	s_wait_dscnt 0x2
	v_lshrrev_b32_e32 v28, 16, v8
	v_and_b32_e32 v8, 0xffff, v8
	v_lshrrev_b32_e32 v36, 16, v9
	v_and_b32_e32 v9, 0xffff, v9
	v_lshrrev_b32_e32 v37, 16, v10
	v_lshrrev_b32_e32 v38, 16, v11
	v_mul_u32_u24_e32 v8, 0x10001, v8
	v_and_b32_e32 v10, 0xffff, v10
	v_and_b32_e32 v11, 0xffff, v11
	v_mul_u32_u24_e32 v9, 0x10001, v9
	v_mul_u32_u24_e32 v28, 0x10001, v28
	;; [unrolled: 1-line block ×7, first 2 shown]
	s_wait_dscnt 0x1
	v_pk_fma_f16 v29, v16, v8, v29
	v_pk_fma_f16 v31, v16, v9, v31
	;; [unrolled: 1-line block ×4, first 2 shown]
	s_wait_dscnt 0x0
	v_lshrrev_b32_e32 v8, 16, v12
	v_and_b32_e32 v9, 0xffff, v12
	v_pk_fma_f16 v33, v16, v10, v33
	v_pk_fma_f16 v35, v16, v11, v35
	;; [unrolled: 1-line block ×8, first 2 shown]
	v_lshrrev_b32_e32 v10, 16, v13
	v_lshrrev_b32_e32 v11, 16, v14
	v_mul_u32_u24_e32 v27, 0x10001, v9
	v_and_b32_e32 v9, 0xffff, v14
	v_mul_u32_u24_e32 v14, 0x10001, v8
	v_and_b32_e32 v8, 0xffff, v15
	v_pk_fma_f16 v30, v16, v28, v30
	v_pk_fma_f16 v32, v16, v36, v32
	;; [unrolled: 1-line block ×3, first 2 shown]
	v_lshrrev_b32_e32 v12, 16, v15
	v_and_b32_e32 v13, 0xffff, v13
	v_mul_u32_u24_e32 v15, 0x10001, v10
	v_mul_u32_u24_e32 v28, 0x10001, v9
	;; [unrolled: 1-line block ×4, first 2 shown]
	ds_load_b128 v[8:11], v126 offset:352
	v_pk_fma_f16 v16, v16, v38, v39
	v_mul_u32_u24_e32 v13, 0x10001, v13
	v_mul_u32_u24_e32 v38, 0x10001, v12
	v_pk_fma_f16 v29, v18, v27, v29
	v_pk_fma_f16 v30, v18, v14, v30
	;; [unrolled: 1-line block ×14, first 2 shown]
	ds_load_2addr_b64 v[12:15], v187 offset0:144 offset1:168
	v_pk_fma_f16 v23, v19, v37, v23
	v_pk_fma_f16 v27, v19, v38, v17
	ds_load_b128 v[16:19], v126 offset:368
	s_wait_dscnt 0x2
	v_lshrrev_b32_e32 v28, 16, v8
	v_and_b32_e32 v8, 0xffff, v8
	v_lshrrev_b32_e32 v36, 16, v9
	v_and_b32_e32 v9, 0xffff, v9
	v_lshrrev_b32_e32 v37, 16, v10
	v_lshrrev_b32_e32 v38, 16, v11
	v_mul_u32_u24_e32 v8, 0x10001, v8
	v_and_b32_e32 v10, 0xffff, v10
	v_and_b32_e32 v11, 0xffff, v11
	v_mul_u32_u24_e32 v9, 0x10001, v9
	v_mul_u32_u24_e32 v28, 0x10001, v28
	;; [unrolled: 1-line block ×7, first 2 shown]
	s_wait_dscnt 0x1
	v_pk_fma_f16 v29, v12, v8, v29
	v_pk_fma_f16 v31, v12, v9, v31
	;; [unrolled: 1-line block ×4, first 2 shown]
	s_wait_dscnt 0x0
	v_lshrrev_b32_e32 v8, 16, v16
	v_and_b32_e32 v9, 0xffff, v16
	v_pk_fma_f16 v33, v12, v10, v33
	v_pk_fma_f16 v35, v12, v11, v35
	;; [unrolled: 1-line block ×8, first 2 shown]
	v_lshrrev_b32_e32 v10, 16, v17
	v_lshrrev_b32_e32 v11, 16, v18
	v_mul_u32_u24_e32 v27, 0x10001, v9
	v_and_b32_e32 v9, 0xffff, v18
	v_mul_u32_u24_e32 v18, 0x10001, v8
	v_and_b32_e32 v8, 0xffff, v19
	v_pk_fma_f16 v30, v12, v28, v30
	v_pk_fma_f16 v32, v12, v36, v32
	;; [unrolled: 1-line block ×3, first 2 shown]
	v_lshrrev_b32_e32 v16, 16, v19
	v_and_b32_e32 v17, 0xffff, v17
	v_mul_u32_u24_e32 v19, 0x10001, v10
	v_mul_u32_u24_e32 v28, 0x10001, v9
	;; [unrolled: 1-line block ×4, first 2 shown]
	ds_load_b128 v[8:11], v126 offset:384
	v_pk_fma_f16 v12, v12, v38, v39
	v_mul_u32_u24_e32 v17, 0x10001, v17
	v_mul_u32_u24_e32 v38, 0x10001, v16
	v_pk_fma_f16 v29, v14, v27, v29
	v_pk_fma_f16 v30, v14, v18, v30
	v_pk_fma_f16 v32, v14, v19, v32
	v_pk_fma_f16 v31, v14, v17, v31
	v_pk_fma_f16 v33, v14, v28, v33
	v_pk_fma_f16 v34, v14, v36, v34
	v_pk_fma_f16 v35, v14, v37, v35
	v_pk_fma_f16 v39, v14, v38, v12
	v_pk_fma_f16 v20, v15, v27, v20
	v_pk_fma_f16 v25, v15, v18, v25
	v_pk_fma_f16 v24, v15, v17, v24
	v_pk_fma_f16 v21, v15, v19, v21
	v_pk_fma_f16 v26, v15, v28, v26
	v_pk_fma_f16 v22, v15, v36, v22
	ds_load_2addr_b64 v[16:19], v187 offset0:192 offset1:216
	v_pk_fma_f16 v23, v15, v37, v23
	v_pk_fma_f16 v27, v15, v38, v13
	ds_load_b128 v[12:15], v126 offset:400
	s_wait_dscnt 0x2
	v_lshrrev_b32_e32 v28, 16, v8
	v_and_b32_e32 v8, 0xffff, v8
	v_lshrrev_b32_e32 v36, 16, v9
	v_and_b32_e32 v9, 0xffff, v9
	v_lshrrev_b32_e32 v37, 16, v10
	v_lshrrev_b32_e32 v38, 16, v11
	v_mul_u32_u24_e32 v8, 0x10001, v8
	v_and_b32_e32 v10, 0xffff, v10
	v_and_b32_e32 v11, 0xffff, v11
	v_mul_u32_u24_e32 v9, 0x10001, v9
	v_mul_u32_u24_e32 v28, 0x10001, v28
	;; [unrolled: 1-line block ×7, first 2 shown]
	s_wait_dscnt 0x1
	v_pk_fma_f16 v29, v16, v8, v29
	v_pk_fma_f16 v31, v16, v9, v31
	;; [unrolled: 1-line block ×4, first 2 shown]
	s_wait_dscnt 0x0
	v_lshrrev_b32_e32 v8, 16, v12
	v_and_b32_e32 v9, 0xffff, v12
	v_pk_fma_f16 v33, v16, v10, v33
	v_pk_fma_f16 v35, v16, v11, v35
	;; [unrolled: 1-line block ×8, first 2 shown]
	v_lshrrev_b32_e32 v10, 16, v13
	v_lshrrev_b32_e32 v11, 16, v14
	v_mul_u32_u24_e32 v27, 0x10001, v9
	v_and_b32_e32 v9, 0xffff, v14
	v_mul_u32_u24_e32 v14, 0x10001, v8
	v_and_b32_e32 v8, 0xffff, v15
	v_pk_fma_f16 v30, v16, v28, v30
	v_pk_fma_f16 v32, v16, v36, v32
	;; [unrolled: 1-line block ×3, first 2 shown]
	v_lshrrev_b32_e32 v12, 16, v15
	v_and_b32_e32 v13, 0xffff, v13
	v_mul_u32_u24_e32 v15, 0x10001, v10
	v_mul_u32_u24_e32 v28, 0x10001, v9
	;; [unrolled: 1-line block ×4, first 2 shown]
	ds_load_b128 v[8:11], v126 offset:416
	v_pk_fma_f16 v16, v16, v38, v39
	v_mul_u32_u24_e32 v13, 0x10001, v13
	v_mul_u32_u24_e32 v38, 0x10001, v12
	v_pk_fma_f16 v29, v18, v27, v29
	v_pk_fma_f16 v30, v18, v14, v30
	;; [unrolled: 1-line block ×14, first 2 shown]
	ds_load_2addr_b64 v[12:15], v186 offset0:112 offset1:136
	v_pk_fma_f16 v23, v19, v37, v23
	v_pk_fma_f16 v27, v19, v38, v17
	ds_load_b128 v[16:19], v126 offset:432
	s_wait_dscnt 0x2
	v_lshrrev_b32_e32 v28, 16, v8
	v_and_b32_e32 v8, 0xffff, v8
	v_lshrrev_b32_e32 v36, 16, v9
	v_and_b32_e32 v9, 0xffff, v9
	v_lshrrev_b32_e32 v37, 16, v10
	v_lshrrev_b32_e32 v38, 16, v11
	v_mul_u32_u24_e32 v8, 0x10001, v8
	v_and_b32_e32 v10, 0xffff, v10
	v_and_b32_e32 v11, 0xffff, v11
	v_mul_u32_u24_e32 v9, 0x10001, v9
	v_mul_u32_u24_e32 v28, 0x10001, v28
	;; [unrolled: 1-line block ×7, first 2 shown]
	s_wait_dscnt 0x1
	v_pk_fma_f16 v29, v12, v8, v29
	v_pk_fma_f16 v31, v12, v9, v31
	;; [unrolled: 1-line block ×4, first 2 shown]
	s_wait_dscnt 0x0
	v_lshrrev_b32_e32 v8, 16, v16
	v_and_b32_e32 v9, 0xffff, v16
	v_pk_fma_f16 v33, v12, v10, v33
	v_pk_fma_f16 v35, v12, v11, v35
	;; [unrolled: 1-line block ×8, first 2 shown]
	v_lshrrev_b32_e32 v10, 16, v17
	v_lshrrev_b32_e32 v11, 16, v18
	v_mul_u32_u24_e32 v27, 0x10001, v9
	v_and_b32_e32 v9, 0xffff, v18
	v_mul_u32_u24_e32 v18, 0x10001, v8
	v_and_b32_e32 v8, 0xffff, v19
	v_pk_fma_f16 v30, v12, v28, v30
	v_pk_fma_f16 v32, v12, v36, v32
	;; [unrolled: 1-line block ×3, first 2 shown]
	v_lshrrev_b32_e32 v16, 16, v19
	v_and_b32_e32 v17, 0xffff, v17
	v_mul_u32_u24_e32 v19, 0x10001, v10
	v_mul_u32_u24_e32 v28, 0x10001, v9
	;; [unrolled: 1-line block ×4, first 2 shown]
	ds_load_b128 v[8:11], v126 offset:448
	v_pk_fma_f16 v12, v12, v38, v39
	v_mul_u32_u24_e32 v17, 0x10001, v17
	v_mul_u32_u24_e32 v38, 0x10001, v16
	v_pk_fma_f16 v29, v14, v27, v29
	v_pk_fma_f16 v30, v14, v18, v30
	;; [unrolled: 1-line block ×14, first 2 shown]
	ds_load_2addr_b64 v[16:19], v185 offset0:32 offset1:56
	v_pk_fma_f16 v23, v15, v37, v23
	v_pk_fma_f16 v27, v15, v38, v13
	ds_load_b128 v[12:15], v126 offset:464
	s_wait_dscnt 0x2
	v_lshrrev_b32_e32 v28, 16, v8
	v_and_b32_e32 v8, 0xffff, v8
	v_lshrrev_b32_e32 v36, 16, v9
	v_and_b32_e32 v9, 0xffff, v9
	v_lshrrev_b32_e32 v37, 16, v10
	v_lshrrev_b32_e32 v38, 16, v11
	v_mul_u32_u24_e32 v8, 0x10001, v8
	v_and_b32_e32 v10, 0xffff, v10
	v_and_b32_e32 v11, 0xffff, v11
	v_mul_u32_u24_e32 v9, 0x10001, v9
	v_mul_u32_u24_e32 v28, 0x10001, v28
	;; [unrolled: 1-line block ×7, first 2 shown]
	s_wait_dscnt 0x1
	v_pk_fma_f16 v29, v16, v8, v29
	v_pk_fma_f16 v31, v16, v9, v31
	;; [unrolled: 1-line block ×4, first 2 shown]
	s_wait_dscnt 0x0
	v_lshrrev_b32_e32 v8, 16, v12
	v_and_b32_e32 v9, 0xffff, v12
	v_pk_fma_f16 v33, v16, v10, v33
	v_pk_fma_f16 v35, v16, v11, v35
	;; [unrolled: 1-line block ×8, first 2 shown]
	v_lshrrev_b32_e32 v10, 16, v13
	v_lshrrev_b32_e32 v11, 16, v14
	v_mul_u32_u24_e32 v27, 0x10001, v9
	v_and_b32_e32 v9, 0xffff, v14
	v_mul_u32_u24_e32 v14, 0x10001, v8
	v_and_b32_e32 v8, 0xffff, v15
	v_pk_fma_f16 v30, v16, v28, v30
	v_pk_fma_f16 v32, v16, v36, v32
	;; [unrolled: 1-line block ×3, first 2 shown]
	v_lshrrev_b32_e32 v12, 16, v15
	v_and_b32_e32 v13, 0xffff, v13
	v_mul_u32_u24_e32 v15, 0x10001, v10
	v_mul_u32_u24_e32 v28, 0x10001, v9
	;; [unrolled: 1-line block ×4, first 2 shown]
	ds_load_b128 v[8:11], v126 offset:480
	v_pk_fma_f16 v16, v16, v38, v39
	v_mul_u32_u24_e32 v13, 0x10001, v13
	v_mul_u32_u24_e32 v38, 0x10001, v12
	v_pk_fma_f16 v29, v18, v27, v29
	v_pk_fma_f16 v30, v18, v14, v30
	;; [unrolled: 1-line block ×14, first 2 shown]
	ds_load_2addr_b64 v[12:15], v185 offset0:80 offset1:104
	v_pk_fma_f16 v23, v19, v37, v23
	v_pk_fma_f16 v27, v19, v38, v17
	ds_load_b128 v[16:19], v126 offset:496
	s_wait_loadcnt_dscnt 0x0
	s_barrier_signal -1
	s_barrier_wait -1
	global_inv scope:SCOPE_SE
	s_load_b32 s7, s[56:57], 0x4
	v_lshrrev_b32_e32 v28, 16, v8
	v_and_b32_e32 v8, 0xffff, v8
	v_lshrrev_b32_e32 v36, 16, v9
	v_lshrrev_b32_e32 v37, 16, v10
	;; [unrolled: 1-line block ×3, first 2 shown]
	v_and_b32_e32 v9, 0xffff, v9
	v_and_b32_e32 v10, 0xffff, v10
	;; [unrolled: 1-line block ×3, first 2 shown]
	v_mul_u32_u24_e32 v8, 0x10001, v8
	v_mul_u32_u24_e32 v28, 0x10001, v28
	;; [unrolled: 1-line block ×8, first 2 shown]
	v_pk_fma_f16 v29, v12, v8, v29
	v_pk_fma_f16 v31, v12, v9, v31
	;; [unrolled: 1-line block ×9, first 2 shown]
	v_lshrrev_b32_e32 v23, 16, v16
	v_and_b32_e32 v16, 0xffff, v16
	v_lshrrev_b32_e32 v24, 16, v17
	v_and_b32_e32 v17, 0xffff, v17
	v_lshrrev_b32_e32 v25, 16, v18
	v_lshrrev_b32_e32 v26, 16, v19
	v_and_b32_e32 v18, 0xffff, v18
	v_and_b32_e32 v19, 0xffff, v19
	v_pk_fma_f16 v30, v12, v28, v30
	v_pk_fma_f16 v32, v12, v36, v32
	;; [unrolled: 1-line block ×7, first 2 shown]
	v_mul_u32_u24_e32 v16, 0x10001, v16
	v_mul_u32_u24_e32 v23, 0x10001, v23
	;; [unrolled: 1-line block ×8, first 2 shown]
	s_wait_kmcnt 0x0
	s_lshl_b32 s7, s7, 5
	v_pk_fma_f16 v142, v14, v16, v29
	v_pk_fma_f16 v140, v14, v23, v30
	;; [unrolled: 1-line block ×16, first 2 shown]
	s_wait_alu 0xfffe
	s_add_co_i32 s46, s7, s46
	s_wait_alu 0xfffe
	s_cmp_lt_i32 s46, s41
	s_cbranch_scc0 .LBB52_59
; %bb.57:                               ;   in Loop: Header=BB52_24 Depth=1
	v_dual_mov_b32 v9, v0 :: v_dual_mov_b32 v14, v1
	v_dual_mov_b32 v15, v2 :: v_dual_mov_b32 v10, v3
	;; [unrolled: 1-line block ×8, first 2 shown]
	s_branch .LBB52_24
.LBB52_58:
	v_dual_mov_b32 v0, 0xfeffffff :: v_dual_mov_b32 v151, 0
	v_dual_mov_b32 v150, 0 :: v_dual_mov_b32 v153, 0
	;; [unrolled: 1-line block ×3, first 2 shown]
	s_delay_alu instid0(VALU_DEP_3)
	v_dual_mov_b32 v1, v0 :: v_dual_mov_b32 v2, v0
	v_dual_mov_b32 v3, v0 :: v_dual_mov_b32 v4, v0
	;; [unrolled: 1-line block ×13, first 2 shown]
.LBB52_59:
	s_cmp_gt_i32 s50, s46
	s_cbranch_scc1 .LBB52_62
; %bb.60:
	v_mbcnt_lo_u32_b32 v8, -1, 0
	v_mov_b32_e32 v9, 32
	scratch_store_b32 off, v9, off offset:32 ; 4-byte Folded Spill
	v_xor_b32_e32 v9, 16, v8
	scratch_store_b32 off, v9, off offset:52 ; 4-byte Folded Spill
	v_xor_b32_e32 v9, 8, v8
	;; [unrolled: 2-line block ×5, first 2 shown]
	scratch_store_b32 off, v9, off offset:36 ; 4-byte Folded Spill
	s_cbranch_execz .LBB52_63
; %bb.61:
	scratch_store_b32 off, v8, off offset:28 ; 4-byte Folded Spill
	s_branch .LBB52_120
.LBB52_62:
                                        ; implicit-def: $vgpr9
                                        ; kill: killed $vgpr9
                                        ; implicit-def: $vgpr9
                                        ; kill: killed $vgpr9
                                        ; implicit-def: $vgpr8
                                        ; implicit-def: $vgpr9
                                        ; kill: killed $vgpr9
                                        ; implicit-def: $vgpr9
                                        ; kill: killed $vgpr9
	;; [unrolled: 2-line block ×4, first 2 shown]
.LBB52_63:
	v_lshl_add_u32 v10, v139, 4, v160
	v_lshlrev_b32_e32 v13, 2, v159
	s_ashr_i32 s47, s46, 31
	s_ashr_i32 s53, s52, 31
	s_mov_b64 s[6:7], src_private_base
	v_mul_lo_u32 v8, s52, v10
	v_mul_u32_u24_e32 v11, 0x70, v10
	s_wait_alu 0xfffe
	s_mul_u64 s[8:9], s[46:47], s[52:53]
	v_cmp_gt_u32_e64 s4, 32, v10
	s_wait_alu 0xfffe
	s_lshl_b64 s[8:9], s[8:9], 2
	s_sub_co_i32 s12, s50, s46
	v_add3_u32 v12, v11, v13, 0x4040
	s_wait_alu 0xfffe
	s_add_nc_u64 s[8:9], s[54:55], s[8:9]
	v_ashrrev_i32_e32 v9, 31, v8
	v_cmp_gt_i32_e32 vcc_lo, s12, v10
	s_delay_alu instid0(VALU_DEP_2)
	v_lshlrev_b64_e32 v[8:9], 2, v[8:9]
	s_and_saveexec_b32 s5, s4
	s_cbranch_execz .LBB52_65
; %bb.64:
	s_wait_alu 0xfffe
	s_delay_alu instid0(VALU_DEP_1) | instskip(SKIP_2) | instid1(VALU_DEP_2)
	v_add_co_u32 v10, s3, s8, v8
	s_wait_alu 0xf1ff
	v_add_co_ci_u32_e64 v11, null, s9, v9, s3
	v_add_co_u32 v10, s3, v10, v13
	s_wait_alu 0xf1ff
	s_delay_alu instid0(VALU_DEP_2) | instskip(NEXT) | instid1(VALU_DEP_2)
	v_add_co_ci_u32_e64 v11, null, 0, v11, s3
	v_add_co_u32 v10, s3, v10, 64
	s_wait_alu 0xf1ff
	s_delay_alu instid0(VALU_DEP_2) | instskip(SKIP_3) | instid1(VALU_DEP_3)
	v_add_co_ci_u32_e64 v11, null, 0, v11, s3
	v_mov_b32_e32 v14, 0
	s_wait_alu 0xfffd
	v_cndmask_b32_e32 v10, 0, v10, vcc_lo
	v_cndmask_b32_e32 v11, s7, v11, vcc_lo
	s_delay_alu instid0(VALU_DEP_3)
	v_dual_mov_b32 v15, v14 :: v_dual_mov_b32 v16, v14
	s_clause 0x1
	scratch_store_b32 off, v14, off
	scratch_store_b96 off, v[14:16], off offset:4
	flat_load_b128 v[14:17], v[10:11]
	s_wait_loadcnt_dscnt 0x0
	ds_store_b128 v12, v[14:17]
.LBB52_65:
	s_wait_alu 0xfffe
	s_or_b32 exec_lo, exec_lo, s5
	v_lshlrev_b32_e32 v10, 3, v139
	v_dual_mov_b32 v16, 0 :: v_dual_lshlrev_b32 v113, 2, v147
	s_mov_b64 s[10:11], src_private_base
	s_delay_alu instid0(VALU_DEP_2) | instskip(NEXT) | instid1(VALU_DEP_1)
	v_add_nc_u32_e32 v52, v158, v10
	v_mul_lo_u32 v10, s52, v52
	v_mul_u32_u24_e32 v14, 0x70, v52
	v_cmp_gt_u32_e64 s5, 32, v52
	v_cmp_gt_i32_e64 s3, s12, v52
	s_delay_alu instid0(VALU_DEP_3) | instskip(SKIP_1) | instid1(VALU_DEP_1)
	v_add3_u32 v17, v14, v113, 0x4000
	v_ashrrev_i32_e32 v11, 31, v10
	v_lshlrev_b64_e32 v[10:11], 2, v[10:11]
	s_and_saveexec_b32 s10, s5
	s_cbranch_execz .LBB52_67
; %bb.66:
	s_delay_alu instid0(VALU_DEP_1) | instskip(SKIP_1) | instid1(VALU_DEP_2)
	v_add_co_u32 v14, s6, s8, v10
	s_wait_alu 0xf1ff
	v_add_co_ci_u32_e64 v15, null, s9, v11, s6
	s_delay_alu instid0(VALU_DEP_2) | instskip(SKIP_1) | instid1(VALU_DEP_2)
	v_add_co_u32 v18, s6, v14, v113
	s_wait_alu 0xf1ff
	v_add_co_ci_u32_e64 v19, null, 0, v15, s6
	v_dual_mov_b32 v14, v16 :: v_dual_mov_b32 v15, v16
	s_delay_alu instid0(VALU_DEP_3) | instskip(SKIP_1) | instid1(VALU_DEP_3)
	v_cndmask_b32_e64 v18, 0, v18, s3
	s_wait_alu 0xfffe
	v_cndmask_b32_e64 v19, s11, v19, s3
	s_clause 0x1
	scratch_store_b32 off, v16, off
	scratch_store_b96 off, v[14:16], off offset:4
	flat_load_b128 v[18:21], v[18:19]
	s_wait_loadcnt_dscnt 0x0
	ds_store_b128 v17, v[18:21]
.LBB52_67:
	s_wait_alu 0xfffe
	s_or_b32 exec_lo, exec_lo, s10
	s_wait_storecnt 0x0
	s_wait_loadcnt_dscnt 0x0
	s_barrier_signal -1
	s_barrier_wait -1
	global_inv scope:SCOPE_SE
	ds_load_b128 v[25:28], v149 offset:16384
	ds_load_b128 v[29:32], v148
	ds_load_b128 v[33:36], v148 offset:192
	ds_load_b128 v[37:40], v148 offset:384
	;; [unrolled: 1-line block ×7, first 2 shown]
	v_dual_mov_b32 v24, 0 :: v_dual_mov_b32 v23, 0
	v_dual_mov_b32 v21, 0 :: v_dual_mov_b32 v18, 0
	;; [unrolled: 1-line block ×3, first 2 shown]
	v_mov_b32_e32 v20, 0
	s_wait_dscnt 0x7
	;;#ASMSTART
	v_dot2_f32_f16 v24, v25, v29, v24
	;;#ASMEND
	;;#ASMSTART
	v_dot2_f32_f16 v24, v26, v30, v24
	;;#ASMEND
	;;#ASMSTART
	v_dot2_f32_f16 v24, v27, v31, v24
	;;#ASMEND
	;;#ASMSTART
	v_dot2_f32_f16 v24, v28, v32, v24
	;;#ASMEND
	s_wait_dscnt 0x6
	;;#ASMSTART
	v_dot2_f32_f16 v23, v25, v33, v23
	;;#ASMEND
	;;#ASMSTART
	v_dot2_f32_f16 v23, v26, v34, v23
	;;#ASMEND
	;;#ASMSTART
	v_dot2_f32_f16 v23, v27, v35, v23
	;;#ASMEND
	;;#ASMSTART
	v_dot2_f32_f16 v23, v28, v36, v23
	;;#ASMEND
	;; [unrolled: 13-line block ×8, first 2 shown]
	ds_load_b128 v[25:28], v149 offset:16400
	ds_load_b128 v[29:32], v148 offset:16
	;; [unrolled: 1-line block ×9, first 2 shown]
	s_wait_dscnt 0x7
	;;#ASMSTART
	v_dot2_f32_f16 v24, v25, v29, v24
	;;#ASMEND
	;;#ASMSTART
	v_dot2_f32_f16 v24, v26, v30, v24
	;;#ASMEND
	;;#ASMSTART
	v_dot2_f32_f16 v24, v27, v31, v24
	;;#ASMEND
	;;#ASMSTART
	v_dot2_f32_f16 v24, v28, v32, v24
	;;#ASMEND
	s_wait_dscnt 0x6
	;;#ASMSTART
	v_dot2_f32_f16 v23, v25, v33, v23
	;;#ASMEND
	;;#ASMSTART
	v_dot2_f32_f16 v23, v26, v34, v23
	;;#ASMEND
	;;#ASMSTART
	v_dot2_f32_f16 v23, v27, v35, v23
	;;#ASMEND
	;;#ASMSTART
	v_dot2_f32_f16 v23, v28, v36, v23
	;;#ASMEND
	;; [unrolled: 13-line block ×8, first 2 shown]
	ds_load_b128 v[25:28], v149 offset:16416
	ds_load_b128 v[29:32], v148 offset:32
	;; [unrolled: 1-line block ×9, first 2 shown]
	s_wait_dscnt 0x7
	;;#ASMSTART
	v_dot2_f32_f16 v24, v25, v29, v24
	;;#ASMEND
	;;#ASMSTART
	v_dot2_f32_f16 v24, v26, v30, v24
	;;#ASMEND
	;;#ASMSTART
	v_dot2_f32_f16 v24, v27, v31, v24
	;;#ASMEND
	;;#ASMSTART
	v_dot2_f32_f16 v24, v28, v32, v24
	;;#ASMEND
	s_wait_dscnt 0x6
	;;#ASMSTART
	v_dot2_f32_f16 v23, v25, v33, v23
	;;#ASMEND
	;;#ASMSTART
	v_dot2_f32_f16 v23, v26, v34, v23
	;;#ASMEND
	;;#ASMSTART
	v_dot2_f32_f16 v23, v27, v35, v23
	;;#ASMEND
	;;#ASMSTART
	v_dot2_f32_f16 v23, v28, v36, v23
	;;#ASMEND
	s_wait_dscnt 0x5
	;;#ASMSTART
	v_dot2_f32_f16 v21, v25, v37, v21
	;;#ASMEND
	;;#ASMSTART
	v_dot2_f32_f16 v21, v26, v38, v21
	;;#ASMEND
	;;#ASMSTART
	v_dot2_f32_f16 v21, v27, v39, v21
	;;#ASMEND
	;;#ASMSTART
	v_dot2_f32_f16 v21, v28, v40, v21
	;;#ASMEND
	s_wait_dscnt 0x4
	;;#ASMSTART
	v_dot2_f32_f16 v19, v25, v41, v19
	;;#ASMEND
	;;#ASMSTART
	v_dot2_f32_f16 v19, v26, v42, v19
	;;#ASMEND
	;;#ASMSTART
	v_dot2_f32_f16 v19, v27, v43, v19
	;;#ASMEND
	;;#ASMSTART
	v_dot2_f32_f16 v19, v28, v44, v19
	;;#ASMEND
	s_wait_dscnt 0x3
	;;#ASMSTART
	v_dot2_f32_f16 v18, v25, v45, v18
	;;#ASMEND
	;;#ASMSTART
	v_dot2_f32_f16 v18, v26, v46, v18
	;;#ASMEND
	;;#ASMSTART
	v_dot2_f32_f16 v18, v27, v47, v18
	;;#ASMEND
	;;#ASMSTART
	v_dot2_f32_f16 v18, v28, v48, v18
	;;#ASMEND
	s_wait_dscnt 0x2
	;;#ASMSTART
	v_dot2_f32_f16 v22, v25, v53, v22
	;;#ASMEND
	;;#ASMSTART
	v_dot2_f32_f16 v22, v26, v54, v22
	;;#ASMEND
	;;#ASMSTART
	v_dot2_f32_f16 v22, v27, v55, v22
	;;#ASMEND
	;;#ASMSTART
	v_dot2_f32_f16 v22, v28, v56, v22
	;;#ASMEND
	s_wait_dscnt 0x1
	;;#ASMSTART
	v_dot2_f32_f16 v20, v25, v57, v20
	;;#ASMEND
	;;#ASMSTART
	v_dot2_f32_f16 v20, v26, v58, v20
	;;#ASMEND
	;;#ASMSTART
	v_dot2_f32_f16 v20, v27, v59, v20
	;;#ASMEND
	;;#ASMSTART
	v_dot2_f32_f16 v20, v28, v60, v20
	;;#ASMEND
	s_wait_dscnt 0x0
	;;#ASMSTART
	v_dot2_f32_f16 v16, v25, v61, v16
	;;#ASMEND
	;;#ASMSTART
	v_dot2_f32_f16 v16, v26, v62, v16
	;;#ASMEND
	;;#ASMSTART
	v_dot2_f32_f16 v16, v27, v63, v16
	;;#ASMEND
	;;#ASMSTART
	v_dot2_f32_f16 v16, v28, v64, v16
	;;#ASMEND
	ds_load_b128 v[25:28], v149 offset:16432
	ds_load_b128 v[29:32], v148 offset:48
	;; [unrolled: 1-line block ×9, first 2 shown]
	s_wait_dscnt 0x7
	;;#ASMSTART
	v_dot2_f32_f16 v24, v25, v29, v24
	;;#ASMEND
	;;#ASMSTART
	v_dot2_f32_f16 v24, v26, v30, v24
	;;#ASMEND
	;;#ASMSTART
	v_dot2_f32_f16 v24, v27, v31, v24
	;;#ASMEND
	;;#ASMSTART
	v_dot2_f32_f16 v24, v28, v32, v24
	;;#ASMEND
	s_wait_dscnt 0x6
	;;#ASMSTART
	v_dot2_f32_f16 v23, v25, v33, v23
	;;#ASMEND
	;;#ASMSTART
	v_dot2_f32_f16 v23, v26, v34, v23
	;;#ASMEND
	;;#ASMSTART
	v_dot2_f32_f16 v23, v27, v35, v23
	;;#ASMEND
	;;#ASMSTART
	v_dot2_f32_f16 v23, v28, v36, v23
	;;#ASMEND
	;; [unrolled: 13-line block ×8, first 2 shown]
	ds_load_b128 v[25:28], v149 offset:16448
	ds_load_b128 v[29:32], v148 offset:64
	;; [unrolled: 1-line block ×9, first 2 shown]
	s_wait_dscnt 0x7
	;;#ASMSTART
	v_dot2_f32_f16 v24, v25, v29, v24
	;;#ASMEND
	;;#ASMSTART
	v_dot2_f32_f16 v24, v26, v30, v24
	;;#ASMEND
	;;#ASMSTART
	v_dot2_f32_f16 v24, v27, v31, v24
	;;#ASMEND
	;;#ASMSTART
	v_dot2_f32_f16 v24, v28, v32, v24
	;;#ASMEND
	s_wait_dscnt 0x6
	;;#ASMSTART
	v_dot2_f32_f16 v23, v25, v33, v23
	;;#ASMEND
	;;#ASMSTART
	v_dot2_f32_f16 v23, v26, v34, v23
	;;#ASMEND
	;;#ASMSTART
	v_dot2_f32_f16 v23, v27, v35, v23
	;;#ASMEND
	;;#ASMSTART
	v_dot2_f32_f16 v23, v28, v36, v23
	;;#ASMEND
	;; [unrolled: 13-line block ×8, first 2 shown]
	ds_load_b128 v[25:28], v149 offset:16464
	ds_load_b128 v[29:32], v148 offset:80
	;; [unrolled: 1-line block ×9, first 2 shown]
	s_wait_dscnt 0x7
	;;#ASMSTART
	v_dot2_f32_f16 v24, v25, v29, v24
	;;#ASMEND
	;;#ASMSTART
	v_dot2_f32_f16 v24, v26, v30, v24
	;;#ASMEND
	;;#ASMSTART
	v_dot2_f32_f16 v24, v27, v31, v24
	;;#ASMEND
	;;#ASMSTART
	v_dot2_f32_f16 v24, v28, v32, v24
	;;#ASMEND
	s_wait_dscnt 0x6
	;;#ASMSTART
	v_dot2_f32_f16 v23, v25, v33, v23
	;;#ASMEND
	;;#ASMSTART
	v_dot2_f32_f16 v23, v26, v34, v23
	;;#ASMEND
	;;#ASMSTART
	v_dot2_f32_f16 v23, v27, v35, v23
	;;#ASMEND
	;;#ASMSTART
	v_dot2_f32_f16 v23, v28, v36, v23
	;;#ASMEND
	;; [unrolled: 13-line block ×8, first 2 shown]
	s_wait_loadcnt 0x0
	s_barrier_signal -1
	s_barrier_wait -1
	global_inv scope:SCOPE_SE
	s_and_saveexec_b32 s6, s4
	s_cbranch_execz .LBB52_69
; %bb.68:
	v_add_co_u32 v8, s4, s8, v8
	s_wait_alu 0xf1ff
	v_add_co_ci_u32_e64 v9, null, s9, v9, s4
	s_delay_alu instid0(VALU_DEP_2) | instskip(SKIP_1) | instid1(VALU_DEP_2)
	v_add_co_u32 v8, s4, v8, v13
	s_wait_alu 0xf1ff
	v_add_co_ci_u32_e64 v9, null, 0, v9, s4
	s_delay_alu instid0(VALU_DEP_2) | instskip(SKIP_2) | instid1(VALU_DEP_3)
	v_add_co_u32 v8, s4, 0xa0, v8
	v_mov_b32_e32 v13, 0
	s_wait_alu 0xf1ff
	v_add_co_ci_u32_e64 v9, null, 0, v9, s4
	s_wait_alu 0xfffd
	v_cndmask_b32_e32 v8, 0, v8, vcc_lo
	v_dual_mov_b32 v14, v13 :: v_dual_mov_b32 v15, v13
	s_delay_alu instid0(VALU_DEP_3)
	v_cndmask_b32_e32 v9, s7, v9, vcc_lo
	s_clause 0x1
	scratch_store_b32 off, v13, off
	scratch_store_b96 off, v[13:15], off offset:4
	flat_load_b128 v[25:28], v[8:9]
	s_wait_loadcnt_dscnt 0x0
	ds_store_b128 v12, v[25:28]
.LBB52_69:
	s_wait_alu 0xfffe
	s_or_b32 exec_lo, exec_lo, s6
	s_and_saveexec_b32 s4, s5
	s_cbranch_execz .LBB52_71
; %bb.70:
	v_add_co_u32 v8, vcc_lo, s8, v10
	s_wait_alu 0xfffd
	v_add_co_ci_u32_e64 v9, null, s9, v11, vcc_lo
	s_delay_alu instid0(VALU_DEP_2) | instskip(SKIP_1) | instid1(VALU_DEP_2)
	v_add_co_u32 v10, vcc_lo, v8, v113
	s_wait_alu 0xfffd
	v_add_co_ci_u32_e64 v9, null, 0, v9, vcc_lo
	v_mov_b32_e32 v8, 0
	s_delay_alu instid0(VALU_DEP_3) | instskip(SKIP_1) | instid1(VALU_DEP_3)
	v_add_co_u32 v11, vcc_lo, 0x60, v10
	s_wait_alu 0xfffd
	v_add_co_ci_u32_e64 v12, null, 0, v9, vcc_lo
	s_delay_alu instid0(VALU_DEP_3) | instskip(NEXT) | instid1(VALU_DEP_3)
	v_dual_mov_b32 v9, v8 :: v_dual_mov_b32 v10, v8
	v_cndmask_b32_e64 v11, 0, v11, s3
	s_delay_alu instid0(VALU_DEP_3)
	v_cndmask_b32_e64 v12, s11, v12, s3
	s_clause 0x1
	scratch_store_b32 off, v8, off
	scratch_store_b96 off, v[8:10], off offset:4
	flat_load_b128 v[8:11], v[11:12]
	s_wait_loadcnt_dscnt 0x0
	ds_store_b128 v17, v[8:11]
.LBB52_71:
	s_wait_alu 0xfffe
	s_or_b32 exec_lo, exec_lo, s4
	s_wait_storecnt 0x0
	s_wait_loadcnt_dscnt 0x0
	s_barrier_signal -1
	s_barrier_wait -1
	global_inv scope:SCOPE_SE
	ds_load_b128 v[8:11], v149 offset:16384
	ds_load_b128 v[12:15], v148 offset:96
	;; [unrolled: 1-line block ×9, first 2 shown]
	s_cmp_lg_u64 s[48:49], 0
	s_wait_dscnt 0x7
	;;#ASMSTART
	v_dot2_f32_f16 v24, v8, v12, v24
	;;#ASMEND
	;;#ASMSTART
	v_dot2_f32_f16 v24, v9, v13, v24
	;;#ASMEND
	;;#ASMSTART
	v_dot2_f32_f16 v24, v10, v14, v24
	;;#ASMEND
	;;#ASMSTART
	v_dot2_f32_f16 v24, v11, v15, v24
	;;#ASMEND
	s_wait_dscnt 0x6
	;;#ASMSTART
	v_dot2_f32_f16 v23, v8, v25, v23
	;;#ASMEND
	;;#ASMSTART
	v_dot2_f32_f16 v23, v9, v26, v23
	;;#ASMEND
	;;#ASMSTART
	v_dot2_f32_f16 v23, v10, v27, v23
	;;#ASMEND
	;;#ASMSTART
	v_dot2_f32_f16 v23, v11, v28, v23
	;;#ASMEND
	;; [unrolled: 13-line block ×8, first 2 shown]
	ds_load_b128 v[8:11], v149 offset:16400
	ds_load_b128 v[12:15], v148 offset:112
	;; [unrolled: 1-line block ×9, first 2 shown]
	s_wait_dscnt 0x7
	;;#ASMSTART
	v_dot2_f32_f16 v24, v8, v12, v24
	;;#ASMEND
	;;#ASMSTART
	v_dot2_f32_f16 v24, v9, v13, v24
	;;#ASMEND
	;;#ASMSTART
	v_dot2_f32_f16 v24, v10, v14, v24
	;;#ASMEND
	;;#ASMSTART
	v_dot2_f32_f16 v24, v11, v15, v24
	;;#ASMEND
	s_wait_dscnt 0x6
	;;#ASMSTART
	v_dot2_f32_f16 v23, v8, v25, v23
	;;#ASMEND
	;;#ASMSTART
	v_dot2_f32_f16 v23, v9, v26, v23
	;;#ASMEND
	;;#ASMSTART
	v_dot2_f32_f16 v23, v10, v27, v23
	;;#ASMEND
	;;#ASMSTART
	v_dot2_f32_f16 v23, v11, v28, v23
	;;#ASMEND
	;; [unrolled: 13-line block ×8, first 2 shown]
	ds_load_b128 v[8:11], v149 offset:16416
	ds_load_b128 v[12:15], v148 offset:128
	;; [unrolled: 1-line block ×9, first 2 shown]
	s_wait_dscnt 0x7
	;;#ASMSTART
	v_dot2_f32_f16 v24, v8, v12, v24
	;;#ASMEND
	;;#ASMSTART
	v_dot2_f32_f16 v24, v9, v13, v24
	;;#ASMEND
	;;#ASMSTART
	v_dot2_f32_f16 v24, v10, v14, v24
	;;#ASMEND
	;;#ASMSTART
	v_dot2_f32_f16 v24, v11, v15, v24
	;;#ASMEND
	s_wait_dscnt 0x6
	;;#ASMSTART
	v_dot2_f32_f16 v23, v8, v25, v23
	;;#ASMEND
	;;#ASMSTART
	v_dot2_f32_f16 v23, v9, v26, v23
	;;#ASMEND
	;;#ASMSTART
	v_dot2_f32_f16 v23, v10, v27, v23
	;;#ASMEND
	;;#ASMSTART
	v_dot2_f32_f16 v23, v11, v28, v23
	;;#ASMEND
	;; [unrolled: 13-line block ×8, first 2 shown]
	ds_load_b128 v[8:11], v149 offset:16432
	ds_load_b128 v[12:15], v148 offset:144
	;; [unrolled: 1-line block ×9, first 2 shown]
	s_wait_dscnt 0x7
	;;#ASMSTART
	v_dot2_f32_f16 v24, v8, v12, v24
	;;#ASMEND
	;;#ASMSTART
	v_dot2_f32_f16 v24, v9, v13, v24
	;;#ASMEND
	;;#ASMSTART
	v_dot2_f32_f16 v24, v10, v14, v24
	;;#ASMEND
	;;#ASMSTART
	v_dot2_f32_f16 v24, v11, v15, v24
	;;#ASMEND
	s_wait_dscnt 0x6
	;;#ASMSTART
	v_dot2_f32_f16 v23, v8, v25, v23
	;;#ASMEND
	;;#ASMSTART
	v_dot2_f32_f16 v23, v9, v26, v23
	;;#ASMEND
	;;#ASMSTART
	v_dot2_f32_f16 v23, v10, v27, v23
	;;#ASMEND
	;;#ASMSTART
	v_dot2_f32_f16 v23, v11, v28, v23
	;;#ASMEND
	;; [unrolled: 13-line block ×8, first 2 shown]
	ds_load_b128 v[8:11], v149 offset:16448
	ds_load_b128 v[12:15], v148 offset:160
	ds_load_b128 v[25:28], v148 offset:352
	ds_load_b128 v[29:32], v148 offset:544
	ds_load_b128 v[33:36], v148 offset:736
	ds_load_b128 v[37:40], v148 offset:928
	ds_load_b128 v[41:44], v148 offset:1120
	ds_load_b128 v[45:48], v148 offset:1312
	ds_load_b128 v[53:56], v148 offset:1504
	s_wait_dscnt 0x7
	;;#ASMSTART
	v_dot2_f32_f16 v24, v8, v12, v24
	;;#ASMEND
	;;#ASMSTART
	v_dot2_f32_f16 v24, v9, v13, v24
	;;#ASMEND
	;;#ASMSTART
	v_dot2_f32_f16 v24, v10, v14, v24
	;;#ASMEND
	;;#ASMSTART
	v_dot2_f32_f16 v24, v11, v15, v24
	;;#ASMEND
	s_wait_dscnt 0x6
	;;#ASMSTART
	v_dot2_f32_f16 v23, v8, v25, v23
	;;#ASMEND
	;;#ASMSTART
	v_dot2_f32_f16 v23, v9, v26, v23
	;;#ASMEND
	;;#ASMSTART
	v_dot2_f32_f16 v23, v10, v27, v23
	;;#ASMEND
	;;#ASMSTART
	v_dot2_f32_f16 v23, v11, v28, v23
	;;#ASMEND
	;; [unrolled: 13-line block ×8, first 2 shown]
	ds_load_b128 v[28:31], v149 offset:16464
	ds_load_b128 v[32:35], v148 offset:176
	;; [unrolled: 1-line block ×3, first 2 shown]
	scratch_load_b32 v8, off, off offset:20 ; 4-byte Folded Reload
	ds_load_b128 v[40:43], v148 offset:560
	ds_load_b128 v[44:47], v148 offset:752
	;; [unrolled: 1-line block ×6, first 2 shown]
	s_wait_dscnt 0x7
	;;#ASMSTART
	v_dot2_f32_f16 v24, v28, v32, v24
	;;#ASMEND
	;;#ASMSTART
	v_dot2_f32_f16 v24, v29, v33, v24
	;;#ASMEND
	;;#ASMSTART
	v_dot2_f32_f16 v24, v30, v34, v24
	;;#ASMEND
	;;#ASMSTART
	v_dot2_f32_f16 v24, v31, v35, v24
	;;#ASMEND
	s_wait_dscnt 0x6
	;;#ASMSTART
	v_dot2_f32_f16 v23, v28, v36, v23
	;;#ASMEND
	;;#ASMSTART
	v_dot2_f32_f16 v23, v29, v37, v23
	;;#ASMEND
	;;#ASMSTART
	v_dot2_f32_f16 v23, v30, v38, v23
	;;#ASMEND
	;;#ASMSTART
	v_dot2_f32_f16 v23, v31, v39, v23
	;;#ASMEND
	;; [unrolled: 13-line block ×5, first 2 shown]
	s_wait_dscnt 0x2
	;;#ASMSTART
	v_dot2_f32_f16 v22, v28, v53, v22
	;;#ASMEND
	;;#ASMSTART
	v_dot2_f32_f16 v22, v29, v54, v22
	;;#ASMEND
	s_cselect_b32 s6, -1, 0
	;;#ASMSTART
	v_dot2_f32_f16 v22, v30, v55, v22
	;;#ASMEND
	;;#ASMSTART
	v_dot2_f32_f16 v22, v31, v56, v22
	;;#ASMEND
	s_wait_dscnt 0x1
	;;#ASMSTART
	v_dot2_f32_f16 v20, v28, v57, v20
	;;#ASMEND
	s_wait_alu 0xfffe
	v_cndmask_b32_e64 v27, 0, 1, s6
	;;#ASMSTART
	v_dot2_f32_f16 v20, v29, v58, v20
	;;#ASMEND
	;;#ASMSTART
	v_dot2_f32_f16 v20, v30, v59, v20
	;;#ASMEND
	;; [unrolled: 3-line block ×3, first 2 shown]
	s_wait_dscnt 0x0
	;;#ASMSTART
	v_dot2_f32_f16 v16, v28, v61, v16
	;;#ASMEND
	;;#ASMSTART
	v_dot2_f32_f16 v16, v29, v62, v16
	;;#ASMEND
	;; [unrolled: 3-line block ×4, first 2 shown]
	s_wait_loadcnt 0x0
	v_cmp_gt_i32_e64 s4, s12, v8
	v_add_nc_u32_e32 v17, s46, v8
	v_dual_mov_b32 v15, v7 :: v_dual_mov_b32 v12, v4
	v_dual_mov_b32 v14, v6 :: v_dual_mov_b32 v13, v5
	;; [unrolled: 1-line block ×4, first 2 shown]
	s_and_saveexec_b32 s5, s4
	s_cbranch_execz .LBB52_76
; %bb.72:
	s_and_not1_b32 vcc_lo, exec_lo, s6
	s_wait_alu 0xfffe
	s_cbranch_vccnz .LBB52_74
; %bb.73:
	scratch_load_b32 v9, off, off offset:24 ; 4-byte Folded Reload
	s_wait_loadcnt 0x0
	v_mul_hi_u32 v8, s36, v9
	s_delay_alu instid0(VALU_DEP_1) | instskip(NEXT) | instid1(VALU_DEP_1)
	v_add_nc_u32_e32 v8, v9, v8
	v_lshrrev_b32_e32 v8, s37, v8
	s_delay_alu instid0(VALU_DEP_1) | instskip(NEXT) | instid1(VALU_DEP_1)
	v_mul_lo_u32 v8, v8, s38
	v_sub_nc_u32_e32 v8, v9, v8
	s_delay_alu instid0(VALU_DEP_1) | instskip(NEXT) | instid1(VALU_DEP_1)
	v_mad_co_u64_u32 v[8:9], null, v8, s27, v[17:18]
	v_ashrrev_i32_e32 v9, 31, v8
	s_delay_alu instid0(VALU_DEP_1) | instskip(NEXT) | instid1(VALU_DEP_1)
	v_lshlrev_b64_e32 v[8:9], 1, v[8:9]
	v_add_co_u32 v8, vcc_lo, s48, v8
	s_wait_alu 0xfffd
	s_delay_alu instid0(VALU_DEP_2) | instskip(SKIP_3) | instid1(VALU_DEP_1)
	v_add_co_ci_u32_e64 v9, null, s49, v9, vcc_lo
	global_load_u16 v8, v[8:9], off
	s_wait_loadcnt 0x0
	v_cvt_f32_f16_e32 v8, v8
	v_mul_f32_e32 v8, v144, v8
	s_branch .LBB52_75
.LBB52_74:
	v_mov_b32_e32 v8, 0
.LBB52_75:
	s_delay_alu instid0(VALU_DEP_1) | instskip(SKIP_2) | instid1(VALU_DEP_3)
	v_dual_add_f32 v24, v24, v8 :: v_dual_mov_b32 v15, v7
	v_dual_max_num_f32 v25, v0, v0 :: v_dual_mov_b32 v14, v6
	v_mov_b32_e32 v8, v0
	v_dual_add_f32 v26, 0x40051340, v24 :: v_dual_mov_b32 v13, v5
	v_dual_mov_b32 v12, v4 :: v_dual_mov_b32 v11, v3
	v_dual_mov_b32 v10, v2 :: v_dual_mov_b32 v9, v1
	s_delay_alu instid0(VALU_DEP_3)
	v_max_num_f32_e32 v8, v25, v26
.LBB52_76:
	s_wait_alu 0xfffe
	s_or_b32 exec_lo, exec_lo, s5
	v_mbcnt_lo_u32_b32 v31, -1, 0
	s_delay_alu instid0(VALU_DEP_1) | instskip(SKIP_2) | instid1(VALU_DEP_3)
	v_xor_b32_e32 v25, 16, v31
	v_xor_b32_e32 v26, 8, v31
	;; [unrolled: 1-line block ×3, first 2 shown]
	v_cmp_gt_i32_e32 vcc_lo, 32, v25
	s_clause 0x2
	scratch_store_b32 off, v25, off offset:52
	scratch_store_b32 off, v26, off offset:48
	;; [unrolled: 1-line block ×3, first 2 shown]
	s_wait_alu 0xfffd
	v_cndmask_b32_e32 v25, v31, v25, vcc_lo
	v_cmp_gt_i32_e32 vcc_lo, 32, v26
	s_wait_alu 0xfffd
	v_cndmask_b32_e32 v26, v31, v26, vcc_lo
	s_delay_alu instid0(VALU_DEP_1) | instskip(SKIP_1) | instid1(VALU_DEP_1)
	v_lshlrev_b32_e32 v29, 2, v26
	v_xor_b32_e32 v26, 4, v31
	v_cmp_gt_i32_e32 vcc_lo, 32, v26
	scratch_store_b32 off, v26, off offset:44 ; 4-byte Folded Spill
	s_wait_alu 0xfffd
	v_cndmask_b32_e32 v26, v31, v26, vcc_lo
	s_delay_alu instid0(VALU_DEP_1) | instskip(SKIP_1) | instid1(VALU_DEP_1)
	v_lshlrev_b32_e32 v30, 2, v26
	v_xor_b32_e32 v26, 2, v31
	v_cmp_gt_i32_e32 vcc_lo, 32, v26
	scratch_store_b32 off, v26, off offset:40 ; 4-byte Folded Spill
	s_wait_alu 0xfffd
	v_cndmask_b32_e32 v26, v31, v26, vcc_lo
	v_cmp_gt_i32_e32 vcc_lo, 32, v32
	v_lshlrev_b32_e32 v28, 2, v25
	s_wait_alu 0xfffd
	s_delay_alu instid0(VALU_DEP_3) | instskip(SKIP_3) | instid1(VALU_DEP_1)
	v_dual_cndmask_b32 v31, v31, v32 :: v_dual_lshlrev_b32 v26, 2, v26
	ds_bpermute_b32 v25, v28, v8
	s_wait_dscnt 0x0
	v_dual_max_num_f32 v8, v8, v8 :: v_dual_max_num_f32 v25, v25, v25
	v_max_num_f32_e32 v8, v8, v25
	ds_bpermute_b32 v25, v29, v8
	s_wait_dscnt 0x0
	v_max_num_f32_e32 v25, v25, v25
	s_delay_alu instid0(VALU_DEP_1) | instskip(SKIP_3) | instid1(VALU_DEP_1)
	v_max_num_f32_e32 v8, v8, v25
	ds_bpermute_b32 v25, v30, v8
	s_wait_dscnt 0x0
	v_max_num_f32_e32 v25, v25, v25
	v_max_num_f32_e32 v8, v8, v25
	ds_bpermute_b32 v25, v26, v8
	s_wait_dscnt 0x0
	v_dual_max_num_f32 v32, v25, v25 :: v_dual_lshlrev_b32 v25, 2, v31
	s_delay_alu instid0(VALU_DEP_1)
	v_max_num_f32_e32 v8, v8, v32
	v_mov_b32_e32 v32, 32
	ds_bpermute_b32 v31, v25, v8
	scratch_store_b32 off, v32, off offset:32 ; 4-byte Folded Spill
	s_wait_dscnt 0x0
	v_max_num_f32_e32 v31, v31, v31
	s_delay_alu instid0(VALU_DEP_1)
	v_max_num_f32_e32 v8, v8, v31
	s_and_saveexec_b32 s5, s4
	s_cbranch_execz .LBB52_81
; %bb.77:
	v_cmp_ne_u32_e32 vcc_lo, 1, v27
	s_cbranch_vccnz .LBB52_79
; %bb.78:
	scratch_load_b32 v31, off, off offset:24 ; 4-byte Folded Reload
	s_wait_loadcnt 0x0
	v_or_b32_e32 v31, 1, v31
	s_delay_alu instid0(VALU_DEP_1) | instskip(NEXT) | instid1(VALU_DEP_1)
	v_mul_hi_u32 v32, s36, v31
	v_add_nc_u32_e32 v32, v31, v32
	s_delay_alu instid0(VALU_DEP_1) | instskip(NEXT) | instid1(VALU_DEP_1)
	v_lshrrev_b32_e32 v32, s37, v32
	v_mul_lo_u32 v32, v32, s38
	s_delay_alu instid0(VALU_DEP_1) | instskip(NEXT) | instid1(VALU_DEP_1)
	v_sub_nc_u32_e32 v31, v31, v32
	v_mad_co_u64_u32 v[31:32], null, v31, s27, v[17:18]
	s_delay_alu instid0(VALU_DEP_1) | instskip(NEXT) | instid1(VALU_DEP_1)
	v_ashrrev_i32_e32 v32, 31, v31
	v_lshlrev_b64_e32 v[31:32], 1, v[31:32]
	s_delay_alu instid0(VALU_DEP_1) | instskip(SKIP_1) | instid1(VALU_DEP_2)
	v_add_co_u32 v31, vcc_lo, s48, v31
	s_wait_alu 0xfffd
	v_add_co_ci_u32_e64 v32, null, s49, v32, vcc_lo
	global_load_u16 v31, v[31:32], off
	s_wait_loadcnt 0x0
	v_cvt_f32_f16_e32 v31, v31
	s_delay_alu instid0(VALU_DEP_1)
	v_mul_f32_e32 v31, v144, v31
	s_branch .LBB52_80
.LBB52_79:
	v_mov_b32_e32 v31, 0
.LBB52_80:
	s_delay_alu instid0(VALU_DEP_1) | instskip(SKIP_1) | instid1(VALU_DEP_2)
	v_add_f32_e32 v23, v23, v31
	v_max_num_f32_e32 v9, v9, v9
	v_add_f32_e32 v31, 0x40051340, v23
	s_delay_alu instid0(VALU_DEP_1)
	v_max_num_f32_e32 v9, v9, v31
.LBB52_81:
	s_wait_alu 0xfffe
	s_or_b32 exec_lo, exec_lo, s5
	ds_bpermute_b32 v31, v28, v9
	v_max_num_f32_e32 v9, v9, v9
	s_wait_dscnt 0x0
	v_max_num_f32_e32 v31, v31, v31
	s_delay_alu instid0(VALU_DEP_1) | instskip(SKIP_3) | instid1(VALU_DEP_1)
	v_max_num_f32_e32 v9, v9, v31
	ds_bpermute_b32 v31, v29, v9
	s_wait_dscnt 0x0
	v_max_num_f32_e32 v31, v31, v31
	v_max_num_f32_e32 v9, v9, v31
	ds_bpermute_b32 v31, v30, v9
	s_wait_dscnt 0x0
	v_max_num_f32_e32 v31, v31, v31
	s_delay_alu instid0(VALU_DEP_1) | instskip(SKIP_3) | instid1(VALU_DEP_1)
	v_max_num_f32_e32 v9, v9, v31
	ds_bpermute_b32 v31, v26, v9
	s_wait_dscnt 0x0
	v_max_num_f32_e32 v31, v31, v31
	v_max_num_f32_e32 v9, v9, v31
	ds_bpermute_b32 v31, v25, v9
	s_wait_dscnt 0x0
	v_max_num_f32_e32 v31, v31, v31
	s_delay_alu instid0(VALU_DEP_1)
	v_max_num_f32_e32 v9, v9, v31
	s_and_saveexec_b32 s5, s4
	s_cbranch_execz .LBB52_86
; %bb.82:
	v_cmp_ne_u32_e32 vcc_lo, 1, v27
	s_cbranch_vccnz .LBB52_84
; %bb.83:
	scratch_load_b32 v31, off, off offset:24 ; 4-byte Folded Reload
	s_wait_loadcnt 0x0
	v_or_b32_e32 v31, 2, v31
	s_delay_alu instid0(VALU_DEP_1) | instskip(NEXT) | instid1(VALU_DEP_1)
	v_mul_hi_u32 v32, s36, v31
	v_add_nc_u32_e32 v32, v31, v32
	s_delay_alu instid0(VALU_DEP_1) | instskip(NEXT) | instid1(VALU_DEP_1)
	v_lshrrev_b32_e32 v32, s37, v32
	v_mul_lo_u32 v32, v32, s38
	s_delay_alu instid0(VALU_DEP_1) | instskip(NEXT) | instid1(VALU_DEP_1)
	v_sub_nc_u32_e32 v31, v31, v32
	v_mad_co_u64_u32 v[31:32], null, v31, s27, v[17:18]
	s_delay_alu instid0(VALU_DEP_1) | instskip(NEXT) | instid1(VALU_DEP_1)
	v_ashrrev_i32_e32 v32, 31, v31
	v_lshlrev_b64_e32 v[31:32], 1, v[31:32]
	s_delay_alu instid0(VALU_DEP_1) | instskip(SKIP_1) | instid1(VALU_DEP_2)
	v_add_co_u32 v31, vcc_lo, s48, v31
	s_wait_alu 0xfffd
	v_add_co_ci_u32_e64 v32, null, s49, v32, vcc_lo
	global_load_u16 v31, v[31:32], off
	s_wait_loadcnt 0x0
	v_cvt_f32_f16_e32 v31, v31
	s_delay_alu instid0(VALU_DEP_1)
	v_mul_f32_e32 v31, v144, v31
	s_branch .LBB52_85
.LBB52_84:
	v_mov_b32_e32 v31, 0
.LBB52_85:
	s_delay_alu instid0(VALU_DEP_1) | instskip(NEXT) | instid1(VALU_DEP_1)
	v_dual_add_f32 v21, v21, v31 :: v_dual_max_num_f32 v10, v10, v10
	v_add_f32_e32 v31, 0x40051340, v21
	s_delay_alu instid0(VALU_DEP_1)
	v_max_num_f32_e32 v10, v10, v31
.LBB52_86:
	s_wait_alu 0xfffe
	s_or_b32 exec_lo, exec_lo, s5
	ds_bpermute_b32 v31, v28, v10
	s_wait_dscnt 0x0
	v_dual_max_num_f32 v10, v10, v10 :: v_dual_max_num_f32 v31, v31, v31
	s_delay_alu instid0(VALU_DEP_1) | instskip(SKIP_3) | instid1(VALU_DEP_1)
	v_max_num_f32_e32 v10, v10, v31
	ds_bpermute_b32 v31, v29, v10
	s_wait_dscnt 0x0
	v_max_num_f32_e32 v31, v31, v31
	v_max_num_f32_e32 v10, v10, v31
	ds_bpermute_b32 v31, v30, v10
	s_wait_dscnt 0x0
	v_max_num_f32_e32 v31, v31, v31
	s_delay_alu instid0(VALU_DEP_1) | instskip(SKIP_3) | instid1(VALU_DEP_1)
	v_max_num_f32_e32 v10, v10, v31
	ds_bpermute_b32 v31, v26, v10
	s_wait_dscnt 0x0
	v_max_num_f32_e32 v31, v31, v31
	v_max_num_f32_e32 v10, v10, v31
	ds_bpermute_b32 v31, v25, v10
	s_wait_dscnt 0x0
	v_max_num_f32_e32 v31, v31, v31
	s_delay_alu instid0(VALU_DEP_1)
	v_max_num_f32_e32 v10, v10, v31
	s_and_saveexec_b32 s5, s4
	s_cbranch_execz .LBB52_91
; %bb.87:
	v_cmp_ne_u32_e32 vcc_lo, 1, v27
	s_cbranch_vccnz .LBB52_89
; %bb.88:
	scratch_load_b32 v31, off, off offset:24 ; 4-byte Folded Reload
	s_wait_loadcnt 0x0
	v_or_b32_e32 v31, 3, v31
	s_delay_alu instid0(VALU_DEP_1) | instskip(NEXT) | instid1(VALU_DEP_1)
	v_mul_hi_u32 v32, s36, v31
	v_add_nc_u32_e32 v32, v31, v32
	s_delay_alu instid0(VALU_DEP_1) | instskip(NEXT) | instid1(VALU_DEP_1)
	v_lshrrev_b32_e32 v32, s37, v32
	v_mul_lo_u32 v32, v32, s38
	s_delay_alu instid0(VALU_DEP_1) | instskip(NEXT) | instid1(VALU_DEP_1)
	v_sub_nc_u32_e32 v31, v31, v32
	v_mad_co_u64_u32 v[31:32], null, v31, s27, v[17:18]
	s_delay_alu instid0(VALU_DEP_1) | instskip(NEXT) | instid1(VALU_DEP_1)
	v_ashrrev_i32_e32 v32, 31, v31
	v_lshlrev_b64_e32 v[31:32], 1, v[31:32]
	s_delay_alu instid0(VALU_DEP_1) | instskip(SKIP_1) | instid1(VALU_DEP_2)
	v_add_co_u32 v31, vcc_lo, s48, v31
	s_wait_alu 0xfffd
	v_add_co_ci_u32_e64 v32, null, s49, v32, vcc_lo
	global_load_u16 v31, v[31:32], off
	s_wait_loadcnt 0x0
	v_cvt_f32_f16_e32 v31, v31
	s_delay_alu instid0(VALU_DEP_1)
	v_mul_f32_e32 v31, v144, v31
	s_branch .LBB52_90
.LBB52_89:
	v_mov_b32_e32 v31, 0
.LBB52_90:
	s_delay_alu instid0(VALU_DEP_1) | instskip(SKIP_1) | instid1(VALU_DEP_2)
	v_add_f32_e32 v19, v19, v31
	v_max_num_f32_e32 v11, v11, v11
	v_add_f32_e32 v31, 0x40051340, v19
	s_delay_alu instid0(VALU_DEP_1)
	v_max_num_f32_e32 v11, v11, v31
.LBB52_91:
	s_wait_alu 0xfffe
	s_or_b32 exec_lo, exec_lo, s5
	ds_bpermute_b32 v31, v28, v11
	v_max_num_f32_e32 v11, v11, v11
	s_wait_dscnt 0x0
	v_max_num_f32_e32 v31, v31, v31
	s_delay_alu instid0(VALU_DEP_1) | instskip(SKIP_3) | instid1(VALU_DEP_1)
	v_max_num_f32_e32 v11, v11, v31
	ds_bpermute_b32 v31, v29, v11
	s_wait_dscnt 0x0
	v_max_num_f32_e32 v31, v31, v31
	v_max_num_f32_e32 v11, v11, v31
	ds_bpermute_b32 v31, v30, v11
	s_wait_dscnt 0x0
	v_max_num_f32_e32 v31, v31, v31
	s_delay_alu instid0(VALU_DEP_1) | instskip(SKIP_3) | instid1(VALU_DEP_1)
	v_max_num_f32_e32 v11, v11, v31
	ds_bpermute_b32 v31, v26, v11
	s_wait_dscnt 0x0
	v_max_num_f32_e32 v31, v31, v31
	v_max_num_f32_e32 v11, v11, v31
	ds_bpermute_b32 v31, v25, v11
	s_wait_dscnt 0x0
	v_max_num_f32_e32 v31, v31, v31
	s_delay_alu instid0(VALU_DEP_1)
	v_max_num_f32_e32 v11, v11, v31
	s_and_saveexec_b32 s5, s4
	s_cbranch_execz .LBB52_96
; %bb.92:
	v_cmp_ne_u32_e32 vcc_lo, 1, v27
	s_cbranch_vccnz .LBB52_94
; %bb.93:
	scratch_load_b32 v31, off, off offset:24 ; 4-byte Folded Reload
	s_wait_loadcnt 0x0
	v_or_b32_e32 v31, 4, v31
	s_delay_alu instid0(VALU_DEP_1) | instskip(NEXT) | instid1(VALU_DEP_1)
	v_mul_hi_u32 v32, s36, v31
	v_add_nc_u32_e32 v32, v31, v32
	s_delay_alu instid0(VALU_DEP_1) | instskip(NEXT) | instid1(VALU_DEP_1)
	v_lshrrev_b32_e32 v32, s37, v32
	v_mul_lo_u32 v32, v32, s38
	s_delay_alu instid0(VALU_DEP_1) | instskip(NEXT) | instid1(VALU_DEP_1)
	v_sub_nc_u32_e32 v31, v31, v32
	v_mad_co_u64_u32 v[31:32], null, v31, s27, v[17:18]
	s_delay_alu instid0(VALU_DEP_1) | instskip(NEXT) | instid1(VALU_DEP_1)
	v_ashrrev_i32_e32 v32, 31, v31
	v_lshlrev_b64_e32 v[31:32], 1, v[31:32]
	s_delay_alu instid0(VALU_DEP_1) | instskip(SKIP_1) | instid1(VALU_DEP_2)
	v_add_co_u32 v31, vcc_lo, s48, v31
	s_wait_alu 0xfffd
	v_add_co_ci_u32_e64 v32, null, s49, v32, vcc_lo
	global_load_u16 v31, v[31:32], off
	s_wait_loadcnt 0x0
	v_cvt_f32_f16_e32 v31, v31
	s_delay_alu instid0(VALU_DEP_1)
	v_mul_f32_e32 v31, v144, v31
	s_branch .LBB52_95
.LBB52_94:
	v_mov_b32_e32 v31, 0
.LBB52_95:
	s_delay_alu instid0(VALU_DEP_1) | instskip(NEXT) | instid1(VALU_DEP_1)
	v_add_f32_e32 v18, v18, v31
	v_dual_max_num_f32 v12, v12, v12 :: v_dual_add_f32 v31, 0x40051340, v18
	s_delay_alu instid0(VALU_DEP_1)
	v_max_num_f32_e32 v12, v12, v31
.LBB52_96:
	s_wait_alu 0xfffe
	s_or_b32 exec_lo, exec_lo, s5
	ds_bpermute_b32 v31, v28, v12
	s_wait_dscnt 0x0
	v_dual_max_num_f32 v12, v12, v12 :: v_dual_max_num_f32 v31, v31, v31
	s_delay_alu instid0(VALU_DEP_1) | instskip(SKIP_3) | instid1(VALU_DEP_1)
	v_max_num_f32_e32 v12, v12, v31
	ds_bpermute_b32 v31, v29, v12
	s_wait_dscnt 0x0
	v_max_num_f32_e32 v31, v31, v31
	v_max_num_f32_e32 v12, v12, v31
	ds_bpermute_b32 v31, v30, v12
	s_wait_dscnt 0x0
	v_max_num_f32_e32 v31, v31, v31
	s_delay_alu instid0(VALU_DEP_1) | instskip(SKIP_3) | instid1(VALU_DEP_1)
	v_max_num_f32_e32 v12, v12, v31
	ds_bpermute_b32 v31, v26, v12
	s_wait_dscnt 0x0
	v_max_num_f32_e32 v31, v31, v31
	v_max_num_f32_e32 v12, v12, v31
	ds_bpermute_b32 v31, v25, v12
	s_wait_dscnt 0x0
	v_max_num_f32_e32 v31, v31, v31
	s_delay_alu instid0(VALU_DEP_1)
	v_max_num_f32_e32 v12, v12, v31
	s_and_saveexec_b32 s5, s4
	s_cbranch_execz .LBB52_101
; %bb.97:
	v_cmp_ne_u32_e32 vcc_lo, 1, v27
	s_cbranch_vccnz .LBB52_99
; %bb.98:
	scratch_load_b32 v31, off, off offset:24 ; 4-byte Folded Reload
	s_wait_loadcnt 0x0
	v_or_b32_e32 v31, 5, v31
	s_delay_alu instid0(VALU_DEP_1) | instskip(NEXT) | instid1(VALU_DEP_1)
	v_mul_hi_u32 v32, s36, v31
	v_add_nc_u32_e32 v32, v31, v32
	s_delay_alu instid0(VALU_DEP_1) | instskip(NEXT) | instid1(VALU_DEP_1)
	v_lshrrev_b32_e32 v32, s37, v32
	v_mul_lo_u32 v32, v32, s38
	s_delay_alu instid0(VALU_DEP_1) | instskip(NEXT) | instid1(VALU_DEP_1)
	v_sub_nc_u32_e32 v31, v31, v32
	v_mad_co_u64_u32 v[31:32], null, v31, s27, v[17:18]
	s_delay_alu instid0(VALU_DEP_1) | instskip(NEXT) | instid1(VALU_DEP_1)
	v_ashrrev_i32_e32 v32, 31, v31
	v_lshlrev_b64_e32 v[31:32], 1, v[31:32]
	s_delay_alu instid0(VALU_DEP_1) | instskip(SKIP_1) | instid1(VALU_DEP_2)
	v_add_co_u32 v31, vcc_lo, s48, v31
	s_wait_alu 0xfffd
	v_add_co_ci_u32_e64 v32, null, s49, v32, vcc_lo
	global_load_u16 v31, v[31:32], off
	s_wait_loadcnt 0x0
	v_cvt_f32_f16_e32 v31, v31
	s_delay_alu instid0(VALU_DEP_1)
	v_mul_f32_e32 v31, v144, v31
	s_branch .LBB52_100
.LBB52_99:
	v_mov_b32_e32 v31, 0
.LBB52_100:
	s_delay_alu instid0(VALU_DEP_1) | instskip(NEXT) | instid1(VALU_DEP_1)
	v_dual_add_f32 v22, v22, v31 :: v_dual_max_num_f32 v13, v13, v13
	v_add_f32_e32 v31, 0x40051340, v22
	s_delay_alu instid0(VALU_DEP_1)
	v_max_num_f32_e32 v13, v13, v31
.LBB52_101:
	s_wait_alu 0xfffe
	s_or_b32 exec_lo, exec_lo, s5
	ds_bpermute_b32 v31, v28, v13
	v_max_num_f32_e32 v13, v13, v13
	s_wait_dscnt 0x0
	v_max_num_f32_e32 v31, v31, v31
	s_delay_alu instid0(VALU_DEP_1) | instskip(SKIP_3) | instid1(VALU_DEP_1)
	v_max_num_f32_e32 v13, v13, v31
	ds_bpermute_b32 v31, v29, v13
	s_wait_dscnt 0x0
	v_max_num_f32_e32 v31, v31, v31
	v_max_num_f32_e32 v13, v13, v31
	ds_bpermute_b32 v31, v30, v13
	s_wait_dscnt 0x0
	v_max_num_f32_e32 v31, v31, v31
	s_delay_alu instid0(VALU_DEP_1) | instskip(SKIP_3) | instid1(VALU_DEP_1)
	v_max_num_f32_e32 v13, v13, v31
	ds_bpermute_b32 v31, v26, v13
	s_wait_dscnt 0x0
	v_max_num_f32_e32 v31, v31, v31
	v_max_num_f32_e32 v13, v13, v31
	ds_bpermute_b32 v31, v25, v13
	s_wait_dscnt 0x0
	v_max_num_f32_e32 v31, v31, v31
	s_delay_alu instid0(VALU_DEP_1)
	v_max_num_f32_e32 v13, v13, v31
	s_and_saveexec_b32 s5, s4
	s_cbranch_execz .LBB52_106
; %bb.102:
	v_cmp_ne_u32_e32 vcc_lo, 1, v27
	s_cbranch_vccnz .LBB52_104
; %bb.103:
	scratch_load_b32 v31, off, off offset:24 ; 4-byte Folded Reload
	s_wait_loadcnt 0x0
	v_or_b32_e32 v31, 6, v31
	s_delay_alu instid0(VALU_DEP_1) | instskip(NEXT) | instid1(VALU_DEP_1)
	v_mul_hi_u32 v32, s36, v31
	v_add_nc_u32_e32 v32, v31, v32
	s_delay_alu instid0(VALU_DEP_1) | instskip(NEXT) | instid1(VALU_DEP_1)
	v_lshrrev_b32_e32 v32, s37, v32
	v_mul_lo_u32 v32, v32, s38
	s_delay_alu instid0(VALU_DEP_1) | instskip(NEXT) | instid1(VALU_DEP_1)
	v_sub_nc_u32_e32 v31, v31, v32
	v_mad_co_u64_u32 v[31:32], null, v31, s27, v[17:18]
	s_delay_alu instid0(VALU_DEP_1) | instskip(NEXT) | instid1(VALU_DEP_1)
	v_ashrrev_i32_e32 v32, 31, v31
	v_lshlrev_b64_e32 v[31:32], 1, v[31:32]
	s_delay_alu instid0(VALU_DEP_1) | instskip(SKIP_1) | instid1(VALU_DEP_2)
	v_add_co_u32 v31, vcc_lo, s48, v31
	s_wait_alu 0xfffd
	v_add_co_ci_u32_e64 v32, null, s49, v32, vcc_lo
	global_load_u16 v31, v[31:32], off
	s_wait_loadcnt 0x0
	v_cvt_f32_f16_e32 v31, v31
	s_delay_alu instid0(VALU_DEP_1)
	v_mul_f32_e32 v31, v144, v31
	s_branch .LBB52_105
.LBB52_104:
	v_mov_b32_e32 v31, 0
.LBB52_105:
	s_delay_alu instid0(VALU_DEP_1) | instskip(NEXT) | instid1(VALU_DEP_1)
	v_add_f32_e32 v20, v20, v31
	v_dual_max_num_f32 v14, v14, v14 :: v_dual_add_f32 v31, 0x40051340, v20
	s_delay_alu instid0(VALU_DEP_1)
	v_max_num_f32_e32 v14, v14, v31
.LBB52_106:
	s_wait_alu 0xfffe
	s_or_b32 exec_lo, exec_lo, s5
	ds_bpermute_b32 v31, v28, v14
	s_wait_dscnt 0x0
	v_dual_max_num_f32 v14, v14, v14 :: v_dual_max_num_f32 v31, v31, v31
	s_delay_alu instid0(VALU_DEP_1) | instskip(SKIP_3) | instid1(VALU_DEP_1)
	v_max_num_f32_e32 v14, v14, v31
	ds_bpermute_b32 v31, v29, v14
	s_wait_dscnt 0x0
	v_max_num_f32_e32 v31, v31, v31
	v_max_num_f32_e32 v14, v14, v31
	ds_bpermute_b32 v31, v30, v14
	s_wait_dscnt 0x0
	v_max_num_f32_e32 v31, v31, v31
	s_delay_alu instid0(VALU_DEP_1) | instskip(SKIP_3) | instid1(VALU_DEP_1)
	v_max_num_f32_e32 v14, v14, v31
	ds_bpermute_b32 v31, v26, v14
	s_wait_dscnt 0x0
	v_max_num_f32_e32 v31, v31, v31
	v_max_num_f32_e32 v14, v14, v31
	ds_bpermute_b32 v31, v25, v14
	s_wait_dscnt 0x0
	v_max_num_f32_e32 v31, v31, v31
	s_delay_alu instid0(VALU_DEP_1)
	v_max_num_f32_e32 v14, v14, v31
	s_and_saveexec_b32 s5, s4
	s_cbranch_execz .LBB52_111
; %bb.107:
	v_cmp_ne_u32_e32 vcc_lo, 1, v27
	s_cbranch_vccnz .LBB52_109
; %bb.108:
	scratch_load_b32 v27, off, off offset:24 ; 4-byte Folded Reload
	s_wait_loadcnt 0x0
	v_or_b32_e32 v27, 7, v27
	s_delay_alu instid0(VALU_DEP_1) | instskip(NEXT) | instid1(VALU_DEP_1)
	v_mul_hi_u32 v31, s36, v27
	v_add_nc_u32_e32 v31, v27, v31
	s_delay_alu instid0(VALU_DEP_1) | instskip(NEXT) | instid1(VALU_DEP_1)
	v_lshrrev_b32_e32 v31, s37, v31
	v_mul_lo_u32 v31, v31, s38
	s_delay_alu instid0(VALU_DEP_1) | instskip(NEXT) | instid1(VALU_DEP_1)
	v_sub_nc_u32_e32 v27, v27, v31
	v_mad_co_u64_u32 v[31:32], null, v27, s27, v[17:18]
	s_delay_alu instid0(VALU_DEP_1) | instskip(NEXT) | instid1(VALU_DEP_1)
	v_ashrrev_i32_e32 v32, 31, v31
	v_lshlrev_b64_e32 v[31:32], 1, v[31:32]
	s_delay_alu instid0(VALU_DEP_1) | instskip(SKIP_1) | instid1(VALU_DEP_2)
	v_add_co_u32 v31, vcc_lo, s48, v31
	s_wait_alu 0xfffd
	v_add_co_ci_u32_e64 v32, null, s49, v32, vcc_lo
	global_load_u16 v17, v[31:32], off
	s_wait_loadcnt 0x0
	v_cvt_f32_f16_e32 v17, v17
	s_delay_alu instid0(VALU_DEP_1)
	v_mul_f32_e32 v17, v144, v17
	s_branch .LBB52_110
.LBB52_109:
	v_mov_b32_e32 v17, 0
.LBB52_110:
	s_delay_alu instid0(VALU_DEP_1) | instskip(NEXT) | instid1(VALU_DEP_1)
	v_dual_add_f32 v16, v16, v17 :: v_dual_max_num_f32 v15, v15, v15
	v_add_f32_e32 v17, 0x40051340, v16
	s_delay_alu instid0(VALU_DEP_1)
	v_max_num_f32_e32 v15, v15, v17
.LBB52_111:
	s_wait_alu 0xfffe
	s_or_b32 exec_lo, exec_lo, s5
	s_wait_storecnt 0x0
	s_barrier_signal -1
	s_barrier_wait -1
	scratch_load_b32 v50, off, off offset:20 ; 4-byte Folded Reload
	ds_bpermute_b32 v17, v28, v15
	v_dual_max_num_f32 v15, v15, v15 :: v_dual_sub_f32 v24, v24, v8
	v_dual_sub_f32 v21, v21, v10 :: v_dual_sub_f32 v22, v22, v13
	v_sub_f32_e32 v19, v19, v11
	s_ashr_i32 s43, s42, 31
	s_delay_alu instid0(VALU_DEP_3) | instskip(NEXT) | instid1(VALU_DEP_3)
	v_cmp_ngt_f32_e64 s4, 0xc2ce8ed0, v24
	v_mul_f32_e32 v32, 0x3fb8aa3b, v21
	s_wait_alu 0xfffe
	s_mul_u64 s[8:9], s[46:47], s[42:43]
	v_cmp_gt_u32_e32 vcc_lo, 16, v52
	s_mov_b64 s[6:7], src_private_base
	v_sub_f32_e32 v18, v18, v12
	v_rndne_f32_e32 v41, v32
	v_fma_f32 v40, 0x3fb8aa3b, v21, -v32
	s_delay_alu instid0(VALU_DEP_3) | instskip(NEXT) | instid1(VALU_DEP_3)
	v_mul_f32_e32 v34, 0x3fb8aa3b, v18
	v_sub_f32_e32 v32, v32, v41
	v_cvt_i32_f32_e32 v41, v41
	s_wait_dscnt 0x0
	v_max_num_f32_e32 v17, v17, v17
	v_fmac_f32_e32 v40, 0x32a5705f, v21
	v_rndne_f32_e32 v45, v34
	v_mul_f32_e32 v33, 0x3fb8aa3b, v19
	v_fma_f32 v44, 0x3fb8aa3b, v18, -v34
	s_delay_alu instid0(VALU_DEP_4) | instskip(NEXT) | instid1(VALU_DEP_4)
	v_dual_max_num_f32 v15, v15, v17 :: v_dual_add_f32 v32, v32, v40
	v_sub_f32_e32 v34, v34, v45
	s_delay_alu instid0(VALU_DEP_4)
	v_fma_f32 v42, 0x3fb8aa3b, v19, -v33
	v_rndne_f32_e32 v43, v33
	ds_bpermute_b32 v17, v29, v15
	v_fmac_f32_e32 v44, 0x32a5705f, v18
	v_mul_u32_u24_e32 v29, 0xc0, v52
	v_fmac_f32_e32 v42, 0x32a5705f, v19
	v_sub_f32_e32 v33, v33, v43
	v_exp_f32_e32 v32, v32
	v_add_f32_e32 v34, v34, v44
	v_lshl_or_b32 v29, v147, 2, v29
	s_delay_alu instid0(VALU_DEP_2) | instskip(NEXT) | instid1(VALU_DEP_1)
	v_exp_f32_e32 v34, v34
	v_add_nc_u32_e32 v53, 0x4080, v29
	s_delay_alu instid0(TRANS32_DEP_2) | instskip(SKIP_2) | instid1(VALU_DEP_1)
	v_ldexp_f32 v32, v32, v41
	s_wait_dscnt 0x0
	v_max_num_f32_e32 v17, v17, v17
	v_max_num_f32_e32 v15, v15, v17
	ds_bpermute_b32 v17, v30, v15
	v_mul_f32_e32 v30, 0x3fb8aa3b, v24
	s_delay_alu instid0(VALU_DEP_1) | instskip(SKIP_3) | instid1(VALU_DEP_4)
	v_fma_f32 v36, 0x3fb8aa3b, v24, -v30
	v_rndne_f32_e32 v37, v30
	v_sub_f32_e32 v27, v20, v14
	v_mul_lo_u32 v20, s42, v52
	v_fmac_f32_e32 v36, 0x32a5705f, v24
	s_delay_alu instid0(VALU_DEP_4) | instskip(SKIP_1) | instid1(VALU_DEP_2)
	v_dual_sub_f32 v30, v30, v37 :: v_dual_mul_f32 v35, 0x3fb8aa3b, v22
	v_cvt_i32_f32_e32 v37, v37
	v_add_f32_e32 v30, v30, v36
	s_delay_alu instid0(VALU_DEP_3) | instskip(SKIP_4) | instid1(VALU_DEP_2)
	v_fma_f32 v46, 0x3fb8aa3b, v22, -v35
	v_rndne_f32_e32 v47, v35
	s_wait_dscnt 0x0
	v_max_num_f32_e32 v17, v17, v17
	v_exp_f32_e32 v30, v30
	v_dual_fmac_f32 v46, 0x32a5705f, v22 :: v_dual_sub_f32 v35, v35, v47
	s_delay_alu instid0(VALU_DEP_2)
	v_max_num_f32_e32 v15, v15, v17
	v_mul_f32_e32 v17, 0x3fb8aa3b, v27
	v_cvt_i32_f32_e32 v36, v47
	ds_bpermute_b32 v26, v26, v15
	v_sub_f32_e32 v23, v23, v9
	v_fma_f32 v48, 0x3fb8aa3b, v27, -v17
	v_rndne_f32_e32 v49, v17
	v_ldexp_f32 v30, v30, v37
	s_delay_alu instid0(VALU_DEP_2) | instskip(NEXT) | instid1(VALU_DEP_2)
	v_dual_fmac_f32 v48, 0x32a5705f, v27 :: v_dual_sub_f32 v17, v17, v49
	v_cndmask_b32_e64 v30, 0, v30, s4
	s_wait_dscnt 0x0
	v_dual_max_num_f32 v26, v26, v26 :: v_dual_mul_f32 v31, 0x3fb8aa3b, v23
	v_cmp_ngt_f32_e64 s4, 0xc2ce8ed0, v23
	v_cmp_nlt_f32_e64 s5, 0x42b17218, v23
	s_delay_alu instid0(VALU_DEP_3) | instskip(NEXT) | instid1(VALU_DEP_4)
	v_max_num_f32_e32 v15, v15, v26
	v_rndne_f32_e32 v39, v31
	v_fma_f32 v38, 0x3fb8aa3b, v23, -v31
	v_cvt_i32_f32_e32 v26, v43
	v_cvt_i32_f32_e32 v43, v45
	ds_bpermute_b32 v25, v25, v15
	v_sub_f32_e32 v31, v31, v39
	v_fmac_f32_e32 v38, 0x32a5705f, v23
	v_cvt_i32_f32_e32 v39, v39
	s_wait_dscnt 0x0
	v_max_num_f32_e32 v25, v25, v25
	s_delay_alu instid0(VALU_DEP_1) | instskip(SKIP_2) | instid1(VALU_DEP_3)
	v_max_num_f32_e32 v15, v15, v25
	v_add_f32_e32 v31, v31, v38
	v_cvt_i32_f32_e32 v38, v49
	v_dual_sub_f32 v16, v16, v15 :: v_dual_add_f32 v33, v33, v42
	s_delay_alu instid0(VALU_DEP_3) | instskip(NEXT) | instid1(VALU_DEP_1)
	v_exp_f32_e32 v31, v31
	v_exp_f32_e32 v33, v33
	s_delay_alu instid0(TRANS32_DEP_2) | instskip(NEXT) | instid1(TRANS32_DEP_1)
	v_ldexp_f32 v31, v31, v39
	v_ldexp_f32 v25, v33, v26
	;; [unrolled: 1-line block ×3, first 2 shown]
	v_dual_mul_f32 v34, 0x3fb8aa3b, v16 :: v_dual_add_f32 v35, v35, v46
	s_wait_alu 0xf1ff
	v_cndmask_b32_e64 v31, 0, v31, s4
	v_cmp_ngt_f32_e64 s4, 0xc2ce8ed0, v21
	s_delay_alu instid0(VALU_DEP_3) | instskip(NEXT) | instid1(VALU_DEP_2)
	v_exp_f32_e32 v35, v35
	v_cndmask_b32_e64 v23, 0x7f800000, v31, s5
	s_wait_alu 0xf1ff
	s_delay_alu instid0(VALU_DEP_2) | instskip(SKIP_3) | instid1(VALU_DEP_2)
	v_cndmask_b32_e64 v32, 0, v32, s4
	v_cmp_ngt_f32_e64 s4, 0xc2ce8ed0, v19
	v_cmp_nlt_f32_e64 s5, 0x42b17218, v21
	s_wait_alu 0xf1ff
	v_cndmask_b32_e64 v25, 0, v25, s4
	v_cmp_ngt_f32_e64 s4, 0xc2ce8ed0, v18
	s_delay_alu instid0(VALU_DEP_3)
	v_cndmask_b32_e64 v21, 0x7f800000, v32, s5
	v_cmp_nlt_f32_e64 s5, 0x42b17218, v19
	v_ldexp_f32 v33, v35, v36
	v_fma_f32 v35, 0x3fb8aa3b, v16, -v34
	v_rndne_f32_e32 v36, v34
	s_wait_alu 0xf1ff
	v_cndmask_b32_e64 v26, 0, v26, s4
	v_cmp_ngt_f32_e64 s4, 0xc2ce8ed0, v22
	v_cndmask_b32_e64 v19, 0x7f800000, v25, s5
	v_fmac_f32_e32 v35, 0x32a5705f, v16
	v_sub_f32_e32 v34, v34, v36
	v_add_f32_e32 v17, v17, v48
	s_wait_alu 0xf1ff
	v_cndmask_b32_e64 v33, 0, v33, s4
	v_cmp_ngt_f32_e64 s4, 0xc2ce8ed0, v27
	v_cmp_nlt_f32_e64 s5, 0x42b17218, v18
	v_cvt_i32_f32_e32 v25, v36
	v_exp_f32_e32 v17, v17
	s_wait_alu 0xf1ff
	s_delay_alu instid0(VALU_DEP_2) | instskip(SKIP_2) | instid1(VALU_DEP_1)
	v_cndmask_b32_e64 v18, 0x7f800000, v26, s5
	v_cmp_nlt_f32_e64 s5, 0x42b17218, v22
	s_wait_alu 0xf1ff
	v_cndmask_b32_e64 v22, 0x7f800000, v33, s5
	s_delay_alu instid0(TRANS32_DEP_1) | instskip(SKIP_1) | instid1(VALU_DEP_2)
	v_ldexp_f32 v17, v17, v38
	v_cmp_nlt_f32_e64 s5, 0x42b17218, v27
	v_cndmask_b32_e64 v17, 0, v17, s4
	v_cmp_nlt_f32_e64 s4, 0x42b17218, v24
	s_wait_alu 0xf1ff
	s_delay_alu instid0(VALU_DEP_2) | instskip(NEXT) | instid1(VALU_DEP_2)
	v_cndmask_b32_e64 v17, 0x7f800000, v17, s5
	v_cndmask_b32_e64 v24, 0x7f800000, v30, s4
	v_add_f32_e32 v30, v34, v35
	v_cmp_ngt_f32_e64 s5, 0xc2ce8ed0, v16
	s_delay_alu instid0(VALU_DEP_2) | instskip(NEXT) | instid1(TRANS32_DEP_1)
	v_exp_f32_e32 v30, v30
	v_ldexp_f32 v25, v30, v25
	s_wait_loadcnt 0x0
	v_cmp_gt_u32_e64 s4, s12, v50
	v_lshl_add_u32 v28, v50, 4, v126
	s_wait_alu 0xf1ff
	s_delay_alu instid0(VALU_DEP_2)
	v_cndmask_b32_e64 v26, 0, v21, s4
	v_cndmask_b32_e64 v21, 0, v25, s5
	v_cmp_nlt_f32_e64 s5, 0x42b17218, v16
	v_cndmask_b32_e64 v24, 0, v24, s4
	v_cndmask_b32_e64 v23, 0, v23, s4
	;; [unrolled: 1-line block ×4, first 2 shown]
	s_wait_alu 0xf1ff
	v_cndmask_b32_e64 v16, 0x7f800000, v21, s5
	v_cndmask_b32_e64 v21, 0, v17, s4
	;; [unrolled: 1-line block ×3, first 2 shown]
	s_clause 0x5
	scratch_store_b32 off, v24, off offset:100
	scratch_store_b32 off, v23, off offset:104
	;; [unrolled: 1-line block ×6, first 2 shown]
	v_cvt_f16_f32_e32 v17, v26
	v_cndmask_b32_e64 v26, 0, v16, s4
	v_cvt_f16_f32_e32 v19, v24
	scratch_store_b32 off, v21, off offset:124 ; 4-byte Folded Spill
	v_cvt_f16_f32_e32 v24, v21
	v_ashrrev_i32_e32 v21, 31, v20
	v_cvt_f16_f32_e32 v22, v23
	v_cvt_f16_f32_e32 v16, v18
	;; [unrolled: 1-line block ×5, first 2 shown]
	v_lshlrev_b64_e32 v[54:55], 2, v[20:21]
	s_wait_alu 0xfffe
	s_lshl_b64 s[4:5], s[8:9], 2
	v_pack_b32_f16 v18, v16, v18
	v_pack_b32_f16 v17, v17, v23
	;; [unrolled: 1-line block ×4, first 2 shown]
	s_wait_alu 0xfffe
	s_add_nc_u64 s[8:9], s[44:45], s[4:5]
	scratch_store_b32 off, v26, off offset:128 ; 4-byte Folded Spill
	s_wait_storecnt 0x0
	global_inv scope:SCOPE_SE
	ds_store_b128 v28, v[16:19]
	s_and_saveexec_b32 s5, vcc_lo
	s_cbranch_execz .LBB52_113
; %bb.112:
	s_wait_alu 0xfffe
	v_add_co_u32 v16, s4, s8, v54
	s_wait_alu 0xf1ff
	v_add_co_ci_u32_e64 v17, null, s9, v55, s4
	s_delay_alu instid0(VALU_DEP_2) | instskip(SKIP_1) | instid1(VALU_DEP_2)
	v_add_co_u32 v18, s4, v16, v113
	s_wait_alu 0xf1ff
	v_add_co_ci_u32_e64 v17, null, 0, v17, s4
	v_mov_b32_e32 v16, 0
	s_delay_alu instid0(VALU_DEP_3) | instskip(SKIP_1) | instid1(VALU_DEP_3)
	v_add_co_u32 v19, s4, 0x80, v18
	s_wait_alu 0xf1ff
	v_add_co_ci_u32_e64 v20, null, 0, v17, s4
	s_delay_alu instid0(VALU_DEP_3) | instskip(NEXT) | instid1(VALU_DEP_3)
	v_dual_mov_b32 v17, v16 :: v_dual_mov_b32 v18, v16
	v_cndmask_b32_e64 v19, 0, v19, s3
	s_delay_alu instid0(VALU_DEP_3)
	v_cndmask_b32_e64 v20, s7, v20, s3
	s_clause 0x1
	scratch_store_b32 off, v16, off
	scratch_store_b96 off, v[16:18], off offset:4
	flat_load_b128 v[16:19], v[19:20]
	s_wait_loadcnt_dscnt 0x0
	ds_store_b128 v53, v[16:19]
.LBB52_113:
	s_wait_alu 0xfffe
	s_or_b32 exec_lo, exec_lo, s5
	v_lshl_add_u32 v19, v139, 2, v146
	v_lshlrev_b32_e32 v20, 2, v145
	s_mov_b64 s[4:5], src_private_base
	s_delay_alu instid0(VALU_DEP_2) | instskip(SKIP_4) | instid1(VALU_DEP_1)
	v_mul_lo_u32 v16, s42, v19
	v_mul_u32_u24_e32 v18, 0xc0, v19
	scratch_store_b32 off, v19, off offset:164 ; 4-byte Folded Spill
	v_cmp_gt_u32_e64 s3, 16, v19
	v_ashrrev_i32_e32 v17, 31, v16
	v_lshlrev_b64_e32 v[16:17], 2, v[16:17]
	s_clause 0x1
	scratch_store_b64 off, v[16:17], off offset:176
	scratch_store_b32 off, v20, off offset:172
	v_add3_u32 v16, v18, v20, 0x4000
	scratch_store_b32 off, v16, off offset:168 ; 4-byte Folded Spill
	s_and_saveexec_b32 s6, s3
	s_cbranch_execz .LBB52_115
; %bb.114:
	s_clause 0x1
	scratch_load_b64 v[17:18], off, off offset:176
	scratch_load_b32 v19, off, off offset:172
	v_mov_b32_e32 v16, 0
	s_wait_loadcnt 0x1
	v_add_co_u32 v17, s4, s8, v17
	s_wait_alu 0xf1fe
	v_add_co_ci_u32_e64 v18, null, s9, v18, s4
	s_wait_loadcnt 0x0
	s_delay_alu instid0(VALU_DEP_2)
	v_add_co_u32 v19, s4, v17, v19
	scratch_load_b32 v17, off, off offset:164 ; 4-byte Folded Reload
	s_wait_alu 0xf1ff
	v_add_co_ci_u32_e64 v20, null, 0, v18, s4
	v_mov_b32_e32 v18, v16
	s_wait_loadcnt 0x0
	v_cmp_gt_i32_e64 s4, s12, v17
	v_mov_b32_e32 v17, v16
	s_clause 0x1
	scratch_store_b32 off, v16, off
	scratch_store_b96 off, v[16:18], off offset:4
	s_wait_alu 0xf1ff
	v_cndmask_b32_e64 v20, s5, v20, s4
	v_cndmask_b32_e64 v19, 0, v19, s4
	flat_load_b128 v[16:19], v[19:20]
	scratch_load_b32 v20, off, off offset:168 ; 4-byte Folded Reload
	s_wait_loadcnt_dscnt 0x0
	ds_store_b128 v20, v[16:19]
.LBB52_115:
	s_wait_alu 0xfffe
	s_or_b32 exec_lo, exec_lo, s6
	v_dual_sub_f32 v0, v0, v8 :: v_dual_sub_f32 v1, v1, v9
	v_sub_f32_e32 v2, v2, v10
	s_or_b32 s8, s46, 16
	s_add_co_i32 s12, s12, -16
	s_delay_alu instid0(VALU_DEP_2)
	v_dual_mul_f32 v16, 0x3fb8aa3b, v0 :: v_dual_sub_f32 v3, v3, v11
	v_mul_f32_e32 v17, 0x3fb8aa3b, v1
	v_cmp_ngt_f32_e64 s4, 0xc2ce8ed0, v0
	s_wait_alu 0xfffe
	s_ashr_i32 s9, s8, 31
	v_rndne_f32_e32 v20, v16
	v_fma_f32 v19, 0x3fb8aa3b, v0, -v16
	v_fma_f32 v21, 0x3fb8aa3b, v1, -v17
	v_rndne_f32_e32 v22, v17
	s_wait_alu 0xfffe
	s_mul_u64 s[8:9], s[8:9], s[42:43]
	v_sub_f32_e32 v16, v16, v20
	v_dual_sub_f32 v4, v4, v12 :: v_dual_fmac_f32 v21, 0x32a5705f, v1
	v_sub_f32_e32 v17, v17, v22
	v_mul_f32_e32 v18, 0x3fb8aa3b, v2
	v_cvt_i32_f32_e32 v20, v20
	v_cvt_i32_f32_e32 v22, v22
	s_wait_alu 0xfffe
	s_lshl_b64 s[8:9], s[8:9], 2
	v_add_f32_e32 v17, v17, v21
	v_fma_f32 v23, 0x3fb8aa3b, v2, -v18
	v_rndne_f32_e32 v24, v18
	s_wait_alu 0xfffe
	s_add_nc_u64 s[8:9], s[44:45], s[8:9]
	v_mul_f32_e32 v21, 0x3fb8aa3b, v4
	v_exp_f32_e32 v17, v17
	v_dual_fmac_f32 v23, 0x32a5705f, v2 :: v_dual_sub_f32 v18, v18, v24
	v_fmac_f32_e32 v19, 0x32a5705f, v0
	v_cvt_i32_f32_e32 v24, v24
	v_dual_sub_f32 v6, v6, v14 :: v_dual_sub_f32 v5, v5, v13
	s_delay_alu instid0(VALU_DEP_4) | instskip(NEXT) | instid1(VALU_DEP_4)
	v_add_f32_e32 v18, v18, v23
	v_add_f32_e32 v16, v16, v19
	v_mul_f32_e32 v19, 0x3fb8aa3b, v3
	s_delay_alu instid0(TRANS32_DEP_1) | instskip(NEXT) | instid1(VALU_DEP_4)
	v_ldexp_f32 v17, v17, v22
	v_exp_f32_e32 v18, v18
	s_delay_alu instid0(VALU_DEP_3) | instskip(NEXT) | instid1(VALU_DEP_2)
	v_exp_f32_e32 v16, v16
	v_fma_f32 v23, 0x3fb8aa3b, v3, -v19
	v_rndne_f32_e32 v25, v19
	s_delay_alu instid0(TRANS32_DEP_2) | instskip(NEXT) | instid1(TRANS32_DEP_1)
	v_ldexp_f32 v18, v18, v24
	v_ldexp_f32 v16, v16, v20
	s_delay_alu instid0(VALU_DEP_1) | instskip(SKIP_2) | instid1(VALU_DEP_1)
	v_cndmask_b32_e64 v16, 0, v16, s4
	v_cmp_ngt_f32_e64 s4, 0xc2ce8ed0, v1
	s_wait_alu 0xf1ff
	v_cndmask_b32_e64 v17, 0, v17, s4
	v_cmp_nlt_f32_e64 s4, 0x42b17218, v0
	s_wait_alu 0xf1ff
	s_delay_alu instid0(VALU_DEP_1) | instskip(SKIP_2) | instid1(VALU_DEP_1)
	v_cndmask_b32_e64 v16, 0x7f800000, v16, s4
	v_cmp_nlt_f32_e64 s4, 0x42b17218, v1
	s_wait_alu 0xf1ff
	v_cndmask_b32_e64 v17, 0x7f800000, v17, s4
	v_cmp_ngt_f32_e64 s4, 0xc2ce8ed0, v2
	scratch_store_b32 off, v16, off offset:132 ; 4-byte Folded Spill
	v_cvt_f16_f32_e32 v16, v16
	v_sub_f32_e32 v19, v19, v25
	s_wait_alu 0xf1ff
	v_cndmask_b32_e64 v1, 0, v18, s4
	v_cmp_nlt_f32_e64 s4, 0x42b17218, v2
	v_fma_f32 v2, 0x3fb8aa3b, v4, -v21
	v_fmac_f32_e32 v23, 0x32a5705f, v3
	v_and_b32_e32 v40, 0xffff, v16
	v_rndne_f32_e32 v16, v21
	s_wait_alu 0xf1ff
	v_cndmask_b32_e64 v18, 0x7f800000, v1, s4
	scratch_store_b32 off, v17, off offset:136 ; 4-byte Folded Spill
	v_cvt_f16_f32_e32 v17, v17
	v_fmac_f32_e32 v2, 0x32a5705f, v4
	v_add_f32_e32 v0, v19, v23
	v_cvt_i32_f32_e32 v1, v25
	v_cmp_ngt_f32_e64 s4, 0xc2ce8ed0, v3
	v_and_b32_e32 v41, 0xffff, v17
	v_cvt_f16_f32_e32 v17, v18
	v_exp_f32_e32 v0, v0
	s_delay_alu instid0(VALU_DEP_1) | instskip(NEXT) | instid1(TRANS32_DEP_1)
	v_and_b32_e32 v46, 0xffff, v17
	v_ldexp_f32 v0, v0, v1
	v_sub_f32_e32 v1, v21, v16
	v_cvt_i32_f32_e32 v16, v16
	s_wait_alu 0xf1ff
	s_delay_alu instid0(VALU_DEP_3) | instskip(SKIP_2) | instid1(VALU_DEP_1)
	v_cndmask_b32_e64 v0, 0, v0, s4
	v_cmp_nlt_f32_e64 s4, 0x42b17218, v3
	s_wait_alu 0xf1ff
	v_cndmask_b32_e64 v23, 0x7f800000, v0, s4
	scratch_store_b32 off, v18, off offset:140 ; 4-byte Folded Spill
	v_mul_f32_e32 v0, 0x3fb8aa3b, v6
	v_add_f32_e32 v1, v1, v2
	v_cmp_ngt_f32_e64 s4, 0xc2ce8ed0, v4
	scratch_store_b32 off, v23, off offset:144 ; 4-byte Folded Spill
	s_wait_storecnt 0x0
	s_wait_loadcnt_dscnt 0x0
	s_barrier_signal -1
	s_barrier_wait -1
	global_inv scope:SCOPE_SE
	scratch_load_b32 v44, off, off offset:16 ; 4-byte Folded Reload
	v_fma_f32 v19, 0x3fb8aa3b, v6, -v0
	v_rndne_f32_e32 v20, v0
	v_mul_f32_e32 v17, 0x3fb8aa3b, v5
	s_delay_alu instid0(VALU_DEP_2) | instskip(NEXT) | instid1(VALU_DEP_2)
	v_dual_fmac_f32 v19, 0x32a5705f, v6 :: v_dual_sub_f32 v0, v0, v20
	v_fma_f32 v2, 0x3fb8aa3b, v5, -v17
	v_rndne_f32_e32 v18, v17
	s_delay_alu instid0(VALU_DEP_3) | instskip(NEXT) | instid1(VALU_DEP_2)
	v_add_f32_e32 v0, v0, v19
	v_dual_fmac_f32 v2, 0x32a5705f, v5 :: v_dual_sub_f32 v17, v17, v18
	v_sub_f32_e32 v7, v7, v15
	v_exp_f32_e32 v1, v1
	s_delay_alu instid0(VALU_DEP_3) | instskip(NEXT) | instid1(VALU_DEP_1)
	v_exp_f32_e32 v0, v0
	v_dual_add_f32 v2, v17, v2 :: v_dual_mul_f32 v3, 0x3fb8aa3b, v7
	v_cvt_f16_f32_e32 v17, v23
	s_delay_alu instid0(VALU_DEP_2) | instskip(NEXT) | instid1(VALU_DEP_2)
	v_exp_f32_e32 v2, v2
	v_fma_f32 v21, 0x3fb8aa3b, v7, -v3
	v_rndne_f32_e32 v22, v3
	s_delay_alu instid0(TRANS32_DEP_3)
	v_ldexp_f32 v1, v1, v16
	v_and_b32_e32 v56, 0xffff, v17
	v_cvt_i32_f32_e32 v16, v18
	v_fmac_f32_e32 v21, 0x32a5705f, v7
	v_sub_f32_e32 v3, v3, v22
	s_wait_alu 0xf1ff
	v_cndmask_b32_e64 v1, 0, v1, s4
	v_cmp_nlt_f32_e64 s4, 0x42b17218, v4
	v_cvt_i32_f32_e32 v17, v20
	v_ldexp_f32 v2, v2, v16
	v_add_f32_e32 v3, v3, v21
	v_cvt_i32_f32_e32 v18, v22
	s_wait_alu 0xf1ff
	v_cndmask_b32_e64 v19, 0x7f800000, v1, s4
	v_cmp_ngt_f32_e64 s4, 0xc2ce8ed0, v5
	v_ldexp_f32 v0, v0, v17
	s_wait_alu 0xf1ff
	s_delay_alu instid0(VALU_DEP_2) | instskip(SKIP_2) | instid1(VALU_DEP_1)
	v_cndmask_b32_e64 v4, 0, v2, s4
	v_cmp_ngt_f32_e64 s4, 0xc2ce8ed0, v6
	s_wait_alu 0xf1ff
	v_cndmask_b32_e64 v16, 0, v0, s4
	v_cmp_ngt_f32_e64 s4, 0xc2ce8ed0, v7
	s_wait_loadcnt 0x0
	v_add_nc_u32_e32 v36, 0x4000, v44
	v_exp_f32_e32 v3, v3
	v_add_nc_u32_e32 v42, 0x4400, v44
	s_delay_alu instid0(TRANS32_DEP_1) | instskip(SKIP_1) | instid1(VALU_DEP_1)
	v_ldexp_f32 v1, v3, v18
	s_wait_alu 0xf1ff
	v_cndmask_b32_e64 v17, 0, v1, s4
	v_cmp_nlt_f32_e64 s4, 0x42b17218, v5
	ds_load_b128 v[0:3], v126
	s_wait_alu 0xf1ff
	v_cndmask_b32_e64 v5, 0x7f800000, v4, s4
	v_cmp_nlt_f32_e64 s4, 0x42b17218, v6
	scratch_store_b32 off, v19, off offset:148 ; 4-byte Folded Spill
	v_cvt_f16_f32_e32 v4, v19
	s_wait_alu 0xf1ff
	v_cndmask_b32_e64 v6, 0x7f800000, v16, s4
	v_cmp_nlt_f32_e64 s4, 0x42b17218, v7
	scratch_store_b32 off, v5, off offset:152 ; 4-byte Folded Spill
	v_cvt_f16_f32_e32 v5, v5
	v_and_b32_e32 v66, 0xffff, v4
	s_wait_alu 0xf1ff
	v_cndmask_b32_e64 v7, 0x7f800000, v17, s4
	scratch_store_b32 off, v6, off offset:156 ; 4-byte Folded Spill
	v_cvt_f16_f32_e32 v6, v6
	ds_load_b128 v[16:19], v126 offset:16
	v_and_b32_e32 v67, 0xffff, v5
	scratch_store_b32 off, v7, off offset:160 ; 4-byte Folded Spill
	v_cvt_f16_f32_e32 v7, v7
	v_and_b32_e32 v68, 0xffff, v6
	s_wait_dscnt 0x1
	v_lshrrev_b32_e32 v86, 16, v0
	v_lshrrev_b32_e32 v84, 16, v1
	;; [unrolled: 1-line block ×3, first 2 shown]
	v_and_b32_e32 v81, 0xffff, v7
	ds_load_2addr_b64 v[4:7], v36 offset1:24
	ds_load_b128 v[20:23], v126 offset:32
	ds_load_b128 v[24:27], v126 offset:48
	v_lshrrev_b32_e32 v57, 16, v3
	v_and_b32_e32 v94, 0xffff, v0
	v_and_b32_e32 v92, 0xffff, v1
	;; [unrolled: 1-line block ×4, first 2 shown]
	ds_load_2addr_b64 v[0:3], v36 offset0:48 offset1:72
	ds_load_b128 v[28:31], v126 offset:64
	s_wait_dscnt 0x5
	v_lshrrev_b32_e32 v87, 16, v16
	v_lshrrev_b32_e32 v85, 16, v17
	;; [unrolled: 1-line block ×4, first 2 shown]
	v_and_b32_e32 v95, 0xffff, v16
	v_and_b32_e32 v93, 0xffff, v17
	;; [unrolled: 1-line block ×4, first 2 shown]
	s_wait_dscnt 0x3
	v_lshrrev_b32_e32 v99, 16, v20
	v_lshrrev_b32_e32 v98, 16, v21
	v_lshrrev_b32_e32 v97, 16, v22
	v_lshrrev_b32_e32 v96, 16, v23
	v_and_b32_e32 v103, 0xffff, v20
	v_and_b32_e32 v102, 0xffff, v21
	v_and_b32_e32 v101, 0xffff, v22
	v_and_b32_e32 v100, 0xffff, v23
	ds_load_b128 v[20:23], v126 offset:80
	s_wait_dscnt 0x3
	v_lshrrev_b32_e32 v108, 16, v24
	v_lshrrev_b32_e32 v107, 16, v25
	v_lshrrev_b32_e32 v106, 16, v26
	v_lshrrev_b32_e32 v105, 16, v27
	v_and_b32_e32 v112, 0xffff, v24
	v_and_b32_e32 v111, 0xffff, v25
	v_and_b32_e32 v110, 0xffff, v26
	v_and_b32_e32 v109, 0xffff, v27
	ds_load_2addr_b64 v[16:19], v36 offset0:96 offset1:120
	ds_load_b128 v[32:35], v126 offset:96
	s_wait_dscnt 0x3
	v_lshrrev_b32_e32 v146, 16, v28
	v_lshrrev_b32_e32 v145, 16, v29
	v_lshrrev_b32_e32 v144, 16, v30
	v_lshrrev_b32_e32 v139, 16, v31
	v_and_b32_e32 v158, 0xffff, v28
	v_and_b32_e32 v149, 0xffff, v29
	v_and_b32_e32 v148, 0xffff, v30
	v_and_b32_e32 v147, 0xffff, v31
	ds_load_b128 v[28:31], v126 offset:112
	s_wait_dscnt 0x3
	v_lshrrev_b32_e32 v162, 16, v20
	v_lshrrev_b32_e32 v161, 16, v21
	v_lshrrev_b32_e32 v160, 16, v22
	v_lshrrev_b32_e32 v159, 16, v23
	v_and_b32_e32 v166, 0xffff, v20
	v_and_b32_e32 v165, 0xffff, v21
	v_and_b32_e32 v164, 0xffff, v22
	v_and_b32_e32 v163, 0xffff, v23
	ds_load_2addr_b64 v[24:27], v36 offset0:144 offset1:168
	ds_load_b128 v[20:23], v126 offset:128
	;; [unrolled: 21-line block ×3, first 2 shown]
	ds_load_b128 v[47:50], v126 offset:192
	s_wait_dscnt 0x4
	v_lshrrev_b32_e32 v80, 16, v20
	v_lshrrev_b32_e32 v79, 16, v21
	;; [unrolled: 1-line block ×4, first 2 shown]
	v_and_b32_e32 v190, 0xffff, v20
	v_and_b32_e32 v189, 0xffff, v21
	;; [unrolled: 1-line block ×4, first 2 shown]
	ds_load_b128 v[20:23], v126 offset:176
	s_wait_dscnt 0x4
	v_lshrrev_b32_e32 v194, 16, v32
	v_lshrrev_b32_e32 v193, 16, v33
	;; [unrolled: 1-line block ×4, first 2 shown]
	v_and_b32_e32 v199, 0xffff, v32
	v_and_b32_e32 v198, 0xffff, v33
	;; [unrolled: 1-line block ×4, first 2 shown]
	ds_load_2addr_b64 v[32:35], v42 offset0:112 offset1:136
	s_wait_dscnt 0x3
	v_lshrrev_b32_e32 v195, 16, v36
	v_lshrrev_b32_e32 v210, 16, v37
	;; [unrolled: 1-line block ×4, first 2 shown]
	v_and_b32_e32 v223, 0xffff, v36
	v_and_b32_e32 v222, 0xffff, v37
	;; [unrolled: 1-line block ×4, first 2 shown]
	ds_load_b128 v[69:72], v126 offset:208
	s_wait_dscnt 0x3
	v_lshrrev_b32_e32 v250, 16, v47
	s_wait_dscnt 0x2
	v_lshrrev_b32_e32 v219, 16, v20
	v_and_b32_e32 v237, 0xffff, v20
	v_add_nc_u32_e32 v20, 0x4800, v44
	ds_load_b128 v[178:181], v126 offset:224
	ds_load_2addr_b64 v[36:39], v20 offset0:32 offset1:56
	ds_load_b128 v[182:185], v126 offset:240
	v_lshrrev_b32_e32 v234, 16, v21
	v_lshrrev_b32_e32 v225, 16, v22
	;; [unrolled: 1-line block ×3, first 2 shown]
	v_and_b32_e32 v238, 0xffff, v21
	v_and_b32_e32 v236, 0xffff, v22
	;; [unrolled: 1-line block ×3, first 2 shown]
	ds_load_2addr_b64 v[20:23], v20 offset0:80 offset1:104
	v_lshrrev_b32_e32 v249, 16, v48
	v_lshrrev_b32_e32 v248, 16, v49
	v_lshrrev_b32_e32 v247, 16, v50
	v_and_b32_e32 v117, 0xffff, v47
	v_and_b32_e32 v116, 0xffff, v48
	v_and_b32_e32 v51, 0xffff, v49
	v_and_b32_e32 v49, 0xffff, v50
	s_wait_dscnt 0x4
	v_lshrrev_b32_e32 v59, 16, v69
	v_lshrrev_b32_e32 v45, 16, v70
	v_lshrrev_b32_e32 v120, 16, v71
	v_lshrrev_b32_e32 v118, 16, v72
	v_and_b32_e32 v63, 0xffff, v69
	v_and_b32_e32 v61, 0xffff, v70
	v_and_b32_e32 v71, 0xffff, v71
	v_and_b32_e32 v50, 0xffff, v72
	s_wait_dscnt 0x3
	v_lshrrev_b32_e32 v48, 16, v178
	;; [unrolled: 9-line block ×3, first 2 shown]
	v_lshrrev_b32_e32 v47, 16, v183
	v_lshrrev_b32_e32 v122, 16, v184
	;; [unrolled: 1-line block ×3, first 2 shown]
	v_and_b32_e32 v72, 0xffff, v182
	v_and_b32_e32 v42, 0xffff, v183
	;; [unrolled: 1-line block ×4, first 2 shown]
	s_wait_storecnt_dscnt 0x0
	s_barrier_signal -1
	s_barrier_wait -1
	global_inv scope:SCOPE_SE
	s_and_saveexec_b32 s4, vcc_lo
	s_cbranch_execz .LBB52_117
; %bb.116:
	s_wait_alu 0xfffe
	v_add_co_u32 v54, vcc_lo, s8, v54
	s_wait_alu 0xfffd
	v_add_co_ci_u32_e64 v55, null, s9, v55, vcc_lo
	s_delay_alu instid0(VALU_DEP_2) | instskip(SKIP_1) | instid1(VALU_DEP_2)
	v_add_co_u32 v54, vcc_lo, v54, v113
	s_wait_alu 0xfffd
	v_add_co_ci_u32_e64 v55, null, 0, v55, vcc_lo
	s_delay_alu instid0(VALU_DEP_2) | instskip(SKIP_1) | instid1(VALU_DEP_2)
	v_add_co_u32 v54, vcc_lo, 0x80, v54
	s_wait_alu 0xfffd
	v_add_co_ci_u32_e64 v55, null, 0, v55, vcc_lo
	v_cmp_gt_i32_e32 vcc_lo, s12, v52
	s_wait_alu 0xfffd
	v_dual_mov_b32 v113, 0 :: v_dual_cndmask_b32 v54, 0, v54
	s_delay_alu instid0(VALU_DEP_1)
	v_dual_mov_b32 v114, v113 :: v_dual_mov_b32 v115, v113
	v_cndmask_b32_e32 v55, s7, v55, vcc_lo
	s_clause 0x1
	scratch_store_b32 off, v113, off
	scratch_store_b96 off, v[113:115], off offset:4
	flat_load_b128 v[181:184], v[54:55]
	s_wait_loadcnt_dscnt 0x0
	ds_store_b128 v53, v[181:184]
.LBB52_117:
	s_wait_alu 0xfffe
	s_or_b32 exec_lo, exec_lo, s4
	v_mul_u32_u24_e32 v186, 0x10001, v40
	v_mul_u32_u24_e32 v185, 0x10001, v41
	;; [unrolled: 1-line block ×136, first 2 shown]
	s_and_saveexec_b32 s4, s3
	s_cbranch_execz .LBB52_119
; %bb.118:
	s_clause 0x1
	scratch_load_b64 v[48:49], off, off offset:176 th:TH_LOAD_LU
	scratch_load_b32 v50, off, off offset:172 th:TH_LOAD_LU
	s_wait_loadcnt 0x1
	v_add_co_u32 v48, vcc_lo, s8, v48
	s_wait_alu 0xfffd
	v_add_co_ci_u32_e64 v49, null, s9, v49, vcc_lo
	s_wait_loadcnt 0x0
	s_delay_alu instid0(VALU_DEP_2)
	v_add_co_u32 v50, vcc_lo, v48, v50
	scratch_load_b32 v48, off, off offset:164 th:TH_LOAD_LU ; 4-byte Folded Reload
	s_wait_alu 0xfffd
	v_add_co_ci_u32_e64 v51, null, 0, v49, vcc_lo
	s_wait_loadcnt 0x0
	v_cmp_gt_i32_e32 vcc_lo, s12, v48
	s_wait_alu 0xfffd
	v_dual_mov_b32 v47, 0 :: v_dual_cndmask_b32 v50, 0, v50
	s_delay_alu instid0(VALU_DEP_1)
	v_dual_mov_b32 v48, v47 :: v_dual_mov_b32 v49, v47
	v_cndmask_b32_e32 v51, s5, v51, vcc_lo
	s_clause 0x1
	scratch_store_b32 off, v47, off
	scratch_store_b96 off, v[47:49], off offset:4
	flat_load_b128 v[47:50], v[50:51]
	scratch_load_b32 v51, off, off offset:168 th:TH_LOAD_LU ; 4-byte Folded Reload
	s_wait_loadcnt_dscnt 0x0
	ds_store_b128 v51, v[47:50]
.LBB52_119:
	s_wait_alu 0xfffe
	s_or_b32 exec_lo, exec_lo, s4
	v_pk_mul_f16 v47, v142, v186
	v_pk_mul_f16 v48, v143, v186
	;; [unrolled: 1-line block ×16, first 2 shown]
	v_pk_fma_f16 v47, v4, v66, v47
	v_pk_fma_f16 v49, v4, v67, v49
	;; [unrolled: 1-line block ×244, first 2 shown]
	s_wait_storecnt 0x0
	s_wait_loadcnt_dscnt 0x0
	s_barrier_signal -1
	s_barrier_wait -1
	global_inv scope:SCOPE_SE
	ds_load_b128 v[0:3], v126 offset:256
	s_clause 0x1
	scratch_load_b32 v50, off, off offset:100 th:TH_LOAD_LU
	scratch_load_b32 v4, off, off offset:132 th:TH_LOAD_LU
	v_pk_fma_f16 v32, v22, v44, v19
	v_pk_fma_f16 v40, v23, v44, v18
	;; [unrolled: 1-line block ×12, first 2 shown]
	s_wait_dscnt 0x0
	v_lshrrev_b32_e32 v45, 16, v0
	v_lshrrev_b32_e32 v46, 16, v1
	;; [unrolled: 1-line block ×4, first 2 shown]
	v_and_b32_e32 v1, 0xffff, v1
	v_mul_u32_u24_e32 v45, 0x10001, v45
	v_mul_u32_u24_e32 v46, 0x10001, v46
	;; [unrolled: 1-line block ×5, first 2 shown]
	v_and_b32_e32 v3, 0xffff, v3
	v_and_b32_e32 v2, 0xffff, v2
	s_delay_alu instid0(VALU_DEP_2) | instskip(NEXT) | instid1(VALU_DEP_2)
	v_mul_u32_u24_e32 v3, 0x10001, v3
	v_mul_u32_u24_e32 v2, 0x10001, v2
	s_wait_loadcnt 0x0
	v_fmac_f32_e32 v50, v157, v4
	s_clause 0x1
	scratch_load_b32 v51, off, off offset:104 th:TH_LOAD_LU
	scratch_load_b32 v4, off, off offset:136 th:TH_LOAD_LU
	v_mov_b32_e32 v157, v50
	s_wait_loadcnt 0x0
	v_fmac_f32_e32 v51, v156, v4
	s_clause 0x1
	scratch_load_b32 v52, off, off offset:108 th:TH_LOAD_LU
	scratch_load_b32 v4, off, off offset:140 th:TH_LOAD_LU
	s_wait_loadcnt 0x0
	v_fmac_f32_e32 v52, v155, v4
	s_clause 0x2
	scratch_load_b32 v53, off, off offset:112 th:TH_LOAD_LU
	scratch_load_b32 v4, off, off offset:144 th:TH_LOAD_LU
	;; [unrolled: 1-line block ×3, first 2 shown]
	v_mov_b32_e32 v155, v52
	s_wait_loadcnt 0x1
	v_fmac_f32_e32 v53, v154, v4
	s_clause 0x1
	scratch_load_b32 v54, off, off offset:116 th:TH_LOAD_LU
	scratch_load_b32 v4, off, off offset:148 th:TH_LOAD_LU
	s_wait_loadcnt 0x2
	v_add_nc_u32_e32 v44, 0x4000, v49
	v_mov_b32_e32 v156, v51
	v_mov_b32_e32 v154, v53
	s_wait_loadcnt 0x0
	v_fmac_f32_e32 v54, v153, v4
	s_clause 0x1
	scratch_load_b32 v55, off, off offset:120 th:TH_LOAD_LU
	scratch_load_b32 v4, off, off offset:152 th:TH_LOAD_LU
	s_wait_loadcnt 0x0
	v_fmac_f32_e32 v55, v152, v4
	s_clause 0x1
	scratch_load_b32 v56, off, off offset:124 th:TH_LOAD_LU
	scratch_load_b32 v4, off, off offset:156 th:TH_LOAD_LU
	;; [unrolled: 5-line block ×3, first 2 shown]
	s_wait_loadcnt 0x0
	v_fmac_f32_e32 v57, v151, v4
	ds_load_2addr_b64 v[4:7], v44 offset1:24
	ds_load_b128 v[16:19], v126 offset:272
	ds_load_b128 v[20:23], v126 offset:288
	;; [unrolled: 1-line block ×3, first 2 shown]
	v_and_b32_e32 v0, 0xffff, v0
	s_delay_alu instid0(VALU_DEP_1) | instskip(SKIP_1) | instid1(VALU_DEP_1)
	v_mul_u32_u24_e32 v0, 0x10001, v0
	s_wait_dscnt 0x3
	v_pk_fma_f16 v28, v4, v0, v28
	v_pk_fma_f16 v29, v4, v45, v29
	;; [unrolled: 1-line block ×15, first 2 shown]
	s_wait_dscnt 0x2
	v_lshrrev_b32_e32 v3, 16, v16
	v_lshrrev_b32_e32 v39, 16, v17
	;; [unrolled: 1-line block ×4, first 2 shown]
	v_and_b32_e32 v17, 0xffff, v17
	v_dual_mov_b32 v153, v54 :: v_dual_and_b32 v16, 0xffff, v16
	v_and_b32_e32 v18, 0xffff, v18
	v_and_b32_e32 v19, 0xffff, v19
	v_mul_u32_u24_e32 v3, 0x10001, v3
	s_delay_alu instid0(VALU_DEP_4)
	v_mul_u32_u24_e32 v16, 0x10001, v16
	v_mul_u32_u24_e32 v17, 0x10001, v17
	;; [unrolled: 1-line block ×7, first 2 shown]
	v_pk_fma_f16 v28, v6, v16, v28
	v_pk_fma_f16 v29, v6, v3, v29
	;; [unrolled: 1-line block ×12, first 2 shown]
	ds_load_2addr_b64 v[0:3], v44 offset0:48 offset1:72
	v_pk_fma_f16 v5, v5, v48, v43
	v_pk_fma_f16 v35, v7, v39, v36
	;; [unrolled: 1-line block ×4, first 2 shown]
	s_wait_dscnt 0x2
	v_lshrrev_b32_e32 v37, 16, v21
	v_pk_fma_f16 v5, v7, v41, v5
	v_lshrrev_b32_e32 v7, 16, v20
	v_and_b32_e32 v20, 0xffff, v20
	v_lshrrev_b32_e32 v38, 16, v22
	v_lshrrev_b32_e32 v39, 16, v23
	v_dual_mov_b32 v150, v56 :: v_dual_and_b32 v21, 0xffff, v21
	v_and_b32_e32 v22, 0xffff, v22
	v_dual_mov_b32 v152, v55 :: v_dual_and_b32 v23, 0xffff, v23
	v_mul_u32_u24_e32 v20, 0x10001, v20
	v_mul_u32_u24_e32 v7, 0x10001, v7
	;; [unrolled: 1-line block ×8, first 2 shown]
	s_wait_dscnt 0x0
	v_pk_fma_f16 v28, v0, v20, v28
	v_pk_fma_f16 v29, v0, v7, v29
	;; [unrolled: 1-line block ×16, first 2 shown]
	v_lshrrev_b32_e32 v4, 16, v24
	v_and_b32_e32 v5, 0xffff, v24
	v_lshrrev_b32_e32 v6, 16, v25
	v_lshrrev_b32_e32 v7, 16, v26
	v_and_b32_e32 v24, 0xffff, v25
	v_lshrrev_b32_e32 v19, 16, v27
	v_mul_u32_u24_e32 v25, 0x10001, v5
	v_and_b32_e32 v5, 0xffff, v26
	v_mul_u32_u24_e32 v26, 0x10001, v4
	v_and_b32_e32 v4, 0xffff, v27
	v_mul_u32_u24_e32 v27, 0x10001, v6
	v_mul_u32_u24_e32 v36, 0x10001, v7
	v_mul_u32_u24_e32 v35, 0x10001, v5
	v_mul_u32_u24_e32 v24, 0x10001, v24
	v_mul_u32_u24_e32 v37, 0x10001, v4
	ds_load_b128 v[4:7], v126 offset:320
	v_mul_u32_u24_e32 v38, 0x10001, v19
	v_pk_fma_f16 v28, v2, v25, v28
	v_pk_fma_f16 v29, v2, v26, v29
	;; [unrolled: 1-line block ×14, first 2 shown]
	ds_load_2addr_b64 v[16:19], v44 offset0:96 offset1:120
	v_pk_fma_f16 v23, v3, v37, v23
	v_pk_fma_f16 v27, v3, v38, v1
	ds_load_b128 v[0:3], v126 offset:336
	s_wait_dscnt 0x2
	v_lshrrev_b32_e32 v38, 16, v7
	v_and_b32_e32 v7, 0xffff, v7
	v_lshrrev_b32_e32 v35, 16, v4
	v_and_b32_e32 v4, 0xffff, v4
	v_lshrrev_b32_e32 v36, 16, v5
	v_lshrrev_b32_e32 v37, 16, v6
	v_and_b32_e32 v5, 0xffff, v5
	v_and_b32_e32 v6, 0xffff, v6
	v_mul_u32_u24_e32 v7, 0x10001, v7
	v_mul_u32_u24_e32 v4, 0x10001, v4
	v_mul_u32_u24_e32 v35, 0x10001, v35
	v_mul_u32_u24_e32 v5, 0x10001, v5
	v_mul_u32_u24_e32 v36, 0x10001, v36
	v_mul_u32_u24_e32 v6, 0x10001, v6
	v_mul_u32_u24_e32 v37, 0x10001, v37
	v_mul_u32_u24_e32 v38, 0x10001, v38
	s_wait_dscnt 0x1
	v_pk_fma_f16 v34, v16, v7, v34
	v_pk_fma_f16 v23, v17, v7, v23
	;; [unrolled: 1-line block ×3, first 2 shown]
	s_wait_dscnt 0x0
	v_lshrrev_b32_e32 v7, 16, v0
	v_and_b32_e32 v0, 0xffff, v0
	v_pk_fma_f16 v30, v16, v5, v30
	v_pk_fma_f16 v32, v16, v6, v32
	;; [unrolled: 1-line block ×9, first 2 shown]
	v_lshrrev_b32_e32 v24, 16, v1
	v_lshrrev_b32_e32 v25, 16, v2
	v_and_b32_e32 v1, 0xffff, v1
	v_mul_u32_u24_e32 v27, 0x10001, v0
	v_and_b32_e32 v0, 0xffff, v2
	v_and_b32_e32 v2, 0xffff, v3
	v_pk_fma_f16 v29, v16, v35, v29
	v_pk_fma_f16 v31, v16, v36, v31
	;; [unrolled: 1-line block ×3, first 2 shown]
	v_lshrrev_b32_e32 v26, 16, v3
	v_mul_u32_u24_e32 v35, 0x10001, v1
	v_mul_u32_u24_e32 v36, 0x10001, v0
	;; [unrolled: 1-line block ×3, first 2 shown]
	ds_load_b128 v[0:3], v126 offset:352
	v_pk_fma_f16 v16, v16, v38, v39
	v_mul_u32_u24_e32 v7, 0x10001, v7
	v_mul_u32_u24_e32 v24, 0x10001, v24
	;; [unrolled: 1-line block ×4, first 2 shown]
	v_pk_fma_f16 v28, v18, v27, v28
	v_pk_fma_f16 v29, v18, v7, v29
	;; [unrolled: 1-line block ×14, first 2 shown]
	ds_load_2addr_b64 v[4:7], v44 offset0:144 offset1:168
	v_pk_fma_f16 v23, v19, v37, v23
	v_pk_fma_f16 v25, v19, v26, v17
	ds_load_b128 v[16:19], v126 offset:368
	s_wait_dscnt 0x2
	v_lshrrev_b32_e32 v26, 16, v0
	v_and_b32_e32 v0, 0xffff, v0
	v_lshrrev_b32_e32 v36, 16, v1
	v_and_b32_e32 v1, 0xffff, v1
	v_lshrrev_b32_e32 v37, 16, v2
	v_lshrrev_b32_e32 v39, 16, v3
	v_mul_u32_u24_e32 v0, 0x10001, v0
	v_and_b32_e32 v2, 0xffff, v2
	v_mul_u32_u24_e32 v26, 0x10001, v26
	v_and_b32_e32 v3, 0xffff, v3
	v_mul_u32_u24_e32 v1, 0x10001, v1
	v_mul_u32_u24_e32 v36, 0x10001, v36
	;; [unrolled: 1-line block ×6, first 2 shown]
	s_wait_dscnt 0x1
	v_pk_fma_f16 v28, v4, v0, v28
	v_pk_fma_f16 v29, v4, v26, v29
	;; [unrolled: 1-line block ×6, first 2 shown]
	s_wait_dscnt 0x0
	v_lshrrev_b32_e32 v0, 16, v16
	v_and_b32_e32 v1, 0xffff, v16
	v_pk_fma_f16 v32, v4, v2, v32
	v_pk_fma_f16 v34, v4, v3, v34
	v_pk_fma_f16 v21, v5, v36, v21
	v_pk_fma_f16 v24, v5, v2, v24
	v_pk_fma_f16 v22, v5, v37, v22
	v_pk_fma_f16 v23, v5, v3, v23
	v_pk_fma_f16 v5, v5, v39, v25
	v_lshrrev_b32_e32 v2, 16, v17
	v_lshrrev_b32_e32 v3, 16, v18
	v_mul_u32_u24_e32 v25, 0x10001, v1
	v_and_b32_e32 v1, 0xffff, v18
	v_mul_u32_u24_e32 v18, 0x10001, v0
	v_and_b32_e32 v0, 0xffff, v19
	v_pk_fma_f16 v31, v4, v36, v31
	v_pk_fma_f16 v33, v4, v37, v33
	v_lshrrev_b32_e32 v16, 16, v19
	v_and_b32_e32 v17, 0xffff, v17
	v_mul_u32_u24_e32 v19, 0x10001, v2
	v_mul_u32_u24_e32 v35, 0x10001, v1
	;; [unrolled: 1-line block ×4, first 2 shown]
	ds_load_b128 v[0:3], v126 offset:384
	v_pk_fma_f16 v4, v4, v39, v38
	v_mul_u32_u24_e32 v17, 0x10001, v17
	v_mul_u32_u24_e32 v38, 0x10001, v16
	v_pk_fma_f16 v28, v6, v25, v28
	v_pk_fma_f16 v29, v6, v18, v29
	;; [unrolled: 1-line block ×14, first 2 shown]
	ds_load_2addr_b64 v[16:19], v44 offset0:192 offset1:216
	v_pk_fma_f16 v23, v7, v37, v23
	v_pk_fma_f16 v27, v7, v38, v5
	ds_load_b128 v[4:7], v126 offset:400
	s_wait_dscnt 0x2
	v_lshrrev_b32_e32 v35, 16, v0
	v_and_b32_e32 v0, 0xffff, v0
	v_lshrrev_b32_e32 v36, 16, v1
	v_and_b32_e32 v1, 0xffff, v1
	v_lshrrev_b32_e32 v37, 16, v2
	v_lshrrev_b32_e32 v38, 16, v3
	v_mul_u32_u24_e32 v0, 0x10001, v0
	v_and_b32_e32 v2, 0xffff, v2
	v_and_b32_e32 v3, 0xffff, v3
	v_mul_u32_u24_e32 v1, 0x10001, v1
	v_mul_u32_u24_e32 v35, 0x10001, v35
	;; [unrolled: 1-line block ×7, first 2 shown]
	s_wait_dscnt 0x1
	v_pk_fma_f16 v28, v16, v0, v28
	v_pk_fma_f16 v30, v16, v1, v30
	;; [unrolled: 1-line block ×4, first 2 shown]
	s_wait_dscnt 0x0
	v_lshrrev_b32_e32 v0, 16, v4
	v_and_b32_e32 v1, 0xffff, v4
	v_pk_fma_f16 v32, v16, v2, v32
	v_pk_fma_f16 v34, v16, v3, v34
	v_pk_fma_f16 v20, v17, v35, v20
	v_pk_fma_f16 v21, v17, v36, v21
	v_pk_fma_f16 v24, v17, v2, v24
	v_pk_fma_f16 v22, v17, v37, v22
	v_pk_fma_f16 v23, v17, v3, v23
	v_pk_fma_f16 v17, v17, v38, v27
	v_lshrrev_b32_e32 v2, 16, v5
	v_lshrrev_b32_e32 v3, 16, v6
	v_mul_u32_u24_e32 v27, 0x10001, v1
	v_and_b32_e32 v1, 0xffff, v6
	v_mul_u32_u24_e32 v6, 0x10001, v0
	v_and_b32_e32 v0, 0xffff, v7
	v_pk_fma_f16 v29, v16, v35, v29
	v_pk_fma_f16 v31, v16, v36, v31
	;; [unrolled: 1-line block ×3, first 2 shown]
	v_lshrrev_b32_e32 v4, 16, v7
	v_and_b32_e32 v5, 0xffff, v5
	v_mul_u32_u24_e32 v7, 0x10001, v2
	v_mul_u32_u24_e32 v35, 0x10001, v1
	;; [unrolled: 1-line block ×4, first 2 shown]
	ds_load_b128 v[0:3], v126 offset:416
	v_pk_fma_f16 v16, v16, v38, v39
	v_mul_u32_u24_e32 v5, 0x10001, v5
	v_mul_u32_u24_e32 v38, 0x10001, v4
	v_add_nc_u32_e32 v4, 0x4400, v49
	v_pk_fma_f16 v28, v18, v27, v28
	v_pk_fma_f16 v29, v18, v6, v29
	;; [unrolled: 1-line block ×14, first 2 shown]
	ds_load_2addr_b64 v[4:7], v4 offset0:112 offset1:136
	v_pk_fma_f16 v23, v19, v37, v23
	v_pk_fma_f16 v27, v19, v38, v17
	ds_load_b128 v[16:19], v126 offset:432
	s_wait_dscnt 0x2
	v_lshrrev_b32_e32 v35, 16, v0
	v_and_b32_e32 v0, 0xffff, v0
	v_lshrrev_b32_e32 v36, 16, v1
	v_and_b32_e32 v1, 0xffff, v1
	v_lshrrev_b32_e32 v37, 16, v2
	v_lshrrev_b32_e32 v38, 16, v3
	v_mul_u32_u24_e32 v0, 0x10001, v0
	v_and_b32_e32 v2, 0xffff, v2
	v_and_b32_e32 v3, 0xffff, v3
	v_mul_u32_u24_e32 v1, 0x10001, v1
	v_mul_u32_u24_e32 v35, 0x10001, v35
	;; [unrolled: 1-line block ×7, first 2 shown]
	s_wait_dscnt 0x1
	v_pk_fma_f16 v28, v4, v0, v28
	v_pk_fma_f16 v30, v4, v1, v30
	;; [unrolled: 1-line block ×4, first 2 shown]
	s_wait_dscnt 0x0
	v_lshrrev_b32_e32 v0, 16, v16
	v_and_b32_e32 v1, 0xffff, v16
	v_pk_fma_f16 v32, v4, v2, v32
	v_pk_fma_f16 v34, v4, v3, v34
	;; [unrolled: 1-line block ×8, first 2 shown]
	v_lshrrev_b32_e32 v2, 16, v17
	v_lshrrev_b32_e32 v3, 16, v18
	v_mul_u32_u24_e32 v27, 0x10001, v1
	v_and_b32_e32 v1, 0xffff, v18
	v_mul_u32_u24_e32 v18, 0x10001, v0
	v_and_b32_e32 v0, 0xffff, v19
	v_pk_fma_f16 v29, v4, v35, v29
	v_pk_fma_f16 v31, v4, v36, v31
	;; [unrolled: 1-line block ×3, first 2 shown]
	v_lshrrev_b32_e32 v16, 16, v19
	v_and_b32_e32 v17, 0xffff, v17
	v_mul_u32_u24_e32 v19, 0x10001, v2
	v_mul_u32_u24_e32 v35, 0x10001, v1
	;; [unrolled: 1-line block ×4, first 2 shown]
	ds_load_b128 v[0:3], v126 offset:448
	v_pk_fma_f16 v4, v4, v38, v39
	v_mul_u32_u24_e32 v17, 0x10001, v17
	v_mul_u32_u24_e32 v38, 0x10001, v16
	v_pk_fma_f16 v28, v6, v27, v28
	v_pk_fma_f16 v25, v7, v27, v25
	v_add_nc_u32_e32 v27, 0x4800, v49
	v_pk_fma_f16 v29, v6, v18, v29
	v_pk_fma_f16 v30, v6, v17, v30
	;; [unrolled: 1-line block ×12, first 2 shown]
	ds_load_2addr_b64 v[16:19], v27 offset0:32 offset1:56
	v_pk_fma_f16 v23, v7, v37, v23
	v_pk_fma_f16 v35, v7, v38, v5
	ds_load_b128 v[4:7], v126 offset:464
	s_wait_dscnt 0x2
	v_lshrrev_b32_e32 v36, 16, v0
	v_and_b32_e32 v0, 0xffff, v0
	v_lshrrev_b32_e32 v37, 16, v1
	v_and_b32_e32 v1, 0xffff, v1
	v_lshrrev_b32_e32 v38, 16, v2
	v_lshrrev_b32_e32 v40, 16, v3
	v_mul_u32_u24_e32 v0, 0x10001, v0
	v_and_b32_e32 v2, 0xffff, v2
	v_and_b32_e32 v3, 0xffff, v3
	v_mul_u32_u24_e32 v1, 0x10001, v1
	v_mul_u32_u24_e32 v36, 0x10001, v36
	;; [unrolled: 1-line block ×7, first 2 shown]
	s_wait_dscnt 0x1
	v_pk_fma_f16 v28, v16, v0, v28
	v_pk_fma_f16 v30, v16, v1, v30
	;; [unrolled: 1-line block ×4, first 2 shown]
	s_wait_dscnt 0x0
	v_lshrrev_b32_e32 v0, 16, v4
	v_and_b32_e32 v1, 0xffff, v4
	v_pk_fma_f16 v32, v16, v2, v32
	v_pk_fma_f16 v34, v16, v3, v34
	;; [unrolled: 1-line block ×8, first 2 shown]
	v_lshrrev_b32_e32 v2, 16, v5
	v_lshrrev_b32_e32 v3, 16, v6
	v_mul_u32_u24_e32 v35, 0x10001, v1
	v_and_b32_e32 v1, 0xffff, v6
	v_mul_u32_u24_e32 v6, 0x10001, v0
	v_and_b32_e32 v0, 0xffff, v7
	v_pk_fma_f16 v29, v16, v36, v29
	v_pk_fma_f16 v31, v16, v37, v31
	;; [unrolled: 1-line block ×3, first 2 shown]
	v_lshrrev_b32_e32 v4, 16, v7
	v_and_b32_e32 v5, 0xffff, v5
	v_mul_u32_u24_e32 v7, 0x10001, v2
	v_mul_u32_u24_e32 v36, 0x10001, v1
	;; [unrolled: 1-line block ×4, first 2 shown]
	ds_load_b128 v[0:3], v126 offset:480
	v_pk_fma_f16 v16, v16, v40, v39
	v_mul_u32_u24_e32 v5, 0x10001, v5
	v_mul_u32_u24_e32 v39, 0x10001, v4
	v_pk_fma_f16 v28, v18, v35, v28
	v_pk_fma_f16 v29, v18, v6, v29
	;; [unrolled: 1-line block ×14, first 2 shown]
	ds_load_2addr_b64 v[4:7], v27 offset0:80 offset1:104
	v_pk_fma_f16 v23, v19, v38, v23
	v_pk_fma_f16 v27, v19, v39, v17
	ds_load_b128 v[16:19], v126 offset:496
	s_wait_dscnt 0x2
	v_lshrrev_b32_e32 v35, 16, v0
	v_and_b32_e32 v0, 0xffff, v0
	v_lshrrev_b32_e32 v36, 16, v1
	v_lshrrev_b32_e32 v37, 16, v2
	;; [unrolled: 1-line block ×3, first 2 shown]
	v_and_b32_e32 v1, 0xffff, v1
	v_and_b32_e32 v2, 0xffff, v2
	;; [unrolled: 1-line block ×3, first 2 shown]
	v_mul_u32_u24_e32 v0, 0x10001, v0
	v_mul_u32_u24_e32 v35, 0x10001, v35
	;; [unrolled: 1-line block ×8, first 2 shown]
	s_wait_dscnt 0x1
	v_pk_fma_f16 v28, v4, v0, v28
	v_pk_fma_f16 v30, v4, v1, v30
	;; [unrolled: 1-line block ×8, first 2 shown]
	s_wait_dscnt 0x0
	v_lshrrev_b32_e32 v23, 16, v16
	v_and_b32_e32 v16, 0xffff, v16
	v_lshrrev_b32_e32 v24, 16, v17
	v_lshrrev_b32_e32 v25, 16, v18
	;; [unrolled: 1-line block ×3, first 2 shown]
	v_and_b32_e32 v17, 0xffff, v17
	v_and_b32_e32 v18, 0xffff, v18
	;; [unrolled: 1-line block ×3, first 2 shown]
	v_pk_fma_f16 v29, v4, v35, v29
	v_pk_fma_f16 v31, v4, v36, v31
	;; [unrolled: 1-line block ×8, first 2 shown]
	v_mul_u32_u24_e32 v16, 0x10001, v16
	v_mul_u32_u24_e32 v23, 0x10001, v23
	;; [unrolled: 1-line block ×8, first 2 shown]
	v_pk_fma_f16 v142, v6, v16, v28
	v_pk_fma_f16 v140, v6, v23, v29
	;; [unrolled: 1-line block ×16, first 2 shown]
	v_dual_mov_b32 v0, v8 :: v_dual_mov_b32 v151, v57
	v_dual_mov_b32 v1, v9 :: v_dual_mov_b32 v2, v10
	;; [unrolled: 1-line block ×4, first 2 shown]
	v_mov_b32_e32 v7, v15
	s_barrier_signal -1
	s_barrier_wait -1
	global_inv scope:SCOPE_SE
.LBB52_120:
	s_clause 0x4
	scratch_load_b32 v26, off, off offset:32 th:TH_LOAD_LU
	scratch_load_b32 v8, off, off offset:52 th:TH_LOAD_LU
	;; [unrolled: 1-line block ×5, first 2 shown]
	s_cmp_eq_u64 s[24:25], 0
	s_cselect_b32 s3, -1, 0
	s_cmp_lg_u32 s26, 0
	s_cselect_b32 s4, -1, 0
	s_wait_alu 0xfffe
	s_or_b32 s3, s4, s3
	s_wait_loadcnt 0x3
	v_cmp_lt_i32_e32 vcc_lo, v8, v26
	s_wait_loadcnt 0x2
	s_wait_alu 0xfffd
	v_cndmask_b32_e32 v8, v25, v8, vcc_lo
	s_wait_loadcnt 0x1
	v_cmp_lt_i32_e32 vcc_lo, v16, v26
	s_delay_alu instid0(VALU_DEP_2)
	v_lshlrev_b32_e32 v8, 2, v8
	ds_bpermute_b32 v9, v8, v157
	s_wait_dscnt 0x0
	v_add_f32_e32 v9, v157, v9
	ds_bpermute_b32 v15, v8, v150
	ds_bpermute_b32 v13, v8, v153
	;; [unrolled: 1-line block ×3, first 2 shown]
	s_wait_alu 0xfffd
	v_cndmask_b32_e32 v16, v25, v16, vcc_lo
	ds_bpermute_b32 v10, v8, v156
	ds_bpermute_b32 v12, v8, v154
	;; [unrolled: 1-line block ×4, first 2 shown]
	s_wait_loadcnt 0x0
	v_cmp_lt_i32_e32 vcc_lo, v24, v26
	s_wait_dscnt 0x6
	v_dual_add_f32 v15, v150, v15 :: v_dual_lshlrev_b32 v16, 2, v16
	s_wait_dscnt 0x5
	v_add_f32_e32 v13, v153, v13
	s_wait_dscnt 0x4
	v_add_f32_e32 v11, v155, v11
	ds_bpermute_b32 v17, v16, v9
	s_wait_dscnt 0x4
	v_add_f32_e32 v10, v156, v10
	ds_bpermute_b32 v19, v16, v11
	ds_bpermute_b32 v23, v16, v15
	ds_bpermute_b32 v21, v16, v13
	s_wait_alu 0xfffd
	v_cndmask_b32_e32 v24, v25, v24, vcc_lo
	s_wait_dscnt 0x6
	v_add_f32_e32 v12, v154, v12
	s_wait_dscnt 0x5
	v_add_f32_e32 v14, v152, v14
	s_wait_dscnt 0x3
	v_dual_add_f32 v8, v151, v8 :: v_dual_add_f32 v9, v9, v17
	ds_bpermute_b32 v18, v16, v10
	s_wait_dscnt 0x3
	v_add_f32_e32 v11, v11, v19
	s_wait_dscnt 0x2
	v_dual_add_f32 v15, v15, v23 :: v_dual_lshlrev_b32 v24, 2, v24
	ds_bpermute_b32 v20, v16, v12
	s_wait_dscnt 0x2
	v_add_f32_e32 v13, v13, v21
	ds_bpermute_b32 v22, v16, v14
	ds_bpermute_b32 v16, v16, v8
	s_wait_dscnt 0x3
	v_add_f32_e32 v10, v10, v18
	ds_bpermute_b32 v18, v24, v11
	s_wait_dscnt 0x2
	v_add_f32_e32 v14, v14, v22
	s_wait_dscnt 0x0
	v_dual_add_f32 v11, v11, v18 :: v_dual_add_f32 v8, v8, v16
	ds_bpermute_b32 v16, v24, v9
	ds_bpermute_b32 v22, v24, v15
	v_add_f32_e32 v12, v12, v20
	ds_bpermute_b32 v20, v24, v13
	ds_bpermute_b32 v23, v24, v8
	s_wait_dscnt 0x3
	v_add_f32_e32 v9, v9, v16
	ds_bpermute_b32 v17, v24, v10
	s_wait_dscnt 0x3
	v_add_f32_e32 v15, v15, v22
	;; [unrolled: 3-line block ×3, first 2 shown]
	ds_bpermute_b32 v21, v24, v14
	scratch_load_b32 v24, off, off offset:40 th:TH_LOAD_LU ; 4-byte Folded Reload
	s_wait_loadcnt 0x0
	v_cmp_lt_i32_e32 vcc_lo, v24, v26
	s_wait_alu 0xfffd
	v_cndmask_b32_e32 v24, v25, v24, vcc_lo
	s_delay_alu instid0(VALU_DEP_1)
	v_lshlrev_b32_e32 v24, 2, v24
	ds_bpermute_b32 v18, v24, v11
	ds_bpermute_b32 v16, v24, v9
	;; [unrolled: 1-line block ×3, first 2 shown]
	s_wait_dscnt 0x5
	v_add_f32_e32 v10, v10, v17
	s_wait_dscnt 0x4
	v_add_f32_e32 v12, v12, v19
	ds_bpermute_b32 v22, v24, v15
	s_wait_dscnt 0x3
	v_dual_add_f32 v11, v11, v18 :: v_dual_add_f32 v8, v8, v23
	s_wait_dscnt 0x2
	v_add_f32_e32 v9, v9, v16
	ds_bpermute_b32 v17, v24, v10
	s_wait_dscnt 0x2
	v_add_f32_e32 v13, v13, v20
	ds_bpermute_b32 v19, v24, v12
	ds_bpermute_b32 v23, v24, v8
	s_wait_dscnt 0x2
	v_dual_add_f32 v15, v15, v22 :: v_dual_add_f32 v10, v10, v17
	s_wait_dscnt 0x1
	v_add_f32_e32 v12, v12, v19
	s_wait_dscnt 0x0
	v_add_f32_e32 v16, v8, v23
	v_add_f32_e32 v14, v14, v21
	ds_bpermute_b32 v21, v24, v14
	scratch_load_b32 v24, off, off offset:36 th:TH_LOAD_LU ; 4-byte Folded Reload
	s_wait_dscnt 0x0
	v_add_f32_e32 v14, v14, v21
	s_wait_loadcnt 0x0
	v_cmp_lt_i32_e32 vcc_lo, v24, v26
	s_wait_alu 0xfffd
	v_cndmask_b32_e32 v24, v25, v24, vcc_lo
	s_wait_alu 0xfffe
	s_and_b32 vcc_lo, exec_lo, s3
	s_delay_alu instid0(VALU_DEP_1)
	v_lshlrev_b32_e32 v24, 2, v24
	ds_bpermute_b32 v8, v24, v9
	ds_bpermute_b32 v17, v24, v10
	;; [unrolled: 1-line block ×8, first 2 shown]
	s_wait_dscnt 0x6
	v_dual_add_f32 v8, v9, v8 :: v_dual_add_f32 v9, v10, v17
	s_wait_dscnt 0x4
	v_dual_add_f32 v10, v11, v18 :: v_dual_add_f32 v11, v12, v19
	;; [unrolled: 2-line block ×4, first 2 shown]
	s_wait_alu 0xfffe
	s_cbranch_vccnz .LBB52_123
; %bb.121:
	v_dual_mov_b32 v16, 0 :: v_dual_max_num_f32 v17, v0, v0
	s_lshl_b64 s[4:5], s[34:35], 2
	v_dual_max_num_f32 v18, v1, v1 :: v_dual_max_num_f32 v19, v2, v2
	s_wait_alu 0xfffe
	s_add_nc_u64 s[4:5], s[24:25], s[4:5]
	v_dual_max_num_f32 v22, v4, v4 :: v_dual_max_num_f32 v23, v5, v5
	global_load_b32 v16, v16, s[4:5]
	v_max_num_f32_e32 v20, v3, v3
	v_dual_max_num_f32 v30, v6, v6 :: v_dual_max_num_f32 v31, v7, v7
	s_wait_loadcnt 0x0
	v_max_num_f32_e32 v21, v16, v16
	s_delay_alu instid0(VALU_DEP_1) | instskip(NEXT) | instid1(VALU_DEP_1)
	v_max_num_f32_e32 v26, v19, v21
	v_dual_max_num_f32 v24, v17, v21 :: v_dual_sub_f32 v19, v16, v26
	s_delay_alu instid0(VALU_DEP_1) | instskip(SKIP_2) | instid1(VALU_DEP_2)
	v_sub_f32_e32 v17, v16, v24
	v_dual_max_num_f32 v27, v20, v21 :: v_dual_sub_f32 v2, v2, v26
	v_dual_max_num_f32 v25, v18, v21 :: v_dual_sub_f32 v0, v0, v24
	;; [unrolled: 1-line block ×4, first 2 shown]
	v_max_num_f32_e32 v30, v30, v21
	s_delay_alu instid0(VALU_DEP_3) | instskip(SKIP_2) | instid1(VALU_DEP_3)
	v_dual_max_num_f32 v31, v31, v21 :: v_dual_sub_f32 v4, v4, v28
	v_sub_f32_e32 v18, v16, v25
	v_sub_f32_e32 v21, v16, v28
	v_dual_sub_f32 v5, v5, v29 :: v_dual_sub_f32 v32, v16, v31
	v_sub_f32_e32 v23, v16, v30
	v_dual_sub_f32 v7, v7, v31 :: v_dual_sub_f32 v22, v16, v29
	v_dual_mul_f32 v35, 0x3fb8aa3b, v18 :: v_dual_mul_f32 v16, 0x3fb8aa3b, v0
	v_dual_sub_f32 v1, v1, v25 :: v_dual_sub_f32 v6, v6, v30
	v_dual_mul_f32 v33, 0x3fb8aa3b, v17 :: v_dual_mul_f32 v36, 0x3fb8aa3b, v2
	s_delay_alu instid0(VALU_DEP_3) | instskip(SKIP_1) | instid1(VALU_DEP_4)
	v_fma_f32 v48, 0x3fb8aa3b, v0, -v16
	v_rndne_f32_e32 v49, v16
	v_dual_mul_f32 v34, 0x3fb8aa3b, v1 :: v_dual_mul_f32 v37, 0x3fb8aa3b, v19
	s_delay_alu instid0(VALU_DEP_4)
	v_fma_f32 v50, 0x3fb8aa3b, v17, -v33
	v_rndne_f32_e32 v51, v33
	v_rndne_f32_e32 v55, v35
	v_fmac_f32_e32 v48, 0x32a5705f, v0
	v_sub_f32_e32 v16, v16, v49
	v_dual_mul_f32 v38, 0x3fb8aa3b, v3 :: v_dual_mul_f32 v39, 0x3fb8aa3b, v20
	v_dual_mul_f32 v40, 0x3fb8aa3b, v4 :: v_dual_mul_f32 v41, 0x3fb8aa3b, v21
	v_fma_f32 v52, 0x3fb8aa3b, v1, -v34
	v_rndne_f32_e32 v53, v34
	v_fma_f32 v54, 0x3fb8aa3b, v18, -v35
	v_fma_f32 v58, 0x3fb8aa3b, v19, -v37
	v_rndne_f32_e32 v59, v37
	v_dual_fmac_f32 v50, 0x32a5705f, v17 :: v_dual_sub_f32 v33, v33, v51
	v_dual_sub_f32 v35, v35, v55 :: v_dual_add_f32 v16, v16, v48
	v_dual_mul_f32 v42, 0x3fb8aa3b, v5 :: v_dual_mul_f32 v43, 0x3fb8aa3b, v22
	v_rndne_f32_e32 v63, v39
	v_rndne_f32_e32 v67, v41
	v_fmac_f32_e32 v52, 0x32a5705f, v1
	v_dual_sub_f32 v34, v34, v53 :: v_dual_sub_f32 v37, v37, v59
	v_dual_fmac_f32 v58, 0x32a5705f, v19 :: v_dual_add_f32 v33, v33, v50
	v_exp_f32_e32 v16, v16
	v_dual_mul_f32 v44, 0x3fb8aa3b, v6 :: v_dual_mul_f32 v45, 0x3fb8aa3b, v23
	v_dual_mul_f32 v46, 0x3fb8aa3b, v7 :: v_dual_mul_f32 v47, 0x3fb8aa3b, v32
	v_fma_f32 v56, 0x3fb8aa3b, v2, -v36
	v_rndne_f32_e32 v57, v36
	v_fma_f32 v60, 0x3fb8aa3b, v3, -v38
	v_fma_f32 v62, 0x3fb8aa3b, v20, -v39
	;; [unrolled: 1-line block ×3, first 2 shown]
	v_rndne_f32_e32 v71, v43
	v_cvt_i32_f32_e32 v49, v49
	v_dual_fmac_f32 v54, 0x32a5705f, v18 :: v_dual_sub_f32 v39, v39, v63
	v_dual_sub_f32 v41, v41, v67 :: v_dual_add_f32 v34, v34, v52
	v_exp_f32_e32 v33, v33
	v_fma_f32 v70, 0x3fb8aa3b, v22, -v43
	v_rndne_f32_e32 v75, v45
	v_rndne_f32_e32 v79, v47
	v_cvt_i32_f32_e32 v51, v51
	v_fmac_f32_e32 v56, 0x32a5705f, v2
	v_dual_sub_f32 v36, v36, v57 :: v_dual_sub_f32 v43, v43, v71
	v_dual_fmac_f32 v60, 0x32a5705f, v3 :: v_dual_add_f32 v35, v35, v54
	v_exp_f32_e32 v34, v34
	v_ldexp_f32 v16, v16, v49
	v_cmp_ngt_f32_e32 vcc_lo, 0xc2ce8ed0, v0
	v_rndne_f32_e32 v61, v38
	v_fma_f32 v74, 0x3fb8aa3b, v23, -v45
	v_fma_f32 v78, 0x3fb8aa3b, v32, -v47
	v_cvt_i32_f32_e32 v53, v53
	v_sub_f32_e32 v45, v45, v75
	v_dual_sub_f32 v47, v47, v79 :: v_dual_add_f32 v36, v36, v56
	v_exp_f32_e32 v35, v35
	v_ldexp_f32 v33, v33, v51
	s_wait_alu 0xfffd
	v_cndmask_b32_e32 v16, 0, v16, vcc_lo
	v_cmp_ngt_f32_e32 vcc_lo, 0xc2ce8ed0, v17
	v_cvt_i32_f32_e32 v55, v55
	v_dual_sub_f32 v38, v38, v61 :: v_dual_add_f32 v37, v37, v58
	s_wait_alu 0xfffd
	v_dual_fmac_f32 v70, 0x32a5705f, v22 :: v_dual_cndmask_b32 v33, 0, v33
	v_fmac_f32_e32 v74, 0x32a5705f, v23
	v_exp_f32_e32 v36, v36
	v_ldexp_f32 v34, v34, v53
	v_cmp_ngt_f32_e32 vcc_lo, 0xc2ce8ed0, v1
	v_fma_f32 v64, 0x3fb8aa3b, v4, -v40
	v_rndne_f32_e32 v65, v40
	v_rndne_f32_e32 v69, v42
	v_cvt_i32_f32_e32 v57, v57
	v_dual_fmac_f32 v66, 0x32a5705f, v21 :: v_dual_add_f32 v45, v45, v74
	v_fmac_f32_e32 v62, 0x32a5705f, v20
	v_add_f32_e32 v38, v38, v60
	v_exp_f32_e32 v37, v37
	v_ldexp_f32 v35, v35, v55
	s_wait_alu 0xfffd
	v_cndmask_b32_e32 v34, 0, v34, vcc_lo
	v_cmp_ngt_f32_e32 vcc_lo, 0xc2ce8ed0, v18
	v_fma_f32 v68, 0x3fb8aa3b, v5, -v42
	v_cvt_i32_f32_e32 v59, v59
	v_dual_sub_f32 v40, v40, v65 :: v_dual_add_f32 v43, v43, v70
	s_wait_alu 0xfffd
	v_dual_sub_f32 v42, v42, v69 :: v_dual_cndmask_b32 v35, 0, v35
	v_dual_add_f32 v41, v41, v66 :: v_dual_fmac_f32 v64, 0x32a5705f, v4
	v_add_f32_e32 v39, v39, v62
	v_exp_f32_e32 v38, v38
	v_ldexp_f32 v36, v36, v57
	v_cmp_ngt_f32_e32 vcc_lo, 0xc2ce8ed0, v2
	v_fma_f32 v72, 0x3fb8aa3b, v6, -v44
	v_cvt_i32_f32_e32 v61, v61
	v_add_f32_e32 v40, v40, v64
	v_exp_f32_e32 v39, v39
	v_ldexp_f32 v37, v37, v59
	s_wait_alu 0xfffd
	v_cndmask_b32_e32 v36, 0, v36, vcc_lo
	v_cmp_ngt_f32_e32 vcc_lo, 0xc2ce8ed0, v19
	v_cvt_i32_f32_e32 v63, v63
	v_fmac_f32_e32 v72, 0x32a5705f, v6
	v_fmac_f32_e32 v78, 0x32a5705f, v32
	;; [unrolled: 1-line block ×3, first 2 shown]
	v_exp_f32_e32 v40, v40
	v_ldexp_f32 v38, v38, v61
	s_wait_alu 0xfffd
	v_cndmask_b32_e32 v37, 0, v37, vcc_lo
	v_cmp_ngt_f32_e32 vcc_lo, 0xc2ce8ed0, v3
	v_rndne_f32_e32 v73, v44
	v_cvt_i32_f32_e32 v65, v65
	v_dual_add_f32 v47, v47, v78 :: v_dual_add_f32 v42, v42, v68
	v_exp_f32_e32 v41, v41
	v_ldexp_f32 v39, v39, v63
	s_wait_alu 0xfffd
	v_cndmask_b32_e32 v38, 0, v38, vcc_lo
	v_cmp_ngt_f32_e32 vcc_lo, 0xc2ce8ed0, v20
	v_cvt_i32_f32_e32 v67, v67
	v_sub_f32_e32 v44, v44, v73
	v_exp_f32_e32 v42, v42
	v_ldexp_f32 v40, v40, v65
	s_wait_alu 0xfffd
	v_cndmask_b32_e32 v39, 0, v39, vcc_lo
	v_cmp_ngt_f32_e32 vcc_lo, 0xc2ce8ed0, v4
	v_cvt_i32_f32_e32 v69, v69
	v_add_f32_e32 v44, v44, v72
	v_exp_f32_e32 v43, v43
	v_ldexp_f32 v41, v41, v67
	s_wait_alu 0xfffd
	v_cndmask_b32_e32 v40, 0, v40, vcc_lo
	v_cmp_ngt_f32_e32 vcc_lo, 0xc2ce8ed0, v21
	v_cvt_i32_f32_e32 v71, v71
	v_exp_f32_e32 v44, v44
	v_ldexp_f32 v42, v42, v69
	v_rndne_f32_e32 v77, v46
	s_wait_alu 0xfffd
	v_cndmask_b32_e32 v41, 0, v41, vcc_lo
	v_cmp_ngt_f32_e32 vcc_lo, 0xc2ce8ed0, v5
	v_cvt_i32_f32_e32 v73, v73
	v_exp_f32_e32 v45, v45
	v_ldexp_f32 v43, v43, v71
	v_fma_f32 v76, 0x3fb8aa3b, v7, -v46
	s_wait_alu 0xfffd
	v_cndmask_b32_e32 v42, 0, v42, vcc_lo
	v_cmp_ngt_f32_e32 vcc_lo, 0xc2ce8ed0, v22
	v_cvt_i32_f32_e32 v75, v75
	v_sub_f32_e32 v46, v46, v77
	v_ldexp_f32 v44, v44, v73
	v_cvt_i32_f32_e32 v77, v77
	s_wait_alu 0xfffd
	v_cndmask_b32_e32 v43, 0, v43, vcc_lo
	v_cmp_ngt_f32_e32 vcc_lo, 0xc2ce8ed0, v6
	v_ldexp_f32 v45, v45, v75
	v_exp_f32_e32 v47, v47
	v_cvt_i32_f32_e32 v79, v79
	s_wait_alu 0xfffd
	v_cndmask_b32_e32 v44, 0, v44, vcc_lo
	v_cmp_ngt_f32_e32 vcc_lo, 0xc2ce8ed0, v23
	s_wait_alu 0xfffd
	v_dual_fmac_f32 v76, 0x32a5705f, v7 :: v_dual_cndmask_b32 v45, 0, v45
	s_delay_alu instid0(VALU_DEP_1) | instskip(SKIP_1) | instid1(TRANS32_DEP_1)
	v_add_f32_e32 v46, v46, v76
	v_cmp_ngt_f32_e32 vcc_lo, 0xc2ce8ed0, v7
	v_ldexp_f32 v47, v47, v79
	s_delay_alu instid0(VALU_DEP_3) | instskip(NEXT) | instid1(TRANS32_DEP_1)
	v_exp_f32_e32 v46, v46
	v_ldexp_f32 v46, v46, v77
	s_wait_alu 0xfffd
	s_delay_alu instid0(VALU_DEP_1)
	v_cndmask_b32_e32 v46, 0, v46, vcc_lo
	v_cmp_ngt_f32_e32 vcc_lo, 0xc2ce8ed0, v32
	s_wait_alu 0xfffd
	v_cndmask_b32_e32 v47, 0, v47, vcc_lo
	v_cmp_nlt_f32_e32 vcc_lo, 0x42b17218, v0
	s_wait_alu 0xfffd
	v_cndmask_b32_e32 v0, 0x7f800000, v16, vcc_lo
	v_cmp_nlt_f32_e32 vcc_lo, 0x42b17218, v17
	s_wait_alu 0xfffd
	v_cndmask_b32_e32 v16, 0x7f800000, v33, vcc_lo
	v_cmp_nlt_f32_e32 vcc_lo, 0x42b17218, v1
	s_wait_alu 0xfffd
	s_delay_alu instid0(VALU_DEP_2)
	v_dual_fmac_f32 v16, v8, v0 :: v_dual_cndmask_b32 v1, 0x7f800000, v34
	v_cmp_nlt_f32_e32 vcc_lo, 0x42b17218, v18
	s_wait_alu 0xfffd
	v_cndmask_b32_e32 v17, 0x7f800000, v35, vcc_lo
	v_cmp_nlt_f32_e32 vcc_lo, 0x42b17218, v2
	s_wait_alu 0xfffd
	s_delay_alu instid0(VALU_DEP_2)
	v_dual_fmac_f32 v17, v9, v1 :: v_dual_cndmask_b32 v2, 0x7f800000, v36
	v_cmp_nlt_f32_e32 vcc_lo, 0x42b17218, v19
	v_cvt_f16_f32_e32 v1, v1
	s_wait_alu 0xfffd
	v_cndmask_b32_e32 v18, 0x7f800000, v37, vcc_lo
	v_cmp_nlt_f32_e32 vcc_lo, 0x42b17218, v3
	s_delay_alu instid0(VALU_DEP_2) | instskip(SKIP_3) | instid1(VALU_DEP_3)
	v_dual_fmac_f32 v18, v10, v2 :: v_dual_and_b32 v1, 0xffff, v1
	s_wait_alu 0xfffd
	v_cndmask_b32_e32 v3, 0x7f800000, v38, vcc_lo
	v_cmp_nlt_f32_e32 vcc_lo, 0x42b17218, v20
	v_mul_u32_u24_e32 v1, 0x10001, v1
	s_wait_alu 0xfffd
	v_cndmask_b32_e32 v19, 0x7f800000, v39, vcc_lo
	v_cmp_nlt_f32_e32 vcc_lo, 0x42b17218, v4
	s_delay_alu instid0(VALU_DEP_3)
	v_pk_mul_f16 v140, v140, v1
	v_pk_mul_f16 v141, v141, v1
	s_wait_alu 0xfffd
	v_dual_fmac_f32 v19, v11, v3 :: v_dual_cndmask_b32 v4, 0x7f800000, v40
	v_cmp_nlt_f32_e32 vcc_lo, 0x42b17218, v21
	v_cvt_f16_f32_e32 v3, v3
	s_wait_alu 0xfffd
	v_cndmask_b32_e32 v20, 0x7f800000, v41, vcc_lo
	v_cmp_nlt_f32_e32 vcc_lo, 0x42b17218, v5
	s_delay_alu instid0(VALU_DEP_2) | instskip(SKIP_3) | instid1(VALU_DEP_3)
	v_dual_fmac_f32 v20, v12, v4 :: v_dual_and_b32 v3, 0xffff, v3
	s_wait_alu 0xfffd
	v_cndmask_b32_e32 v5, 0x7f800000, v42, vcc_lo
	v_cmp_nlt_f32_e32 vcc_lo, 0x42b17218, v22
	v_mul_u32_u24_e32 v3, 0x10001, v3
	s_wait_alu 0xfffd
	v_cndmask_b32_e32 v21, 0x7f800000, v43, vcc_lo
	v_cmp_nlt_f32_e32 vcc_lo, 0x42b17218, v6
	s_delay_alu instid0(VALU_DEP_3) | instskip(SKIP_1) | instid1(VALU_DEP_4)
	v_pk_mul_f16 v135, v135, v3
	v_pk_mul_f16 v136, v136, v3
	v_fmac_f32_e32 v21, v13, v5
	v_cvt_f16_f32_e32 v5, v5
	s_delay_alu instid0(VALU_DEP_1) | instskip(SKIP_3) | instid1(VALU_DEP_3)
	v_and_b32_e32 v5, 0xffff, v5
	s_wait_alu 0xfffd
	v_cndmask_b32_e32 v6, 0x7f800000, v44, vcc_lo
	v_cmp_nlt_f32_e32 vcc_lo, 0x42b17218, v23
	v_mul_u32_u24_e32 v5, 0x10001, v5
	s_wait_alu 0xfffd
	v_cndmask_b32_e32 v22, 0x7f800000, v45, vcc_lo
	v_cmp_nlt_f32_e32 vcc_lo, 0x42b17218, v7
	s_delay_alu instid0(VALU_DEP_3) | instskip(SKIP_1) | instid1(VALU_DEP_4)
	v_pk_mul_f16 v131, v131, v5
	v_pk_mul_f16 v132, v132, v5
	v_fmac_f32_e32 v22, v14, v6
	s_wait_alu 0xfffd
	v_cndmask_b32_e32 v7, 0x7f800000, v46, vcc_lo
	v_cmp_nlt_f32_e32 vcc_lo, 0x42b17218, v32
	s_wait_alu 0xfffd
	v_cndmask_b32_e32 v23, 0x7f800000, v47, vcc_lo
	s_delay_alu instid0(VALU_DEP_1)
	v_fmac_f32_e32 v23, v15, v7
	v_mov_b32_e32 v8, v16
	v_cvt_f16_f32_e32 v7, v7
	v_mov_b32_e32 v9, v17
	v_cvt_f16_f32_e32 v0, v0
	;; [unrolled: 2-line block ×5, first 2 shown]
	v_and_b32_e32 v0, 0xffff, v0
	v_and_b32_e32 v2, 0xffff, v2
	;; [unrolled: 1-line block ×5, first 2 shown]
	v_mul_u32_u24_e32 v0, 0x10001, v0
	v_mul_u32_u24_e32 v2, 0x10001, v2
	;; [unrolled: 1-line block ×5, first 2 shown]
	v_pk_mul_f16 v142, v142, v0
	v_pk_mul_f16 v143, v143, v0
	;; [unrolled: 1-line block ×10, first 2 shown]
	v_mov_b32_e32 v0, v24
	v_mov_b32_e32 v10, v18
	;; [unrolled: 1-line block ×3, first 2 shown]
	v_dual_mov_b32 v14, v22 :: v_dual_mov_b32 v1, v25
	v_dual_mov_b32 v2, v26 :: v_dual_mov_b32 v3, v27
	;; [unrolled: 1-line block ×4, first 2 shown]
	scratch_load_b32 v24, off, off offset:24 th:TH_LOAD_LU ; 4-byte Folded Reload
	s_mov_b32 s3, exec_lo
	s_wait_loadcnt 0x0
	v_cmpx_gt_i32_e64 s38, v24
	s_cbranch_execnz .LBB52_124
.LBB52_122:
	s_endpgm
.LBB52_123:
	v_dual_mov_b32 v16, v8 :: v_dual_mov_b32 v17, v9
	v_dual_mov_b32 v18, v10 :: v_dual_mov_b32 v19, v11
	;; [unrolled: 1-line block ×4, first 2 shown]
	scratch_load_b32 v24, off, off offset:24 th:TH_LOAD_LU ; 4-byte Folded Reload
	s_mov_b32 s3, exec_lo
	s_wait_loadcnt 0x0
	v_cmpx_gt_i32_e64 s38, v24
	s_cbranch_execz .LBB52_122
.LBB52_124:
	s_load_b32 s0, s[0:1], 0xd4
	v_mov_b32_e32 v26, 1.0
	s_wait_kmcnt 0x0
	s_cmp_lg_u32 s0, 1
	s_cselect_b32 s3, -1, 0
	s_cmp_eq_u32 s0, 1
	s_cselect_b32 s4, -1, 0
	s_wait_alu 0xfffe
	s_and_b32 vcc_lo, exec_lo, s3
	s_wait_alu 0xfffe
	s_cbranch_vccnz .LBB52_126
; %bb.125:
	v_div_scale_f32 v24, null, v16, v16, 1.0
	s_delay_alu instid0(VALU_DEP_1) | instskip(NEXT) | instid1(TRANS32_DEP_1)
	v_rcp_f32_e32 v25, v24
	v_fma_f32 v26, -v24, v25, 1.0
	s_delay_alu instid0(VALU_DEP_1) | instskip(SKIP_1) | instid1(VALU_DEP_1)
	v_fmac_f32_e32 v25, v26, v25
	v_div_scale_f32 v26, vcc_lo, 1.0, v16, 1.0
	v_mul_f32_e32 v27, v26, v25
	s_delay_alu instid0(VALU_DEP_1) | instskip(NEXT) | instid1(VALU_DEP_1)
	v_fma_f32 v28, -v24, v27, v26
	v_fmac_f32_e32 v27, v28, v25
	s_delay_alu instid0(VALU_DEP_1) | instskip(SKIP_1) | instid1(VALU_DEP_1)
	v_fma_f32 v24, -v24, v27, v26
	s_wait_alu 0xfffd
	v_div_fmas_f32 v24, v24, v25, v27
	s_delay_alu instid0(VALU_DEP_1)
	v_div_fixup_f32 v26, v24, v16, 1.0
.LBB52_126:
	scratch_load_b32 v16, off, off offset:60 th:TH_LOAD_LU ; 4-byte Folded Reload
	s_mul_i32 s1, s40, s38
	s_delay_alu instid0(SALU_CYCLE_1) | instskip(SKIP_2) | instid1(VALU_DEP_1)
	s_add_co_i32 s1, s1, s33
	s_wait_loadcnt 0x0
	v_add_nc_u32_e32 v16, s1, v16
	v_mad_co_u64_u32 v[24:25], null, v16, s39, s[34:35]
	s_delay_alu instid0(VALU_DEP_1)
	v_mad_co_u64_u32 v[24:25], null, s0, v24, s[26:27]
	s_and_saveexec_b32 s5, s2
	s_cbranch_execz .LBB52_128
; %bb.127:
	scratch_load_b32 v16, off, off offset:20 ; 4-byte Folded Reload
	v_lshrrev_b32_e32 v25, 16, v142
	v_cvt_f32_f16_e64 v32, v143
	v_cvt_f32_f16_e64 v33, v142
	s_delay_alu instid0(VALU_DEP_3) | instskip(SKIP_2) | instid1(VALU_DEP_1)
	v_cvt_f32_f16_e32 v25, v25
	s_wait_loadcnt 0x0
	v_lshlrev_b32_e32 v16, 2, v16
	v_mad_co_u64_u32 v[27:28], null, 0x60, v24, v[16:17]
	v_lshrrev_b32_e32 v16, 16, v143
	s_delay_alu instid0(VALU_DEP_1) | instskip(NEXT) | instid1(VALU_DEP_1)
	v_cvt_f32_f16_e32 v16, v16
	v_dual_mov_b32 v28, 0 :: v_dual_mul_f32 v29, v26, v16
	s_delay_alu instid0(VALU_DEP_1) | instskip(NEXT) | instid1(VALU_DEP_1)
	v_lshlrev_b64_e32 v[27:28], 2, v[27:28]
	v_add_co_u32 v30, vcc_lo, s28, v27
	s_wait_alu 0xfffd
	s_delay_alu instid0(VALU_DEP_2)
	v_add_co_ci_u32_e64 v31, null, s29, v28, vcc_lo
	v_mul_f32_e32 v28, v26, v32
	v_mul_f32_e32 v27, v26, v25
	;; [unrolled: 1-line block ×3, first 2 shown]
	global_store_b128 v[30:31], v[26:29], off
.LBB52_128:
	s_wait_alu 0xfffe
	s_or_b32 exec_lo, exec_lo, s5
	scratch_load_b32 v16, off, off offset:20 th:TH_LOAD_LU ; 4-byte Folded Reload
	s_wait_loadcnt 0x0
	v_cmp_eq_u32_e32 vcc_lo, 0, v16
	s_and_b32 s3, vcc_lo, s3
	s_wait_alu 0xfffe
	s_and_saveexec_b32 s5, s3
	s_cbranch_execz .LBB52_130
; %bb.129:
	v_ashrrev_i32_e32 v25, 31, v24
	v_dual_mov_b32 v26, v0 :: v_dual_mov_b32 v27, v8
	s_delay_alu instid0(VALU_DEP_2) | instskip(NEXT) | instid1(VALU_DEP_1)
	v_lshlrev_b64_e32 v[24:25], 3, v[24:25]
	v_add_co_u32 v24, vcc_lo, s30, v24
	s_wait_alu 0xfffd
	s_delay_alu instid0(VALU_DEP_2)
	v_add_co_ci_u32_e64 v25, null, s31, v25, vcc_lo
	global_store_b64 v[24:25], v[26:27], off
.LBB52_130:
	s_wait_alu 0xfffe
	s_or_b32 exec_lo, exec_lo, s5
	scratch_load_b32 v0, off, off offset:56 th:TH_LOAD_LU ; 4-byte Folded Reload
	s_wait_loadcnt 0x0
	v_cmp_gt_i32_e32 vcc_lo, s38, v0
	s_and_b32 exec_lo, exec_lo, vcc_lo
	s_cbranch_execz .LBB52_122
; %bb.131:
	v_cndmask_b32_e64 v24, 0, 1, s4
	v_mov_b32_e32 v0, 1.0
	s_and_not1_b32 vcc_lo, exec_lo, s4
	s_wait_alu 0xfffe
	s_cbranch_vccnz .LBB52_133
; %bb.132:
	v_div_scale_f32 v0, null, v17, v17, 1.0
	s_delay_alu instid0(VALU_DEP_1) | instskip(NEXT) | instid1(TRANS32_DEP_1)
	v_rcp_f32_e32 v8, v0
	v_fma_f32 v16, -v0, v8, 1.0
	s_delay_alu instid0(VALU_DEP_1) | instskip(SKIP_1) | instid1(VALU_DEP_1)
	v_fmac_f32_e32 v8, v16, v8
	v_div_scale_f32 v16, vcc_lo, 1.0, v17, 1.0
	v_mul_f32_e32 v25, v16, v8
	s_delay_alu instid0(VALU_DEP_1) | instskip(NEXT) | instid1(VALU_DEP_1)
	v_fma_f32 v26, -v0, v25, v16
	v_fmac_f32_e32 v25, v26, v8
	s_delay_alu instid0(VALU_DEP_1) | instskip(SKIP_1) | instid1(VALU_DEP_1)
	v_fma_f32 v0, -v0, v25, v16
	s_wait_alu 0xfffd
	v_div_fmas_f32 v0, v0, v8, v25
	s_delay_alu instid0(VALU_DEP_1)
	v_div_fixup_f32 v0, v0, v17, 1.0
.LBB52_133:
	scratch_load_b32 v8, off, off offset:68 th:TH_LOAD_LU ; 4-byte Folded Reload
	s_wait_loadcnt 0x0
	v_add_nc_u32_e32 v8, s1, v8
	s_delay_alu instid0(VALU_DEP_1) | instskip(NEXT) | instid1(VALU_DEP_1)
	v_mad_co_u64_u32 v[16:17], null, v8, s39, s[34:35]
	v_mad_co_u64_u32 v[16:17], null, s0, v16, s[26:27]
	s_and_saveexec_b32 s4, s2
	s_cbranch_execz .LBB52_135
; %bb.134:
	scratch_load_b64 v[25:26], off, off offset:72 ; 8-byte Folded Reload
	v_cvt_f32_f16_e64 v27, v141
	v_lshrrev_b32_e32 v8, 16, v141
	v_lshrrev_b32_e32 v17, 16, v140
	v_cvt_f32_f16_e64 v31, v140
	s_delay_alu instid0(VALU_DEP_4) | instskip(NEXT) | instid1(VALU_DEP_4)
	v_mul_f32_e32 v27, v0, v27
	v_cvt_f32_f16_e32 v8, v8
	s_delay_alu instid0(VALU_DEP_4) | instskip(NEXT) | instid1(VALU_DEP_2)
	v_cvt_f32_f16_e32 v17, v17
	v_mul_f32_e32 v28, v0, v8
	s_wait_loadcnt 0x0
	v_mad_co_u64_u32 v[25:26], null, 0x60, v16, v[25:26]
	v_mov_b32_e32 v26, 0
	s_delay_alu instid0(VALU_DEP_1) | instskip(NEXT) | instid1(VALU_DEP_1)
	v_lshlrev_b64_e32 v[25:26], 2, v[25:26]
	v_add_co_u32 v29, vcc_lo, s28, v25
	s_wait_alu 0xfffd
	s_delay_alu instid0(VALU_DEP_2)
	v_add_co_ci_u32_e64 v30, null, s29, v26, vcc_lo
	v_mul_f32_e32 v26, v0, v17
	v_mul_f32_e32 v25, v0, v31
	global_store_b128 v[29:30], v[25:28], off
.LBB52_135:
	s_wait_alu 0xfffe
	s_or_b32 exec_lo, exec_lo, s4
	s_and_saveexec_b32 s4, s3
	s_cbranch_execz .LBB52_137
; %bb.136:
	v_ashrrev_i32_e32 v17, 31, v16
	v_mov_b32_e32 v8, v1
	s_delay_alu instid0(VALU_DEP_2) | instskip(NEXT) | instid1(VALU_DEP_1)
	v_lshlrev_b64_e32 v[16:17], 3, v[16:17]
	v_add_co_u32 v16, vcc_lo, s30, v16
	s_wait_alu 0xfffd
	s_delay_alu instid0(VALU_DEP_2)
	v_add_co_ci_u32_e64 v17, null, s31, v17, vcc_lo
	global_store_b64 v[16:17], v[8:9], off
.LBB52_137:
	s_wait_alu 0xfffe
	s_or_b32 exec_lo, exec_lo, s4
	scratch_load_b32 v0, off, off offset:64 ; 4-byte Folded Reload
	s_wait_loadcnt 0x0
	v_add_nc_u32_e32 v0, s33, v0
	s_delay_alu instid0(VALU_DEP_1)
	v_cmp_gt_i32_e32 vcc_lo, s38, v0
	s_and_b32 exec_lo, exec_lo, vcc_lo
	s_cbranch_execz .LBB52_122
; %bb.138:
	v_cmp_ne_u32_e32 vcc_lo, 1, v24
	v_mov_b32_e32 v8, 1.0
	s_cbranch_vccnz .LBB52_140
; %bb.139:
	v_div_scale_f32 v0, null, v18, v18, 1.0
	s_delay_alu instid0(VALU_DEP_1) | instskip(NEXT) | instid1(TRANS32_DEP_1)
	v_rcp_f32_e32 v1, v0
	v_fma_f32 v8, -v0, v1, 1.0
	s_delay_alu instid0(VALU_DEP_1) | instskip(SKIP_1) | instid1(VALU_DEP_1)
	v_fmac_f32_e32 v1, v8, v1
	v_div_scale_f32 v8, vcc_lo, 1.0, v18, 1.0
	v_mul_f32_e32 v9, v8, v1
	s_delay_alu instid0(VALU_DEP_1) | instskip(NEXT) | instid1(VALU_DEP_1)
	v_fma_f32 v16, -v0, v9, v8
	v_fmac_f32_e32 v9, v16, v1
	s_delay_alu instid0(VALU_DEP_1) | instskip(SKIP_1) | instid1(VALU_DEP_1)
	v_fma_f32 v0, -v0, v9, v8
	s_wait_alu 0xfffd
	v_div_fmas_f32 v0, v0, v1, v9
	s_delay_alu instid0(VALU_DEP_1)
	v_div_fixup_f32 v8, v0, v18, 1.0
.LBB52_140:
	scratch_load_b32 v0, off, off offset:64 th:TH_LOAD_LU ; 4-byte Folded Reload
	s_wait_loadcnt 0x0
	v_add_nc_u32_e32 v0, s1, v0
	s_delay_alu instid0(VALU_DEP_1) | instskip(NEXT) | instid1(VALU_DEP_1)
	v_mad_co_u64_u32 v[0:1], null, v0, s39, s[34:35]
	v_mad_co_u64_u32 v[0:1], null, s0, v0, s[26:27]
	s_and_saveexec_b32 s4, s2
	s_cbranch_execz .LBB52_142
; %bb.141:
	scratch_load_b64 v[16:17], off, off offset:72 ; 8-byte Folded Reload
	v_lshrrev_b32_e32 v1, 16, v138
	v_lshrrev_b32_e32 v9, 16, v137
	v_cvt_f32_f16_e64 v18, v138
	v_cvt_f32_f16_e64 v25, v137
	s_delay_alu instid0(VALU_DEP_4) | instskip(NEXT) | instid1(VALU_DEP_4)
	v_cvt_f32_f16_e32 v1, v1
	v_cvt_f32_f16_e32 v9, v9
	s_delay_alu instid0(VALU_DEP_4) | instskip(NEXT) | instid1(VALU_DEP_4)
	v_mul_f32_e32 v27, v8, v18
	v_mul_f32_e32 v25, v8, v25
	s_delay_alu instid0(VALU_DEP_4) | instskip(NEXT) | instid1(VALU_DEP_4)
	v_mul_f32_e32 v28, v8, v1
	v_mul_f32_e32 v26, v8, v9
	s_wait_loadcnt 0x0
	v_mad_co_u64_u32 v[16:17], null, 0x60, v0, v[16:17]
	v_mov_b32_e32 v17, 0
	s_delay_alu instid0(VALU_DEP_1) | instskip(NEXT) | instid1(VALU_DEP_1)
	v_lshlrev_b64_e32 v[16:17], 2, v[16:17]
	v_add_co_u32 v16, vcc_lo, s28, v16
	s_wait_alu 0xfffd
	s_delay_alu instid0(VALU_DEP_2)
	v_add_co_ci_u32_e64 v17, null, s29, v17, vcc_lo
	global_store_b128 v[16:17], v[25:28], off
.LBB52_142:
	s_wait_alu 0xfffe
	s_or_b32 exec_lo, exec_lo, s4
	s_and_saveexec_b32 s4, s3
	s_cbranch_execz .LBB52_144
; %bb.143:
	v_ashrrev_i32_e32 v1, 31, v0
	v_mov_b32_e32 v9, v2
	s_delay_alu instid0(VALU_DEP_2) | instskip(NEXT) | instid1(VALU_DEP_1)
	v_lshlrev_b64_e32 v[0:1], 3, v[0:1]
	v_add_co_u32 v0, vcc_lo, s30, v0
	s_wait_alu 0xfffd
	s_delay_alu instid0(VALU_DEP_2)
	v_add_co_ci_u32_e64 v1, null, s31, v1, vcc_lo
	global_store_b64 v[0:1], v[9:10], off
.LBB52_144:
	s_wait_alu 0xfffe
	s_or_b32 exec_lo, exec_lo, s4
	scratch_load_b32 v0, off, off offset:80 ; 4-byte Folded Reload
	s_wait_loadcnt 0x0
	v_add_nc_u32_e32 v0, s33, v0
	s_delay_alu instid0(VALU_DEP_1)
	v_cmp_gt_i32_e32 vcc_lo, s38, v0
	s_and_b32 exec_lo, exec_lo, vcc_lo
	s_cbranch_execz .LBB52_122
; %bb.145:
	v_cmp_ne_u32_e32 vcc_lo, 1, v24
	v_mov_b32_e32 v2, 1.0
	s_cbranch_vccnz .LBB52_147
; %bb.146:
	v_div_scale_f32 v0, null, v19, v19, 1.0
	s_delay_alu instid0(VALU_DEP_1) | instskip(NEXT) | instid1(TRANS32_DEP_1)
	v_rcp_f32_e32 v1, v0
	v_fma_f32 v2, -v0, v1, 1.0
	s_delay_alu instid0(VALU_DEP_1) | instskip(SKIP_1) | instid1(VALU_DEP_1)
	v_fmac_f32_e32 v1, v2, v1
	v_div_scale_f32 v2, vcc_lo, 1.0, v19, 1.0
	v_mul_f32_e32 v8, v2, v1
	s_delay_alu instid0(VALU_DEP_1) | instskip(NEXT) | instid1(VALU_DEP_1)
	v_fma_f32 v9, -v0, v8, v2
	v_fmac_f32_e32 v8, v9, v1
	s_delay_alu instid0(VALU_DEP_1) | instskip(SKIP_1) | instid1(VALU_DEP_1)
	v_fma_f32 v0, -v0, v8, v2
	s_wait_alu 0xfffd
	v_div_fmas_f32 v0, v0, v1, v8
	s_delay_alu instid0(VALU_DEP_1)
	v_div_fixup_f32 v2, v0, v19, 1.0
.LBB52_147:
	scratch_load_b32 v0, off, off offset:80 th:TH_LOAD_LU ; 4-byte Folded Reload
	s_wait_loadcnt 0x0
	v_add_nc_u32_e32 v0, s1, v0
	s_delay_alu instid0(VALU_DEP_1) | instskip(NEXT) | instid1(VALU_DEP_1)
	v_mad_co_u64_u32 v[0:1], null, v0, s39, s[34:35]
	v_mad_co_u64_u32 v[0:1], null, s0, v0, s[26:27]
	s_and_saveexec_b32 s4, s2
	s_cbranch_execz .LBB52_149
; %bb.148:
	scratch_load_b64 v[8:9], off, off offset:72 ; 8-byte Folded Reload
	v_cvt_f32_f16_e64 v16, v136
	v_lshrrev_b32_e32 v1, 16, v136
	v_lshrrev_b32_e32 v10, 16, v135
	v_cvt_f32_f16_e64 v25, v135
	s_delay_alu instid0(VALU_DEP_4) | instskip(NEXT) | instid1(VALU_DEP_4)
	v_mul_f32_e32 v18, v2, v16
	v_cvt_f32_f16_e32 v1, v1
	s_delay_alu instid0(VALU_DEP_4) | instskip(NEXT) | instid1(VALU_DEP_4)
	v_cvt_f32_f16_e32 v10, v10
	v_mul_f32_e32 v16, v2, v25
	s_delay_alu instid0(VALU_DEP_3) | instskip(NEXT) | instid1(VALU_DEP_3)
	v_mul_f32_e32 v19, v2, v1
	v_mul_f32_e32 v17, v2, v10
	s_wait_loadcnt 0x0
	v_mad_co_u64_u32 v[8:9], null, 0x60, v0, v[8:9]
	v_mov_b32_e32 v9, 0
	s_delay_alu instid0(VALU_DEP_1) | instskip(NEXT) | instid1(VALU_DEP_1)
	v_lshlrev_b64_e32 v[8:9], 2, v[8:9]
	v_add_co_u32 v8, vcc_lo, s28, v8
	s_wait_alu 0xfffd
	s_delay_alu instid0(VALU_DEP_2)
	v_add_co_ci_u32_e64 v9, null, s29, v9, vcc_lo
	global_store_b128 v[8:9], v[16:19], off
.LBB52_149:
	s_wait_alu 0xfffe
	s_or_b32 exec_lo, exec_lo, s4
	s_and_saveexec_b32 s4, s3
	s_cbranch_execz .LBB52_151
; %bb.150:
	v_ashrrev_i32_e32 v1, 31, v0
	v_mov_b32_e32 v10, v3
	s_delay_alu instid0(VALU_DEP_2) | instskip(NEXT) | instid1(VALU_DEP_1)
	v_lshlrev_b64_e32 v[0:1], 3, v[0:1]
	v_add_co_u32 v0, vcc_lo, s30, v0
	s_wait_alu 0xfffd
	s_delay_alu instid0(VALU_DEP_2)
	v_add_co_ci_u32_e64 v1, null, s31, v1, vcc_lo
	global_store_b64 v[0:1], v[10:11], off
.LBB52_151:
	s_wait_alu 0xfffe
	s_or_b32 exec_lo, exec_lo, s4
	scratch_load_b32 v0, off, off offset:84 ; 4-byte Folded Reload
	s_wait_loadcnt 0x0
	v_add_nc_u32_e32 v0, s33, v0
	s_delay_alu instid0(VALU_DEP_1)
	v_cmp_gt_i32_e32 vcc_lo, s38, v0
	s_and_b32 exec_lo, exec_lo, vcc_lo
	s_cbranch_execz .LBB52_122
; %bb.152:
	v_cmp_ne_u32_e32 vcc_lo, 1, v24
	v_mov_b32_e32 v2, 1.0
	s_cbranch_vccnz .LBB52_154
; %bb.153:
	v_div_scale_f32 v0, null, v20, v20, 1.0
	s_delay_alu instid0(VALU_DEP_1) | instskip(NEXT) | instid1(TRANS32_DEP_1)
	v_rcp_f32_e32 v1, v0
	v_fma_f32 v2, -v0, v1, 1.0
	s_delay_alu instid0(VALU_DEP_1) | instskip(SKIP_1) | instid1(VALU_DEP_1)
	v_fmac_f32_e32 v1, v2, v1
	v_div_scale_f32 v2, vcc_lo, 1.0, v20, 1.0
	v_mul_f32_e32 v3, v2, v1
	s_delay_alu instid0(VALU_DEP_1) | instskip(NEXT) | instid1(VALU_DEP_1)
	v_fma_f32 v8, -v0, v3, v2
	v_fmac_f32_e32 v3, v8, v1
	s_delay_alu instid0(VALU_DEP_1) | instskip(SKIP_1) | instid1(VALU_DEP_1)
	v_fma_f32 v0, -v0, v3, v2
	s_wait_alu 0xfffd
	v_div_fmas_f32 v0, v0, v1, v3
	s_delay_alu instid0(VALU_DEP_1)
	v_div_fixup_f32 v2, v0, v20, 1.0
.LBB52_154:
	scratch_load_b32 v0, off, off offset:84 th:TH_LOAD_LU ; 4-byte Folded Reload
	s_wait_loadcnt 0x0
	v_add_nc_u32_e32 v0, s1, v0
	s_delay_alu instid0(VALU_DEP_1) | instskip(NEXT) | instid1(VALU_DEP_1)
	v_mad_co_u64_u32 v[0:1], null, v0, s39, s[34:35]
	v_mad_co_u64_u32 v[0:1], null, s0, v0, s[26:27]
	s_and_saveexec_b32 s4, s2
	s_cbranch_execz .LBB52_156
; %bb.155:
	scratch_load_b64 v[8:9], off, off offset:72 ; 8-byte Folded Reload
	v_cvt_f32_f16_e64 v10, v134
	v_lshrrev_b32_e32 v1, 16, v134
	v_lshrrev_b32_e32 v3, 16, v133
	v_cvt_f32_f16_e64 v18, v133
	s_delay_alu instid0(VALU_DEP_4) | instskip(NEXT) | instid1(VALU_DEP_4)
	v_mul_f32_e32 v10, v2, v10
	v_cvt_f32_f16_e32 v1, v1
	s_delay_alu instid0(VALU_DEP_4) | instskip(NEXT) | instid1(VALU_DEP_2)
	v_cvt_f32_f16_e32 v3, v3
	v_mul_f32_e32 v11, v2, v1
	s_wait_loadcnt 0x0
	v_mad_co_u64_u32 v[8:9], null, 0x60, v0, v[8:9]
	v_mov_b32_e32 v9, 0
	s_delay_alu instid0(VALU_DEP_1) | instskip(NEXT) | instid1(VALU_DEP_1)
	v_lshlrev_b64_e32 v[8:9], 2, v[8:9]
	v_add_co_u32 v16, vcc_lo, s28, v8
	s_wait_alu 0xfffd
	s_delay_alu instid0(VALU_DEP_2)
	v_add_co_ci_u32_e64 v17, null, s29, v9, vcc_lo
	v_mul_f32_e32 v9, v2, v3
	v_mul_f32_e32 v8, v2, v18
	global_store_b128 v[16:17], v[8:11], off
.LBB52_156:
	s_wait_alu 0xfffe
	s_or_b32 exec_lo, exec_lo, s4
	s_and_saveexec_b32 s4, s3
	s_cbranch_execz .LBB52_158
; %bb.157:
	v_ashrrev_i32_e32 v1, 31, v0
	v_mov_b32_e32 v11, v4
	s_delay_alu instid0(VALU_DEP_2) | instskip(NEXT) | instid1(VALU_DEP_1)
	v_lshlrev_b64_e32 v[0:1], 3, v[0:1]
	v_add_co_u32 v0, vcc_lo, s30, v0
	s_wait_alu 0xfffd
	s_delay_alu instid0(VALU_DEP_2)
	v_add_co_ci_u32_e64 v1, null, s31, v1, vcc_lo
	global_store_b64 v[0:1], v[11:12], off
.LBB52_158:
	s_wait_alu 0xfffe
	s_or_b32 exec_lo, exec_lo, s4
	scratch_load_b32 v0, off, off offset:88 ; 4-byte Folded Reload
	s_wait_loadcnt 0x0
	v_add_nc_u32_e32 v0, s33, v0
	s_delay_alu instid0(VALU_DEP_1)
	v_cmp_gt_i32_e32 vcc_lo, s38, v0
	s_and_b32 exec_lo, exec_lo, vcc_lo
	s_cbranch_execz .LBB52_122
; %bb.159:
	v_cmp_ne_u32_e32 vcc_lo, 1, v24
	v_mov_b32_e32 v2, 1.0
	s_cbranch_vccnz .LBB52_161
; %bb.160:
	v_div_scale_f32 v0, null, v21, v21, 1.0
	s_delay_alu instid0(VALU_DEP_1) | instskip(NEXT) | instid1(TRANS32_DEP_1)
	v_rcp_f32_e32 v1, v0
	v_fma_f32 v2, -v0, v1, 1.0
	s_delay_alu instid0(VALU_DEP_1) | instskip(SKIP_1) | instid1(VALU_DEP_1)
	v_fmac_f32_e32 v1, v2, v1
	v_div_scale_f32 v2, vcc_lo, 1.0, v21, 1.0
	v_mul_f32_e32 v3, v2, v1
	s_delay_alu instid0(VALU_DEP_1) | instskip(NEXT) | instid1(VALU_DEP_1)
	v_fma_f32 v4, -v0, v3, v2
	v_fmac_f32_e32 v3, v4, v1
	s_delay_alu instid0(VALU_DEP_1) | instskip(SKIP_1) | instid1(VALU_DEP_1)
	v_fma_f32 v0, -v0, v3, v2
	s_wait_alu 0xfffd
	v_div_fmas_f32 v0, v0, v1, v3
	s_delay_alu instid0(VALU_DEP_1)
	v_div_fixup_f32 v2, v0, v21, 1.0
.LBB52_161:
	scratch_load_b32 v0, off, off offset:88 th:TH_LOAD_LU ; 4-byte Folded Reload
	s_wait_loadcnt 0x0
	v_add_nc_u32_e32 v0, s1, v0
	s_delay_alu instid0(VALU_DEP_1) | instskip(NEXT) | instid1(VALU_DEP_1)
	v_mad_co_u64_u32 v[0:1], null, v0, s39, s[34:35]
	v_mad_co_u64_u32 v[0:1], null, s0, v0, s[26:27]
	s_and_saveexec_b32 s4, s2
	s_cbranch_execz .LBB52_163
; %bb.162:
	scratch_load_b64 v[3:4], off, off offset:72 ; 8-byte Folded Reload
	v_lshrrev_b32_e32 v1, 16, v132
	v_lshrrev_b32_e32 v8, 16, v131
	v_cvt_f32_f16_e64 v9, v132
	v_cvt_f32_f16_e64 v12, v131
	s_delay_alu instid0(VALU_DEP_4) | instskip(NEXT) | instid1(VALU_DEP_4)
	v_cvt_f32_f16_e32 v1, v1
	v_cvt_f32_f16_e32 v8, v8
	s_delay_alu instid0(VALU_DEP_4) | instskip(NEXT) | instid1(VALU_DEP_3)
	v_mul_f32_e32 v10, v2, v9
	v_mul_f32_e32 v11, v2, v1
	s_delay_alu instid0(VALU_DEP_3) | instskip(SKIP_4) | instid1(VALU_DEP_1)
	v_mul_f32_e32 v9, v2, v8
	v_mul_f32_e32 v8, v2, v12
	s_wait_loadcnt 0x0
	v_mad_co_u64_u32 v[3:4], null, 0x60, v0, v[3:4]
	v_mov_b32_e32 v4, 0
	v_lshlrev_b64_e32 v[3:4], 2, v[3:4]
	s_delay_alu instid0(VALU_DEP_1) | instskip(SKIP_1) | instid1(VALU_DEP_2)
	v_add_co_u32 v3, vcc_lo, s28, v3
	s_wait_alu 0xfffd
	v_add_co_ci_u32_e64 v4, null, s29, v4, vcc_lo
	global_store_b128 v[3:4], v[8:11], off
.LBB52_163:
	s_wait_alu 0xfffe
	s_or_b32 exec_lo, exec_lo, s4
	s_and_saveexec_b32 s4, s3
	s_cbranch_execz .LBB52_165
; %bb.164:
	v_ashrrev_i32_e32 v1, 31, v0
	v_mov_b32_e32 v12, v5
	s_delay_alu instid0(VALU_DEP_2) | instskip(NEXT) | instid1(VALU_DEP_1)
	v_lshlrev_b64_e32 v[0:1], 3, v[0:1]
	v_add_co_u32 v0, vcc_lo, s30, v0
	s_wait_alu 0xfffd
	s_delay_alu instid0(VALU_DEP_2)
	v_add_co_ci_u32_e64 v1, null, s31, v1, vcc_lo
	global_store_b64 v[0:1], v[12:13], off
.LBB52_165:
	s_wait_alu 0xfffe
	s_or_b32 exec_lo, exec_lo, s4
	scratch_load_b32 v0, off, off offset:92 ; 4-byte Folded Reload
	s_wait_loadcnt 0x0
	v_add_nc_u32_e32 v0, s33, v0
	s_delay_alu instid0(VALU_DEP_1)
	v_cmp_gt_i32_e32 vcc_lo, s38, v0
	s_and_b32 exec_lo, exec_lo, vcc_lo
	s_cbranch_execz .LBB52_122
; %bb.166:
	v_cmp_ne_u32_e32 vcc_lo, 1, v24
	v_mov_b32_e32 v2, 1.0
	s_cbranch_vccnz .LBB52_168
; %bb.167:
	v_div_scale_f32 v0, null, v22, v22, 1.0
	s_delay_alu instid0(VALU_DEP_1) | instskip(NEXT) | instid1(TRANS32_DEP_1)
	v_rcp_f32_e32 v1, v0
	v_fma_f32 v2, -v0, v1, 1.0
	s_delay_alu instid0(VALU_DEP_1) | instskip(SKIP_1) | instid1(VALU_DEP_1)
	v_fmac_f32_e32 v1, v2, v1
	v_div_scale_f32 v2, vcc_lo, 1.0, v22, 1.0
	v_mul_f32_e32 v3, v2, v1
	s_delay_alu instid0(VALU_DEP_1) | instskip(NEXT) | instid1(VALU_DEP_1)
	v_fma_f32 v4, -v0, v3, v2
	v_fmac_f32_e32 v3, v4, v1
	s_delay_alu instid0(VALU_DEP_1) | instskip(SKIP_1) | instid1(VALU_DEP_1)
	v_fma_f32 v0, -v0, v3, v2
	s_wait_alu 0xfffd
	v_div_fmas_f32 v0, v0, v1, v3
	s_delay_alu instid0(VALU_DEP_1)
	v_div_fixup_f32 v2, v0, v22, 1.0
.LBB52_168:
	scratch_load_b32 v0, off, off offset:92 th:TH_LOAD_LU ; 4-byte Folded Reload
	s_wait_loadcnt 0x0
	v_add_nc_u32_e32 v0, s1, v0
	s_delay_alu instid0(VALU_DEP_1) | instskip(NEXT) | instid1(VALU_DEP_1)
	v_mad_co_u64_u32 v[0:1], null, v0, s39, s[34:35]
	v_mad_co_u64_u32 v[0:1], null, s0, v0, s[26:27]
	s_and_saveexec_b32 s4, s2
	s_cbranch_execz .LBB52_170
; %bb.169:
	scratch_load_b64 v[3:4], off, off offset:72 ; 8-byte Folded Reload
	v_lshrrev_b32_e32 v1, 16, v130
	v_lshrrev_b32_e32 v5, 16, v129
	v_cvt_f32_f16_e64 v10, v130
	v_cvt_f32_f16_e64 v11, v129
	s_delay_alu instid0(VALU_DEP_4) | instskip(NEXT) | instid1(VALU_DEP_4)
	v_cvt_f32_f16_e32 v1, v1
	v_cvt_f32_f16_e32 v12, v5
	s_delay_alu instid0(VALU_DEP_2) | instskip(SKIP_3) | instid1(VALU_DEP_1)
	v_mul_f32_e32 v5, v2, v1
	s_wait_loadcnt 0x0
	v_mad_co_u64_u32 v[3:4], null, 0x60, v0, v[3:4]
	v_mov_b32_e32 v4, 0
	v_lshlrev_b64_e32 v[3:4], 2, v[3:4]
	s_delay_alu instid0(VALU_DEP_1) | instskip(SKIP_1) | instid1(VALU_DEP_2)
	v_add_co_u32 v8, vcc_lo, s28, v3
	s_wait_alu 0xfffd
	v_add_co_ci_u32_e64 v9, null, s29, v4, vcc_lo
	v_mul_f32_e32 v4, v2, v10
	v_mul_f32_e32 v3, v2, v12
	;; [unrolled: 1-line block ×3, first 2 shown]
	global_store_b128 v[8:9], v[2:5], off
.LBB52_170:
	s_wait_alu 0xfffe
	s_or_b32 exec_lo, exec_lo, s4
	s_and_saveexec_b32 s4, s3
	s_cbranch_execz .LBB52_172
; %bb.171:
	v_ashrrev_i32_e32 v1, 31, v0
	v_mov_b32_e32 v13, v6
	s_delay_alu instid0(VALU_DEP_2) | instskip(NEXT) | instid1(VALU_DEP_1)
	v_lshlrev_b64_e32 v[0:1], 3, v[0:1]
	v_add_co_u32 v0, vcc_lo, s30, v0
	s_wait_alu 0xfffd
	s_delay_alu instid0(VALU_DEP_2)
	v_add_co_ci_u32_e64 v1, null, s31, v1, vcc_lo
	global_store_b64 v[0:1], v[13:14], off
.LBB52_172:
	s_wait_alu 0xfffe
	s_or_b32 exec_lo, exec_lo, s4
	scratch_load_b32 v0, off, off offset:96 ; 4-byte Folded Reload
	s_wait_loadcnt 0x0
	v_add_nc_u32_e32 v0, s33, v0
	s_delay_alu instid0(VALU_DEP_1)
	v_cmp_gt_i32_e32 vcc_lo, s38, v0
	s_and_b32 exec_lo, exec_lo, vcc_lo
	s_cbranch_execz .LBB52_122
; %bb.173:
	v_cmp_ne_u32_e32 vcc_lo, 1, v24
	v_mov_b32_e32 v2, 1.0
	s_cbranch_vccnz .LBB52_175
; %bb.174:
	v_div_scale_f32 v0, null, v23, v23, 1.0
	s_delay_alu instid0(VALU_DEP_1) | instskip(NEXT) | instid1(TRANS32_DEP_1)
	v_rcp_f32_e32 v1, v0
	v_fma_f32 v2, -v0, v1, 1.0
	s_delay_alu instid0(VALU_DEP_1) | instskip(SKIP_1) | instid1(VALU_DEP_1)
	v_fmac_f32_e32 v1, v2, v1
	v_div_scale_f32 v2, vcc_lo, 1.0, v23, 1.0
	v_mul_f32_e32 v3, v2, v1
	s_delay_alu instid0(VALU_DEP_1) | instskip(NEXT) | instid1(VALU_DEP_1)
	v_fma_f32 v4, -v0, v3, v2
	v_fmac_f32_e32 v3, v4, v1
	s_delay_alu instid0(VALU_DEP_1) | instskip(SKIP_1) | instid1(VALU_DEP_1)
	v_fma_f32 v0, -v0, v3, v2
	s_wait_alu 0xfffd
	v_div_fmas_f32 v0, v0, v1, v3
	s_delay_alu instid0(VALU_DEP_1)
	v_div_fixup_f32 v2, v0, v23, 1.0
.LBB52_175:
	scratch_load_b32 v0, off, off offset:96 th:TH_LOAD_LU ; 4-byte Folded Reload
	s_wait_loadcnt 0x0
	v_add_nc_u32_e32 v0, s1, v0
	s_delay_alu instid0(VALU_DEP_1) | instskip(NEXT) | instid1(VALU_DEP_1)
	v_mad_co_u64_u32 v[0:1], null, v0, s39, s[34:35]
	v_mad_co_u64_u32 v[0:1], null, s0, v0, s[26:27]
	s_and_saveexec_b32 s0, s2
	s_cbranch_execz .LBB52_177
; %bb.176:
	scratch_load_b64 v[3:4], off, off offset:72 th:TH_LOAD_LU ; 8-byte Folded Reload
	v_lshrrev_b32_e32 v1, 16, v127
	v_lshrrev_b32_e32 v5, 16, v128
	v_cvt_f32_f16_e32 v6, v127
	v_cvt_f32_f16_e64 v10, v128
	s_delay_alu instid0(VALU_DEP_4) | instskip(NEXT) | instid1(VALU_DEP_4)
	v_cvt_f32_f16_e32 v1, v1
	v_cvt_f32_f16_e32 v11, v5
	s_delay_alu instid0(VALU_DEP_2) | instskip(SKIP_3) | instid1(VALU_DEP_1)
	v_mul_f32_e32 v5, v2, v1
	s_wait_loadcnt 0x0
	v_mad_co_u64_u32 v[3:4], null, 0x60, v0, v[3:4]
	v_mov_b32_e32 v4, 0
	v_lshlrev_b64_e32 v[3:4], 2, v[3:4]
	s_delay_alu instid0(VALU_DEP_1) | instskip(SKIP_1) | instid1(VALU_DEP_2)
	v_add_co_u32 v8, vcc_lo, s28, v3
	s_wait_alu 0xfffd
	v_add_co_ci_u32_e64 v9, null, s29, v4, vcc_lo
	v_mul_f32_e32 v4, v2, v6
	v_mul_f32_e32 v3, v2, v11
	v_mul_f32_e32 v2, v2, v10
	global_store_b128 v[8:9], v[2:5], off
.LBB52_177:
	s_wait_alu 0xfffe
	s_or_b32 exec_lo, exec_lo, s0
	s_delay_alu instid0(SALU_CYCLE_1)
	s_and_b32 exec_lo, exec_lo, s3
	s_cbranch_execz .LBB52_122
; %bb.178:
	v_ashrrev_i32_e32 v1, 31, v0
	v_mov_b32_e32 v14, v7
	s_delay_alu instid0(VALU_DEP_2) | instskip(NEXT) | instid1(VALU_DEP_1)
	v_lshlrev_b64_e32 v[0:1], 3, v[0:1]
	v_add_co_u32 v0, vcc_lo, s30, v0
	s_wait_alu 0xfffd
	s_delay_alu instid0(VALU_DEP_2)
	v_add_co_ci_u32_e64 v1, null, s31, v1, vcc_lo
	global_store_b64 v[0:1], v[14:15], off
	s_endpgm
	.section	.rodata,"a",@progbits
	.p2align	6, 0x0
	.amdhsa_kernel _ZL15flash_attn_tileILi96ELi96ELi64ELi1ELb0EEvPKcS1_S1_S1_S1_PKiPfP15HIP_vector_typeIfLj2EEffffjfiS5_IjLj3EEiiiiiiiiiiiliiliiiiil
		.amdhsa_group_segment_fixed_size 20096
		.amdhsa_private_segment_fixed_size 192
		.amdhsa_kernarg_size 464
		.amdhsa_user_sgpr_count 2
		.amdhsa_user_sgpr_dispatch_ptr 0
		.amdhsa_user_sgpr_queue_ptr 0
		.amdhsa_user_sgpr_kernarg_segment_ptr 1
		.amdhsa_user_sgpr_dispatch_id 0
		.amdhsa_user_sgpr_private_segment_size 0
		.amdhsa_wavefront_size32 1
		.amdhsa_uses_dynamic_stack 0
		.amdhsa_enable_private_segment 1
		.amdhsa_system_sgpr_workgroup_id_x 1
		.amdhsa_system_sgpr_workgroup_id_y 1
		.amdhsa_system_sgpr_workgroup_id_z 1
		.amdhsa_system_sgpr_workgroup_info 0
		.amdhsa_system_vgpr_workitem_id 1
		.amdhsa_next_free_vgpr 256
		.amdhsa_next_free_sgpr 60
		.amdhsa_reserve_vcc 1
		.amdhsa_float_round_mode_32 0
		.amdhsa_float_round_mode_16_64 0
		.amdhsa_float_denorm_mode_32 3
		.amdhsa_float_denorm_mode_16_64 3
		.amdhsa_fp16_overflow 0
		.amdhsa_workgroup_processor_mode 1
		.amdhsa_memory_ordered 1
		.amdhsa_forward_progress 1
		.amdhsa_inst_pref_size 255
		.amdhsa_round_robin_scheduling 0
		.amdhsa_exception_fp_ieee_invalid_op 0
		.amdhsa_exception_fp_denorm_src 0
		.amdhsa_exception_fp_ieee_div_zero 0
		.amdhsa_exception_fp_ieee_overflow 0
		.amdhsa_exception_fp_ieee_underflow 0
		.amdhsa_exception_fp_ieee_inexact 0
		.amdhsa_exception_int_div_zero 0
	.end_amdhsa_kernel
	.section	.text._ZL15flash_attn_tileILi96ELi96ELi64ELi1ELb0EEvPKcS1_S1_S1_S1_PKiPfP15HIP_vector_typeIfLj2EEffffjfiS5_IjLj3EEiiiiiiiiiiiliiliiiiil,"axG",@progbits,_ZL15flash_attn_tileILi96ELi96ELi64ELi1ELb0EEvPKcS1_S1_S1_S1_PKiPfP15HIP_vector_typeIfLj2EEffffjfiS5_IjLj3EEiiiiiiiiiiiliiliiiiil,comdat
.Lfunc_end52:
	.size	_ZL15flash_attn_tileILi96ELi96ELi64ELi1ELb0EEvPKcS1_S1_S1_S1_PKiPfP15HIP_vector_typeIfLj2EEffffjfiS5_IjLj3EEiiiiiiiiiiiliiliiiiil, .Lfunc_end52-_ZL15flash_attn_tileILi96ELi96ELi64ELi1ELb0EEvPKcS1_S1_S1_S1_PKiPfP15HIP_vector_typeIfLj2EEffffjfiS5_IjLj3EEiiiiiiiiiiiliiliiiiil
                                        ; -- End function
	.set _ZL15flash_attn_tileILi96ELi96ELi64ELi1ELb0EEvPKcS1_S1_S1_S1_PKiPfP15HIP_vector_typeIfLj2EEffffjfiS5_IjLj3EEiiiiiiiiiiiliiliiiiil.num_vgpr, 256
	.set _ZL15flash_attn_tileILi96ELi96ELi64ELi1ELb0EEvPKcS1_S1_S1_S1_PKiPfP15HIP_vector_typeIfLj2EEffffjfiS5_IjLj3EEiiiiiiiiiiiliiliiiiil.num_agpr, 0
	.set _ZL15flash_attn_tileILi96ELi96ELi64ELi1ELb0EEvPKcS1_S1_S1_S1_PKiPfP15HIP_vector_typeIfLj2EEffffjfiS5_IjLj3EEiiiiiiiiiiiliiliiiiil.numbered_sgpr, 60
	.set _ZL15flash_attn_tileILi96ELi96ELi64ELi1ELb0EEvPKcS1_S1_S1_S1_PKiPfP15HIP_vector_typeIfLj2EEffffjfiS5_IjLj3EEiiiiiiiiiiiliiliiiiil.num_named_barrier, 0
	.set _ZL15flash_attn_tileILi96ELi96ELi64ELi1ELb0EEvPKcS1_S1_S1_S1_PKiPfP15HIP_vector_typeIfLj2EEffffjfiS5_IjLj3EEiiiiiiiiiiiliiliiiiil.private_seg_size, 192
	.set _ZL15flash_attn_tileILi96ELi96ELi64ELi1ELb0EEvPKcS1_S1_S1_S1_PKiPfP15HIP_vector_typeIfLj2EEffffjfiS5_IjLj3EEiiiiiiiiiiiliiliiiiil.uses_vcc, 1
	.set _ZL15flash_attn_tileILi96ELi96ELi64ELi1ELb0EEvPKcS1_S1_S1_S1_PKiPfP15HIP_vector_typeIfLj2EEffffjfiS5_IjLj3EEiiiiiiiiiiiliiliiiiil.uses_flat_scratch, 1
	.set _ZL15flash_attn_tileILi96ELi96ELi64ELi1ELb0EEvPKcS1_S1_S1_S1_PKiPfP15HIP_vector_typeIfLj2EEffffjfiS5_IjLj3EEiiiiiiiiiiiliiliiiiil.has_dyn_sized_stack, 0
	.set _ZL15flash_attn_tileILi96ELi96ELi64ELi1ELb0EEvPKcS1_S1_S1_S1_PKiPfP15HIP_vector_typeIfLj2EEffffjfiS5_IjLj3EEiiiiiiiiiiiliiliiiiil.has_recursion, 0
	.set _ZL15flash_attn_tileILi96ELi96ELi64ELi1ELb0EEvPKcS1_S1_S1_S1_PKiPfP15HIP_vector_typeIfLj2EEffffjfiS5_IjLj3EEiiiiiiiiiiiliiliiiiil.has_indirect_call, 0
	.section	.AMDGPU.csdata,"",@progbits
; Kernel info:
; codeLenInByte = 44048
; TotalNumSgprs: 62
; NumVgprs: 256
; ScratchSize: 192
; MemoryBound: 0
; FloatMode: 240
; IeeeMode: 1
; LDSByteSize: 20096 bytes/workgroup (compile time only)
; SGPRBlocks: 0
; VGPRBlocks: 31
; NumSGPRsForWavesPerEU: 62
; NumVGPRsForWavesPerEU: 256
; Occupancy: 5
; WaveLimiterHint : 1
; COMPUTE_PGM_RSRC2:SCRATCH_EN: 1
; COMPUTE_PGM_RSRC2:USER_SGPR: 2
; COMPUTE_PGM_RSRC2:TRAP_HANDLER: 0
; COMPUTE_PGM_RSRC2:TGID_X_EN: 1
; COMPUTE_PGM_RSRC2:TGID_Y_EN: 1
; COMPUTE_PGM_RSRC2:TGID_Z_EN: 1
; COMPUTE_PGM_RSRC2:TIDIG_COMP_CNT: 1
	.section	.text._ZL25flash_attn_mask_to_KV_maxILi64EEvPK7__half2Piiii,"axG",@progbits,_ZL25flash_attn_mask_to_KV_maxILi64EEvPK7__half2Piiii,comdat
	.globl	_ZL25flash_attn_mask_to_KV_maxILi64EEvPK7__half2Piiii ; -- Begin function _ZL25flash_attn_mask_to_KV_maxILi64EEvPK7__half2Piiii
	.p2align	8
	.type	_ZL25flash_attn_mask_to_KV_maxILi64EEvPK7__half2Piiii,@function
_ZL25flash_attn_mask_to_KV_maxILi64EEvPK7__half2Piiii: ; @_ZL25flash_attn_mask_to_KV_maxILi64EEvPK7__half2Piiii
; %bb.0:
	s_load_b64 s[8:9], s[0:1], 0x0
	s_mov_b32 s2, exec_lo
	v_cmpx_gt_u32_e32 32, v0
; %bb.1:
	v_dual_mov_b32 v2, 1 :: v_dual_lshlrev_b32 v1, 2, v0
	ds_store_b32 v1, v2
; %bb.2:
	s_or_b32 exec_lo, exec_lo, s2
	s_clause 0x2
	s_load_b96 s[4:6], s[0:1], 0x10
	s_load_b64 s[2:3], s[0:1], 0x8
	s_load_b32 s1, s[0:1], 0x20
	v_dual_mov_b32 v2, 0 :: v_dual_and_b32 v1, 31, v0
	v_lshrrev_b32_e32 v5, 3, v0
	s_wait_dscnt 0x0
	s_barrier_signal -1
	s_delay_alu instid0(VALU_DEP_2)
	v_lshlrev_b32_e32 v6, 2, v1
	s_barrier_wait -1
	global_inv scope:SCOPE_SE
	s_wait_kmcnt 0x0
	s_mul_i32 s0, ttmp9, s5
	s_mul_i32 s6, s6, ttmp7
	s_lshl_b32 s0, s0, 6
	s_delay_alu instid0(SALU_CYCLE_1) | instskip(SKIP_2) | instid1(SALU_CYCLE_1)
	s_add_co_i32 s6, s6, s0
	v_cmp_eq_u32_e64 s0, 0, v1
	s_ashr_i32 s7, s6, 31
	s_lshl_b64 s[6:7], s[6:7], 2
	s_delay_alu instid0(SALU_CYCLE_1)
	s_add_nc_u64 s[6:7], s[8:9], s[6:7]
	s_lshl_b32 s8, s4, 8
	s_branch .LBB53_4
.LBB53_3:                               ;   in Loop: Header=BB53_4 Depth=1
	s_wait_alu 0xfffe
	s_or_b32 exec_lo, exec_lo, s9
	s_wait_dscnt 0x0
	s_barrier_signal -1
	s_barrier_wait -1
	global_inv scope:SCOPE_SE
	ds_load_b32 v1, v6
	s_wait_loadcnt_dscnt 0x0
	s_barrier_signal -1
	s_barrier_wait -1
	global_inv scope:SCOPE_SE
	v_cmp_ne_u32_e32 vcc_lo, 0, v1
	s_cmp_lg_u32 vcc_lo, exec_lo
	s_cselect_b32 s9, -1, 0
	s_wait_alu 0xfffe
	s_and_b32 vcc_lo, exec_lo, s9
	s_wait_alu 0xfffe
	s_cbranch_vccnz .LBB53_260
.LBB53_4:                               ; =>This Inner Loop Header: Depth=1
	s_mov_b32 s4, s8
	s_addk_co_i32 s8, 0xff00
	s_wait_alu 0xfffe
	s_cmp_lt_i32 s8, 0
	s_cbranch_scc1 .LBB53_259
; %bb.5:                                ;   in Loop: Header=BB53_4 Depth=1
	s_lshr_b32 s9, s8, 1
	s_wait_alu 0xfffe
	v_add_nc_u32_e32 v1, s9, v0
	s_delay_alu instid0(VALU_DEP_1) | instskip(NEXT) | instid1(VALU_DEP_1)
	v_lshlrev_b64_e32 v[3:4], 2, v[1:2]
	v_add_co_u32 v3, vcc_lo, s6, v3
	s_wait_alu 0xfffd
	s_delay_alu instid0(VALU_DEP_2) | instskip(SKIP_4) | instid1(VALU_DEP_2)
	v_add_co_ci_u32_e64 v4, null, s7, v4, vcc_lo
	global_load_b32 v3, v[3:4], off
	s_wait_loadcnt 0x0
	v_lshrrev_b32_e32 v4, 16, v3
	v_cmp_class_f16_e64 s9, v3, 0x204
	v_cmp_class_f16_e64 s10, v4, 0x204
	s_and_b32 s11, s9, s10
	s_mov_b32 s10, 0
	s_wait_alu 0xfffe
	s_and_saveexec_b32 s9, s11
	s_cbranch_execz .LBB53_257
; %bb.6:                                ;   in Loop: Header=BB53_4 Depth=1
	v_add_nc_u32_e32 v3, s5, v1
	s_mov_b32 s11, 0
	s_delay_alu instid0(VALU_DEP_1) | instskip(NEXT) | instid1(VALU_DEP_1)
	v_ashrrev_i32_e32 v4, 31, v3
	v_lshlrev_b64_e32 v[7:8], 2, v[3:4]
	s_delay_alu instid0(VALU_DEP_1) | instskip(SKIP_1) | instid1(VALU_DEP_2)
	v_add_co_u32 v7, vcc_lo, s6, v7
	s_wait_alu 0xfffd
	v_add_co_ci_u32_e64 v8, null, s7, v8, vcc_lo
	global_load_b32 v1, v[7:8], off
	s_wait_loadcnt 0x0
	v_cmp_class_f16_e64 s12, v1, 0x204
	s_and_saveexec_b32 s10, s12
	s_cbranch_execz .LBB53_256
; %bb.7:                                ;   in Loop: Header=BB53_4 Depth=1
	v_lshrrev_b32_e32 v1, 16, v1
	s_mov_b32 s12, 0
	s_delay_alu instid0(VALU_DEP_1)
	v_cmp_class_f16_e64 s13, v1, 0x204
	s_and_saveexec_b32 s11, s13
	s_cbranch_execz .LBB53_255
; %bb.8:                                ;   in Loop: Header=BB53_4 Depth=1
	v_add_nc_u32_e32 v3, s5, v3
	s_mov_b32 s13, 0
	s_delay_alu instid0(VALU_DEP_1) | instskip(NEXT) | instid1(VALU_DEP_1)
	v_ashrrev_i32_e32 v4, 31, v3
	v_lshlrev_b64_e32 v[7:8], 2, v[3:4]
	s_delay_alu instid0(VALU_DEP_1) | instskip(SKIP_1) | instid1(VALU_DEP_2)
	v_add_co_u32 v7, vcc_lo, s6, v7
	s_wait_alu 0xfffd
	v_add_co_ci_u32_e64 v8, null, s7, v8, vcc_lo
	global_load_b32 v1, v[7:8], off
	s_wait_loadcnt 0x0
	v_cmp_class_f16_e64 s14, v1, 0x204
	s_and_saveexec_b32 s12, s14
	s_cbranch_execz .LBB53_254
; %bb.9:                                ;   in Loop: Header=BB53_4 Depth=1
	v_lshrrev_b32_e32 v1, 16, v1
	s_mov_b32 s14, 0
	s_delay_alu instid0(VALU_DEP_1)
	v_cmp_class_f16_e64 s15, v1, 0x204
	s_and_saveexec_b32 s13, s15
	s_cbranch_execz .LBB53_253
; %bb.10:                               ;   in Loop: Header=BB53_4 Depth=1
	v_add_nc_u32_e32 v3, s5, v3
	s_mov_b32 s15, 0
	s_delay_alu instid0(VALU_DEP_1) | instskip(NEXT) | instid1(VALU_DEP_1)
	v_ashrrev_i32_e32 v4, 31, v3
	v_lshlrev_b64_e32 v[7:8], 2, v[3:4]
	s_delay_alu instid0(VALU_DEP_1) | instskip(SKIP_1) | instid1(VALU_DEP_2)
	v_add_co_u32 v7, vcc_lo, s6, v7
	s_wait_alu 0xfffd
	v_add_co_ci_u32_e64 v8, null, s7, v8, vcc_lo
	global_load_b32 v1, v[7:8], off
	s_wait_loadcnt 0x0
	v_cmp_class_f16_e64 s16, v1, 0x204
	s_and_saveexec_b32 s14, s16
	s_cbranch_execz .LBB53_252
; %bb.11:                               ;   in Loop: Header=BB53_4 Depth=1
	v_lshrrev_b32_e32 v1, 16, v1
	s_mov_b32 s16, 0
	s_delay_alu instid0(VALU_DEP_1)
	v_cmp_class_f16_e64 s17, v1, 0x204
	s_and_saveexec_b32 s15, s17
	s_cbranch_execz .LBB53_251
; %bb.12:                               ;   in Loop: Header=BB53_4 Depth=1
	v_add_nc_u32_e32 v3, s5, v3
	s_mov_b32 s17, 0
	s_delay_alu instid0(VALU_DEP_1) | instskip(NEXT) | instid1(VALU_DEP_1)
	v_ashrrev_i32_e32 v4, 31, v3
	v_lshlrev_b64_e32 v[7:8], 2, v[3:4]
	s_delay_alu instid0(VALU_DEP_1) | instskip(SKIP_1) | instid1(VALU_DEP_2)
	v_add_co_u32 v7, vcc_lo, s6, v7
	s_wait_alu 0xfffd
	v_add_co_ci_u32_e64 v8, null, s7, v8, vcc_lo
	global_load_b32 v1, v[7:8], off
	s_wait_loadcnt 0x0
	v_cmp_class_f16_e64 s18, v1, 0x204
	s_and_saveexec_b32 s16, s18
	s_cbranch_execz .LBB53_250
; %bb.13:                               ;   in Loop: Header=BB53_4 Depth=1
	;; [unrolled: 22-line block ×24, first 2 shown]
	v_lshrrev_b32_e32 v1, 16, v1
	s_mov_b32 s63, 0
	s_delay_alu instid0(VALU_DEP_1)
	v_cmp_class_f16_e64 s64, v1, 0x204
	s_and_saveexec_b32 s62, s64
	s_cbranch_execz .LBB53_205
; %bb.58:                               ;   in Loop: Header=BB53_4 Depth=1
	v_add_nc_u32_e32 v3, s5, v3
	s_delay_alu instid0(VALU_DEP_1) | instskip(NEXT) | instid1(VALU_DEP_1)
	v_ashrrev_i32_e32 v4, 31, v3
	v_lshlrev_b64_e32 v[7:8], 2, v[3:4]
	s_delay_alu instid0(VALU_DEP_1) | instskip(SKIP_1) | instid1(VALU_DEP_2)
	v_add_co_u32 v7, vcc_lo, s6, v7
	s_wait_alu 0xfffd
	v_add_co_ci_u32_e64 v8, null, s7, v8, vcc_lo
	global_load_b32 v1, v[7:8], off
	s_wait_loadcnt 0x0
	v_cmp_class_f16_e64 s64, v1, 0x204
	s_mov_b32 s65, exec_lo
	s_wait_alu 0xfffe
	s_and_b32 s64, s65, s64
                                        ; implicit-def: $vgpr9 : SGPR spill to VGPR lane
	v_writelane_b32 v9, s65, 0
	s_wait_alu 0xfffe
	s_mov_b32 exec_lo, s64
	s_cbranch_execz .LBB53_204
; %bb.59:                               ;   in Loop: Header=BB53_4 Depth=1
	v_lshrrev_b32_e32 v1, 16, v1
	s_delay_alu instid0(VALU_DEP_1)
	v_cmp_class_f16_e64 s64, v1, 0x204
	s_mov_b32 s65, exec_lo
	s_wait_alu 0xfffe
	s_and_b32 s64, s65, s64
	v_writelane_b32 v9, s65, 1
	s_wait_alu 0xfffe
	s_mov_b32 exec_lo, s64
	s_cbranch_execz .LBB53_203
; %bb.60:                               ;   in Loop: Header=BB53_4 Depth=1
	v_add_nc_u32_e32 v3, s5, v3
	s_delay_alu instid0(VALU_DEP_1) | instskip(NEXT) | instid1(VALU_DEP_1)
	v_ashrrev_i32_e32 v4, 31, v3
	v_lshlrev_b64_e32 v[7:8], 2, v[3:4]
	s_delay_alu instid0(VALU_DEP_1) | instskip(SKIP_1) | instid1(VALU_DEP_2)
	v_add_co_u32 v7, vcc_lo, s6, v7
	s_wait_alu 0xfffd
	v_add_co_ci_u32_e64 v8, null, s7, v8, vcc_lo
	global_load_b32 v1, v[7:8], off
	s_wait_loadcnt 0x0
	v_cmp_class_f16_e64 s64, v1, 0x204
	s_mov_b32 s65, exec_lo
	s_wait_alu 0xfffe
	s_and_b32 s64, s65, s64
	v_writelane_b32 v9, s65, 2
	s_wait_alu 0xfffe
	s_mov_b32 exec_lo, s64
	s_cbranch_execz .LBB53_202
; %bb.61:                               ;   in Loop: Header=BB53_4 Depth=1
	v_lshrrev_b32_e32 v1, 16, v1
	s_delay_alu instid0(VALU_DEP_1)
	v_cmp_class_f16_e64 s64, v1, 0x204
	s_mov_b32 s65, exec_lo
	s_wait_alu 0xfffe
	s_and_b32 s64, s65, s64
	v_writelane_b32 v9, s65, 3
	s_wait_alu 0xfffe
	s_mov_b32 exec_lo, s64
	s_cbranch_execz .LBB53_201
; %bb.62:                               ;   in Loop: Header=BB53_4 Depth=1
	v_add_nc_u32_e32 v3, s5, v3
	s_delay_alu instid0(VALU_DEP_1) | instskip(NEXT) | instid1(VALU_DEP_1)
	v_ashrrev_i32_e32 v4, 31, v3
	v_lshlrev_b64_e32 v[7:8], 2, v[3:4]
	s_delay_alu instid0(VALU_DEP_1) | instskip(SKIP_1) | instid1(VALU_DEP_2)
	v_add_co_u32 v7, vcc_lo, s6, v7
	s_wait_alu 0xfffd
	v_add_co_ci_u32_e64 v8, null, s7, v8, vcc_lo
	global_load_b32 v1, v[7:8], off
	s_wait_loadcnt 0x0
	v_cmp_class_f16_e64 s64, v1, 0x204
	s_mov_b32 s65, exec_lo
	s_wait_alu 0xfffe
	s_and_b32 s64, s65, s64
	;; [unrolled: 30-line block ×15, first 2 shown]
	v_writelane_b32 v9, s65, 30
	s_wait_alu 0xfffe
	s_mov_b32 exec_lo, s64
	s_cbranch_execz .LBB53_174
; %bb.89:                               ;   in Loop: Header=BB53_4 Depth=1
	v_lshrrev_b32_e32 v1, 16, v1
	s_delay_alu instid0(VALU_DEP_1)
	v_cmp_class_f16_e64 s64, v1, 0x204
	s_and_saveexec_b32 s94, s64
	s_cbranch_execz .LBB53_173
; %bb.90:                               ;   in Loop: Header=BB53_4 Depth=1
	v_add_nc_u32_e32 v3, s5, v3
	s_delay_alu instid0(VALU_DEP_1) | instskip(NEXT) | instid1(VALU_DEP_1)
	v_ashrrev_i32_e32 v4, 31, v3
	v_lshlrev_b64_e32 v[7:8], 2, v[3:4]
	s_delay_alu instid0(VALU_DEP_1) | instskip(SKIP_1) | instid1(VALU_DEP_2)
	v_add_co_u32 v7, vcc_lo, s6, v7
	s_wait_alu 0xfffd
	v_add_co_ci_u32_e64 v8, null, s7, v8, vcc_lo
	global_load_b32 v1, v[7:8], off
	s_wait_loadcnt 0x0
	v_cmp_class_f16_e64 s64, v1, 0x204
	s_and_saveexec_b32 s95, s64
	s_cbranch_execz .LBB53_172
; %bb.91:                               ;   in Loop: Header=BB53_4 Depth=1
	v_lshrrev_b32_e32 v1, 16, v1
	s_delay_alu instid0(VALU_DEP_1)
	v_cmp_class_f16_e64 s64, v1, 0x204
	s_and_saveexec_b32 s96, s64
	s_cbranch_execz .LBB53_171
; %bb.92:                               ;   in Loop: Header=BB53_4 Depth=1
	v_add_nc_u32_e32 v3, s5, v3
	s_delay_alu instid0(VALU_DEP_1) | instskip(NEXT) | instid1(VALU_DEP_1)
	v_ashrrev_i32_e32 v4, 31, v3
	v_lshlrev_b64_e32 v[7:8], 2, v[3:4]
	s_delay_alu instid0(VALU_DEP_1) | instskip(SKIP_1) | instid1(VALU_DEP_2)
	v_add_co_u32 v7, vcc_lo, s6, v7
	s_wait_alu 0xfffd
	v_add_co_ci_u32_e64 v8, null, s7, v8, vcc_lo
	global_load_b32 v1, v[7:8], off
	s_wait_loadcnt 0x0
	v_cmp_class_f16_e64 s64, v1, 0x204
	s_and_saveexec_b32 s97, s64
	s_cbranch_execz .LBB53_170
; %bb.93:                               ;   in Loop: Header=BB53_4 Depth=1
	v_lshrrev_b32_e32 v1, 16, v1
	s_delay_alu instid0(VALU_DEP_1)
	v_cmp_class_f16_e64 s64, v1, 0x204
	s_and_saveexec_b32 s98, s64
	s_cbranch_execz .LBB53_169
; %bb.94:                               ;   in Loop: Header=BB53_4 Depth=1
	v_add_nc_u32_e32 v3, s5, v3
	s_delay_alu instid0(VALU_DEP_1) | instskip(NEXT) | instid1(VALU_DEP_1)
	v_ashrrev_i32_e32 v4, 31, v3
	v_lshlrev_b64_e32 v[7:8], 2, v[3:4]
	s_delay_alu instid0(VALU_DEP_1) | instskip(SKIP_1) | instid1(VALU_DEP_2)
	v_add_co_u32 v7, vcc_lo, s6, v7
	s_wait_alu 0xfffd
	v_add_co_ci_u32_e64 v8, null, s7, v8, vcc_lo
	global_load_b32 v1, v[7:8], off
	s_wait_loadcnt 0x0
	v_cmp_class_f16_e64 s64, v1, 0x204
	s_and_saveexec_b32 s99, s64
	s_cbranch_execz .LBB53_168
; %bb.95:                               ;   in Loop: Header=BB53_4 Depth=1
	v_lshrrev_b32_e32 v1, 16, v1
	s_delay_alu instid0(VALU_DEP_1)
	v_cmp_class_f16_e64 s64, v1, 0x204
	s_and_saveexec_b32 s100, s64
	s_cbranch_execz .LBB53_167
; %bb.96:                               ;   in Loop: Header=BB53_4 Depth=1
	v_add_nc_u32_e32 v3, s5, v3
	s_delay_alu instid0(VALU_DEP_1) | instskip(NEXT) | instid1(VALU_DEP_1)
	v_ashrrev_i32_e32 v4, 31, v3
	v_lshlrev_b64_e32 v[7:8], 2, v[3:4]
	s_delay_alu instid0(VALU_DEP_1) | instskip(SKIP_1) | instid1(VALU_DEP_2)
	v_add_co_u32 v7, vcc_lo, s6, v7
	s_wait_alu 0xfffd
	v_add_co_ci_u32_e64 v8, null, s7, v8, vcc_lo
	global_load_b32 v1, v[7:8], off
	s_wait_loadcnt 0x0
	v_cmp_class_f16_e64 s64, v1, 0x204
	s_and_saveexec_b32 s101, s64
	s_cbranch_execz .LBB53_166
; %bb.97:                               ;   in Loop: Header=BB53_4 Depth=1
	v_lshrrev_b32_e32 v1, 16, v1
	s_delay_alu instid0(VALU_DEP_1)
	v_cmp_class_f16_e64 s64, v1, 0x204
	s_and_saveexec_b32 s102, s64
	s_cbranch_execz .LBB53_165
; %bb.98:                               ;   in Loop: Header=BB53_4 Depth=1
	v_add_nc_u32_e32 v3, s5, v3
	s_delay_alu instid0(VALU_DEP_1) | instskip(NEXT) | instid1(VALU_DEP_1)
	v_ashrrev_i32_e32 v4, 31, v3
	v_lshlrev_b64_e32 v[7:8], 2, v[3:4]
	s_delay_alu instid0(VALU_DEP_1) | instskip(SKIP_1) | instid1(VALU_DEP_2)
	v_add_co_u32 v7, vcc_lo, s6, v7
	s_wait_alu 0xfffd
	v_add_co_ci_u32_e64 v8, null, s7, v8, vcc_lo
	global_load_b32 v1, v[7:8], off
	s_wait_loadcnt 0x0
	v_cmp_class_f16_e64 s64, v1, 0x204
	s_and_saveexec_b32 s103, s64
	s_cbranch_execz .LBB53_164
; %bb.99:                               ;   in Loop: Header=BB53_4 Depth=1
	v_lshrrev_b32_e32 v1, 16, v1
	s_delay_alu instid0(VALU_DEP_1)
	v_cmp_class_f16_e64 s64, v1, 0x204
	s_and_saveexec_b32 s104, s64
	s_cbranch_execz .LBB53_163
; %bb.100:                              ;   in Loop: Header=BB53_4 Depth=1
	v_add_nc_u32_e32 v3, s5, v3
	s_delay_alu instid0(VALU_DEP_1) | instskip(NEXT) | instid1(VALU_DEP_1)
	v_ashrrev_i32_e32 v4, 31, v3
	v_lshlrev_b64_e32 v[7:8], 2, v[3:4]
	s_delay_alu instid0(VALU_DEP_1) | instskip(SKIP_1) | instid1(VALU_DEP_2)
	v_add_co_u32 v7, vcc_lo, s6, v7
	s_wait_alu 0xfffd
	v_add_co_ci_u32_e64 v8, null, s7, v8, vcc_lo
	global_load_b32 v1, v[7:8], off
	s_wait_loadcnt 0x0
	v_cmp_class_f16_e64 s64, v1, 0x204
	s_and_saveexec_b32 vcc_hi, s64
	s_cbranch_execz .LBB53_162
; %bb.101:                              ;   in Loop: Header=BB53_4 Depth=1
	v_lshrrev_b32_e32 v1, 16, v1
	s_mov_b32 s64, 0
	s_delay_alu instid0(VALU_DEP_1)
	v_cmp_class_f16_e64 s65, v1, 0x204
	s_and_saveexec_b32 s63, s65
	s_cbranch_execz .LBB53_161
; %bb.102:                              ;   in Loop: Header=BB53_4 Depth=1
	v_add_nc_u32_e32 v3, s5, v3
	s_mov_b32 s65, 0
	s_delay_alu instid0(VALU_DEP_1) | instskip(NEXT) | instid1(VALU_DEP_1)
	v_ashrrev_i32_e32 v4, 31, v3
	v_lshlrev_b64_e32 v[7:8], 2, v[3:4]
	s_delay_alu instid0(VALU_DEP_1) | instskip(SKIP_1) | instid1(VALU_DEP_2)
	v_add_co_u32 v7, vcc_lo, s6, v7
	s_wait_alu 0xfffd
	v_add_co_ci_u32_e64 v8, null, s7, v8, vcc_lo
	global_load_b32 v1, v[7:8], off
	s_wait_loadcnt 0x0
	v_cmp_class_f16_e64 s66, v1, 0x204
	s_and_saveexec_b32 s64, s66
	s_cbranch_execz .LBB53_160
; %bb.103:                              ;   in Loop: Header=BB53_4 Depth=1
	v_lshrrev_b32_e32 v1, 16, v1
	s_mov_b32 s66, 0
	s_delay_alu instid0(VALU_DEP_1)
	v_cmp_class_f16_e64 s67, v1, 0x204
	s_and_saveexec_b32 s65, s67
	s_cbranch_execz .LBB53_159
; %bb.104:                              ;   in Loop: Header=BB53_4 Depth=1
	v_add_nc_u32_e32 v3, s5, v3
	s_mov_b32 s67, 0
	s_delay_alu instid0(VALU_DEP_1) | instskip(NEXT) | instid1(VALU_DEP_1)
	v_ashrrev_i32_e32 v4, 31, v3
	v_lshlrev_b64_e32 v[7:8], 2, v[3:4]
	s_delay_alu instid0(VALU_DEP_1) | instskip(SKIP_1) | instid1(VALU_DEP_2)
	v_add_co_u32 v7, vcc_lo, s6, v7
	s_wait_alu 0xfffd
	v_add_co_ci_u32_e64 v8, null, s7, v8, vcc_lo
	global_load_b32 v1, v[7:8], off
	s_wait_loadcnt 0x0
	v_cmp_class_f16_e64 s68, v1, 0x204
	s_and_saveexec_b32 s66, s68
	;; [unrolled: 22-line block ×14, first 2 shown]
	s_cbranch_execz .LBB53_134
; %bb.129:                              ;   in Loop: Header=BB53_4 Depth=1
	v_lshrrev_b32_e32 v1, 16, v1
	s_mov_b32 vcc_lo, 0
	s_delay_alu instid0(VALU_DEP_1)
	v_cmp_class_f16_e64 s92, v1, 0x204
	s_and_saveexec_b32 s91, s92
	s_cbranch_execz .LBB53_133
; %bb.130:                              ;   in Loop: Header=BB53_4 Depth=1
	v_add_nc_u32_e32 v3, s5, v3
	s_delay_alu instid0(VALU_DEP_1) | instskip(NEXT) | instid1(VALU_DEP_1)
	v_ashrrev_i32_e32 v4, 31, v3
	v_lshlrev_b64_e32 v[3:4], 2, v[3:4]
	s_delay_alu instid0(VALU_DEP_1) | instskip(SKIP_1) | instid1(VALU_DEP_2)
	v_add_co_u32 v3, vcc_lo, s6, v3
	s_wait_alu 0xfffd
	v_add_co_ci_u32_e64 v4, null, s7, v4, vcc_lo
	s_mov_b32 vcc_lo, 0
	global_load_b32 v1, v[3:4], off
	s_wait_loadcnt 0x0
	v_cmp_class_f16_e64 s93, v1, 0x204
	s_and_saveexec_b32 s92, s93
; %bb.131:                              ;   in Loop: Header=BB53_4 Depth=1
	v_lshrrev_b32_e32 v1, 16, v1
	s_delay_alu instid0(VALU_DEP_1)
	v_cmp_class_f16_e64 s93, v1, 0x204
	s_and_b32 vcc_lo, s93, exec_lo
; %bb.132:                              ;   in Loop: Header=BB53_4 Depth=1
	s_or_b32 exec_lo, exec_lo, s92
	s_wait_alu 0xfffe
	s_and_b32 vcc_lo, vcc_lo, exec_lo
.LBB53_133:                             ;   in Loop: Header=BB53_4 Depth=1
	s_or_b32 exec_lo, exec_lo, s91
	s_wait_alu 0xfffe
	s_and_b32 s91, vcc_lo, exec_lo
.LBB53_134:                             ;   in Loop: Header=BB53_4 Depth=1
	s_or_b32 exec_lo, exec_lo, s90
	s_delay_alu instid0(SALU_CYCLE_1)
	s_and_b32 s90, s91, exec_lo
.LBB53_135:                             ;   in Loop: Header=BB53_4 Depth=1
	s_or_b32 exec_lo, exec_lo, s89
	s_delay_alu instid0(SALU_CYCLE_1)
	s_and_b32 s89, s90, exec_lo
.LBB53_136:                             ;   in Loop: Header=BB53_4 Depth=1
	s_or_b32 exec_lo, exec_lo, s88
	s_delay_alu instid0(SALU_CYCLE_1)
	s_and_b32 s88, s89, exec_lo
.LBB53_137:                             ;   in Loop: Header=BB53_4 Depth=1
	s_or_b32 exec_lo, exec_lo, s87
	s_delay_alu instid0(SALU_CYCLE_1)
	s_and_b32 s87, s88, exec_lo
.LBB53_138:                             ;   in Loop: Header=BB53_4 Depth=1
	s_or_b32 exec_lo, exec_lo, s86
	s_delay_alu instid0(SALU_CYCLE_1)
	s_and_b32 s86, s87, exec_lo
.LBB53_139:                             ;   in Loop: Header=BB53_4 Depth=1
	s_or_b32 exec_lo, exec_lo, s85
	s_delay_alu instid0(SALU_CYCLE_1)
	s_and_b32 s85, s86, exec_lo
.LBB53_140:                             ;   in Loop: Header=BB53_4 Depth=1
	s_or_b32 exec_lo, exec_lo, s84
	s_delay_alu instid0(SALU_CYCLE_1)
	s_and_b32 s84, s85, exec_lo
.LBB53_141:                             ;   in Loop: Header=BB53_4 Depth=1
	s_or_b32 exec_lo, exec_lo, s83
	s_delay_alu instid0(SALU_CYCLE_1)
	s_and_b32 s83, s84, exec_lo
.LBB53_142:                             ;   in Loop: Header=BB53_4 Depth=1
	s_or_b32 exec_lo, exec_lo, s82
	s_delay_alu instid0(SALU_CYCLE_1)
	s_and_b32 s82, s83, exec_lo
.LBB53_143:                             ;   in Loop: Header=BB53_4 Depth=1
	s_or_b32 exec_lo, exec_lo, s81
	s_delay_alu instid0(SALU_CYCLE_1)
	s_and_b32 s81, s82, exec_lo
.LBB53_144:                             ;   in Loop: Header=BB53_4 Depth=1
	s_or_b32 exec_lo, exec_lo, s80
	s_delay_alu instid0(SALU_CYCLE_1)
	s_and_b32 s80, s81, exec_lo
.LBB53_145:                             ;   in Loop: Header=BB53_4 Depth=1
	s_or_b32 exec_lo, exec_lo, s79
	s_delay_alu instid0(SALU_CYCLE_1)
	s_and_b32 s79, s80, exec_lo
.LBB53_146:                             ;   in Loop: Header=BB53_4 Depth=1
	s_or_b32 exec_lo, exec_lo, s78
	s_delay_alu instid0(SALU_CYCLE_1)
	s_and_b32 s78, s79, exec_lo
.LBB53_147:                             ;   in Loop: Header=BB53_4 Depth=1
	s_or_b32 exec_lo, exec_lo, s77
	s_delay_alu instid0(SALU_CYCLE_1)
	s_and_b32 s77, s78, exec_lo
.LBB53_148:                             ;   in Loop: Header=BB53_4 Depth=1
	s_or_b32 exec_lo, exec_lo, s76
	s_delay_alu instid0(SALU_CYCLE_1)
	s_and_b32 s76, s77, exec_lo
.LBB53_149:                             ;   in Loop: Header=BB53_4 Depth=1
	s_or_b32 exec_lo, exec_lo, s75
	s_delay_alu instid0(SALU_CYCLE_1)
	s_and_b32 s75, s76, exec_lo
.LBB53_150:                             ;   in Loop: Header=BB53_4 Depth=1
	s_or_b32 exec_lo, exec_lo, s74
	s_delay_alu instid0(SALU_CYCLE_1)
	s_and_b32 s74, s75, exec_lo
.LBB53_151:                             ;   in Loop: Header=BB53_4 Depth=1
	s_or_b32 exec_lo, exec_lo, s73
	s_delay_alu instid0(SALU_CYCLE_1)
	s_and_b32 s73, s74, exec_lo
.LBB53_152:                             ;   in Loop: Header=BB53_4 Depth=1
	s_or_b32 exec_lo, exec_lo, s72
	s_delay_alu instid0(SALU_CYCLE_1)
	s_and_b32 s72, s73, exec_lo
.LBB53_153:                             ;   in Loop: Header=BB53_4 Depth=1
	s_or_b32 exec_lo, exec_lo, s71
	s_delay_alu instid0(SALU_CYCLE_1)
	s_and_b32 s71, s72, exec_lo
.LBB53_154:                             ;   in Loop: Header=BB53_4 Depth=1
	s_or_b32 exec_lo, exec_lo, s70
	s_delay_alu instid0(SALU_CYCLE_1)
	s_and_b32 s70, s71, exec_lo
.LBB53_155:                             ;   in Loop: Header=BB53_4 Depth=1
	s_or_b32 exec_lo, exec_lo, s69
	s_delay_alu instid0(SALU_CYCLE_1)
	s_and_b32 s69, s70, exec_lo
.LBB53_156:                             ;   in Loop: Header=BB53_4 Depth=1
	s_or_b32 exec_lo, exec_lo, s68
	s_delay_alu instid0(SALU_CYCLE_1)
	s_and_b32 s68, s69, exec_lo
.LBB53_157:                             ;   in Loop: Header=BB53_4 Depth=1
	s_or_b32 exec_lo, exec_lo, s67
	s_delay_alu instid0(SALU_CYCLE_1)
	s_and_b32 s67, s68, exec_lo
.LBB53_158:                             ;   in Loop: Header=BB53_4 Depth=1
	s_or_b32 exec_lo, exec_lo, s66
	s_delay_alu instid0(SALU_CYCLE_1)
	s_and_b32 s66, s67, exec_lo
.LBB53_159:                             ;   in Loop: Header=BB53_4 Depth=1
	s_wait_alu 0xfffe
	s_or_b32 exec_lo, exec_lo, s65
	s_delay_alu instid0(SALU_CYCLE_1)
	s_and_b32 s65, s66, exec_lo
.LBB53_160:                             ;   in Loop: Header=BB53_4 Depth=1
	s_wait_alu 0xfffe
	s_or_b32 exec_lo, exec_lo, s64
	s_delay_alu instid0(SALU_CYCLE_1)
	s_and_b32 s64, s65, exec_lo
.LBB53_161:                             ;   in Loop: Header=BB53_4 Depth=1
	s_or_b32 exec_lo, exec_lo, s63
	s_wait_alu 0xfffe
	s_and_b32 s63, s64, exec_lo
.LBB53_162:                             ;   in Loop: Header=BB53_4 Depth=1
	s_wait_alu 0xfffe
	s_or_b32 exec_lo, exec_lo, vcc_hi
	s_delay_alu instid0(SALU_CYCLE_1)
	s_and_b32 s63, s63, exec_lo
.LBB53_163:                             ;   in Loop: Header=BB53_4 Depth=1
	s_or_b32 exec_lo, exec_lo, s104
	s_delay_alu instid0(SALU_CYCLE_1)
	s_and_b32 s63, s63, exec_lo
.LBB53_164:                             ;   in Loop: Header=BB53_4 Depth=1
	s_or_b32 exec_lo, exec_lo, s103
	s_delay_alu instid0(SALU_CYCLE_1)
	s_and_b32 s63, s63, exec_lo
.LBB53_165:                             ;   in Loop: Header=BB53_4 Depth=1
	s_or_b32 exec_lo, exec_lo, s102
	s_delay_alu instid0(SALU_CYCLE_1)
	s_and_b32 s63, s63, exec_lo
.LBB53_166:                             ;   in Loop: Header=BB53_4 Depth=1
	s_or_b32 exec_lo, exec_lo, s101
	s_delay_alu instid0(SALU_CYCLE_1)
	s_and_b32 s63, s63, exec_lo
.LBB53_167:                             ;   in Loop: Header=BB53_4 Depth=1
	s_or_b32 exec_lo, exec_lo, s100
	s_delay_alu instid0(SALU_CYCLE_1)
	s_and_b32 s63, s63, exec_lo
.LBB53_168:                             ;   in Loop: Header=BB53_4 Depth=1
	s_or_b32 exec_lo, exec_lo, s99
	s_delay_alu instid0(SALU_CYCLE_1)
	s_and_b32 s63, s63, exec_lo
.LBB53_169:                             ;   in Loop: Header=BB53_4 Depth=1
	s_or_b32 exec_lo, exec_lo, s98
	s_delay_alu instid0(SALU_CYCLE_1)
	s_and_b32 s63, s63, exec_lo
.LBB53_170:                             ;   in Loop: Header=BB53_4 Depth=1
	s_or_b32 exec_lo, exec_lo, s97
	s_delay_alu instid0(SALU_CYCLE_1)
	s_and_b32 s63, s63, exec_lo
.LBB53_171:                             ;   in Loop: Header=BB53_4 Depth=1
	s_or_b32 exec_lo, exec_lo, s96
	s_delay_alu instid0(SALU_CYCLE_1)
	s_and_b32 s63, s63, exec_lo
.LBB53_172:                             ;   in Loop: Header=BB53_4 Depth=1
	s_or_b32 exec_lo, exec_lo, s95
	s_delay_alu instid0(SALU_CYCLE_1)
	s_and_b32 s63, s63, exec_lo
.LBB53_173:                             ;   in Loop: Header=BB53_4 Depth=1
	s_or_b32 exec_lo, exec_lo, s94
	s_delay_alu instid0(SALU_CYCLE_1)
	s_and_b32 s63, s63, exec_lo
.LBB53_174:                             ;   in Loop: Header=BB53_4 Depth=1
	s_delay_alu instid0(VALU_DEP_1) | instskip(SKIP_1) | instid1(SALU_CYCLE_1)
	v_readlane_b32 s64, v9, 30
	s_or_b32 exec_lo, exec_lo, s64
	s_and_b32 s63, s63, exec_lo
.LBB53_175:                             ;   in Loop: Header=BB53_4 Depth=1
	s_delay_alu instid0(VALU_DEP_1) | instskip(SKIP_1) | instid1(SALU_CYCLE_1)
	v_readlane_b32 s64, v9, 29
	s_or_b32 exec_lo, exec_lo, s64
	s_and_b32 s63, s63, exec_lo
.LBB53_176:                             ;   in Loop: Header=BB53_4 Depth=1
	s_delay_alu instid0(VALU_DEP_1) | instskip(SKIP_1) | instid1(SALU_CYCLE_1)
	v_readlane_b32 s64, v9, 28
	s_or_b32 exec_lo, exec_lo, s64
	s_and_b32 s63, s63, exec_lo
.LBB53_177:                             ;   in Loop: Header=BB53_4 Depth=1
	s_delay_alu instid0(VALU_DEP_1) | instskip(SKIP_1) | instid1(SALU_CYCLE_1)
	v_readlane_b32 s64, v9, 27
	s_or_b32 exec_lo, exec_lo, s64
	s_and_b32 s63, s63, exec_lo
.LBB53_178:                             ;   in Loop: Header=BB53_4 Depth=1
	s_delay_alu instid0(VALU_DEP_1) | instskip(SKIP_1) | instid1(SALU_CYCLE_1)
	v_readlane_b32 s64, v9, 26
	s_or_b32 exec_lo, exec_lo, s64
	s_and_b32 s63, s63, exec_lo
.LBB53_179:                             ;   in Loop: Header=BB53_4 Depth=1
	s_delay_alu instid0(VALU_DEP_1) | instskip(SKIP_1) | instid1(SALU_CYCLE_1)
	v_readlane_b32 s64, v9, 25
	s_or_b32 exec_lo, exec_lo, s64
	s_and_b32 s63, s63, exec_lo
.LBB53_180:                             ;   in Loop: Header=BB53_4 Depth=1
	s_delay_alu instid0(VALU_DEP_1) | instskip(SKIP_1) | instid1(SALU_CYCLE_1)
	v_readlane_b32 s64, v9, 24
	s_or_b32 exec_lo, exec_lo, s64
	s_and_b32 s63, s63, exec_lo
.LBB53_181:                             ;   in Loop: Header=BB53_4 Depth=1
	s_delay_alu instid0(VALU_DEP_1) | instskip(SKIP_1) | instid1(SALU_CYCLE_1)
	v_readlane_b32 s64, v9, 23
	s_or_b32 exec_lo, exec_lo, s64
	s_and_b32 s63, s63, exec_lo
.LBB53_182:                             ;   in Loop: Header=BB53_4 Depth=1
	s_delay_alu instid0(VALU_DEP_1) | instskip(SKIP_1) | instid1(SALU_CYCLE_1)
	v_readlane_b32 s64, v9, 22
	s_or_b32 exec_lo, exec_lo, s64
	s_and_b32 s63, s63, exec_lo
.LBB53_183:                             ;   in Loop: Header=BB53_4 Depth=1
	s_delay_alu instid0(VALU_DEP_1) | instskip(SKIP_1) | instid1(SALU_CYCLE_1)
	v_readlane_b32 s64, v9, 21
	s_or_b32 exec_lo, exec_lo, s64
	s_and_b32 s63, s63, exec_lo
.LBB53_184:                             ;   in Loop: Header=BB53_4 Depth=1
	s_delay_alu instid0(VALU_DEP_1) | instskip(SKIP_1) | instid1(SALU_CYCLE_1)
	v_readlane_b32 s64, v9, 20
	s_or_b32 exec_lo, exec_lo, s64
	s_and_b32 s63, s63, exec_lo
.LBB53_185:                             ;   in Loop: Header=BB53_4 Depth=1
	s_delay_alu instid0(VALU_DEP_1) | instskip(SKIP_1) | instid1(SALU_CYCLE_1)
	v_readlane_b32 s64, v9, 19
	s_or_b32 exec_lo, exec_lo, s64
	s_and_b32 s63, s63, exec_lo
.LBB53_186:                             ;   in Loop: Header=BB53_4 Depth=1
	s_delay_alu instid0(VALU_DEP_1) | instskip(SKIP_1) | instid1(SALU_CYCLE_1)
	v_readlane_b32 s64, v9, 18
	s_or_b32 exec_lo, exec_lo, s64
	s_and_b32 s63, s63, exec_lo
.LBB53_187:                             ;   in Loop: Header=BB53_4 Depth=1
	s_delay_alu instid0(VALU_DEP_1) | instskip(SKIP_1) | instid1(SALU_CYCLE_1)
	v_readlane_b32 s64, v9, 17
	s_or_b32 exec_lo, exec_lo, s64
	s_and_b32 s63, s63, exec_lo
.LBB53_188:                             ;   in Loop: Header=BB53_4 Depth=1
	s_delay_alu instid0(VALU_DEP_1) | instskip(SKIP_1) | instid1(SALU_CYCLE_1)
	v_readlane_b32 s64, v9, 16
	s_or_b32 exec_lo, exec_lo, s64
	s_and_b32 s63, s63, exec_lo
.LBB53_189:                             ;   in Loop: Header=BB53_4 Depth=1
	s_delay_alu instid0(VALU_DEP_1) | instskip(SKIP_1) | instid1(SALU_CYCLE_1)
	v_readlane_b32 s64, v9, 15
	s_or_b32 exec_lo, exec_lo, s64
	s_and_b32 s63, s63, exec_lo
.LBB53_190:                             ;   in Loop: Header=BB53_4 Depth=1
	s_delay_alu instid0(VALU_DEP_1) | instskip(SKIP_1) | instid1(SALU_CYCLE_1)
	v_readlane_b32 s64, v9, 14
	s_or_b32 exec_lo, exec_lo, s64
	s_and_b32 s63, s63, exec_lo
.LBB53_191:                             ;   in Loop: Header=BB53_4 Depth=1
	s_delay_alu instid0(VALU_DEP_1) | instskip(SKIP_1) | instid1(SALU_CYCLE_1)
	v_readlane_b32 s64, v9, 13
	s_or_b32 exec_lo, exec_lo, s64
	s_and_b32 s63, s63, exec_lo
.LBB53_192:                             ;   in Loop: Header=BB53_4 Depth=1
	s_delay_alu instid0(VALU_DEP_1) | instskip(SKIP_1) | instid1(SALU_CYCLE_1)
	v_readlane_b32 s64, v9, 12
	s_or_b32 exec_lo, exec_lo, s64
	s_and_b32 s63, s63, exec_lo
.LBB53_193:                             ;   in Loop: Header=BB53_4 Depth=1
	s_delay_alu instid0(VALU_DEP_1) | instskip(SKIP_1) | instid1(SALU_CYCLE_1)
	v_readlane_b32 s64, v9, 11
	s_or_b32 exec_lo, exec_lo, s64
	s_and_b32 s63, s63, exec_lo
.LBB53_194:                             ;   in Loop: Header=BB53_4 Depth=1
	s_delay_alu instid0(VALU_DEP_1) | instskip(SKIP_1) | instid1(SALU_CYCLE_1)
	v_readlane_b32 s64, v9, 10
	s_or_b32 exec_lo, exec_lo, s64
	s_and_b32 s63, s63, exec_lo
.LBB53_195:                             ;   in Loop: Header=BB53_4 Depth=1
	s_delay_alu instid0(VALU_DEP_1) | instskip(SKIP_1) | instid1(SALU_CYCLE_1)
	v_readlane_b32 s64, v9, 9
	s_or_b32 exec_lo, exec_lo, s64
	s_and_b32 s63, s63, exec_lo
.LBB53_196:                             ;   in Loop: Header=BB53_4 Depth=1
	s_delay_alu instid0(VALU_DEP_1) | instskip(SKIP_1) | instid1(SALU_CYCLE_1)
	v_readlane_b32 s64, v9, 8
	s_or_b32 exec_lo, exec_lo, s64
	s_and_b32 s63, s63, exec_lo
.LBB53_197:                             ;   in Loop: Header=BB53_4 Depth=1
	s_delay_alu instid0(VALU_DEP_1) | instskip(SKIP_1) | instid1(SALU_CYCLE_1)
	v_readlane_b32 s64, v9, 7
	s_or_b32 exec_lo, exec_lo, s64
	s_and_b32 s63, s63, exec_lo
.LBB53_198:                             ;   in Loop: Header=BB53_4 Depth=1
	s_delay_alu instid0(VALU_DEP_1) | instskip(SKIP_1) | instid1(SALU_CYCLE_1)
	v_readlane_b32 s64, v9, 6
	s_or_b32 exec_lo, exec_lo, s64
	s_and_b32 s63, s63, exec_lo
.LBB53_199:                             ;   in Loop: Header=BB53_4 Depth=1
	s_delay_alu instid0(VALU_DEP_1) | instskip(SKIP_1) | instid1(SALU_CYCLE_1)
	v_readlane_b32 s64, v9, 5
	s_or_b32 exec_lo, exec_lo, s64
	s_and_b32 s63, s63, exec_lo
.LBB53_200:                             ;   in Loop: Header=BB53_4 Depth=1
	s_delay_alu instid0(VALU_DEP_1) | instskip(SKIP_1) | instid1(SALU_CYCLE_1)
	v_readlane_b32 s64, v9, 4
	s_or_b32 exec_lo, exec_lo, s64
	s_and_b32 s63, s63, exec_lo
.LBB53_201:                             ;   in Loop: Header=BB53_4 Depth=1
	s_delay_alu instid0(VALU_DEP_1) | instskip(SKIP_1) | instid1(SALU_CYCLE_1)
	v_readlane_b32 s64, v9, 3
	s_or_b32 exec_lo, exec_lo, s64
	s_and_b32 s63, s63, exec_lo
.LBB53_202:                             ;   in Loop: Header=BB53_4 Depth=1
	s_delay_alu instid0(VALU_DEP_1) | instskip(SKIP_1) | instid1(SALU_CYCLE_1)
	v_readlane_b32 s64, v9, 2
	s_or_b32 exec_lo, exec_lo, s64
	s_and_b32 s63, s63, exec_lo
.LBB53_203:                             ;   in Loop: Header=BB53_4 Depth=1
	s_delay_alu instid0(VALU_DEP_1) | instskip(SKIP_1) | instid1(SALU_CYCLE_1)
	v_readlane_b32 s64, v9, 1
	s_or_b32 exec_lo, exec_lo, s64
	s_and_b32 s63, s63, exec_lo
.LBB53_204:                             ;   in Loop: Header=BB53_4 Depth=1
	s_delay_alu instid0(VALU_DEP_1) | instskip(SKIP_1) | instid1(SALU_CYCLE_1)
	v_readlane_b32 s64, v9, 0
	s_or_b32 exec_lo, exec_lo, s64
	s_and_b32 s63, s63, exec_lo
.LBB53_205:                             ;   in Loop: Header=BB53_4 Depth=1
	s_or_b32 exec_lo, exec_lo, s62
	s_delay_alu instid0(SALU_CYCLE_1)
	s_and_b32 s62, s63, exec_lo
.LBB53_206:                             ;   in Loop: Header=BB53_4 Depth=1
	s_or_b32 exec_lo, exec_lo, s61
	s_delay_alu instid0(SALU_CYCLE_1)
	s_and_b32 s61, s62, exec_lo
.LBB53_207:                             ;   in Loop: Header=BB53_4 Depth=1
	s_or_b32 exec_lo, exec_lo, s60
	s_delay_alu instid0(SALU_CYCLE_1)
	s_and_b32 s60, s61, exec_lo
.LBB53_208:                             ;   in Loop: Header=BB53_4 Depth=1
	s_or_b32 exec_lo, exec_lo, s59
	s_delay_alu instid0(SALU_CYCLE_1)
	s_and_b32 s59, s60, exec_lo
.LBB53_209:                             ;   in Loop: Header=BB53_4 Depth=1
	s_or_b32 exec_lo, exec_lo, s58
	s_delay_alu instid0(SALU_CYCLE_1)
	s_and_b32 s58, s59, exec_lo
.LBB53_210:                             ;   in Loop: Header=BB53_4 Depth=1
	s_or_b32 exec_lo, exec_lo, s57
	s_delay_alu instid0(SALU_CYCLE_1)
	s_and_b32 s57, s58, exec_lo
.LBB53_211:                             ;   in Loop: Header=BB53_4 Depth=1
	s_or_b32 exec_lo, exec_lo, s56
	s_delay_alu instid0(SALU_CYCLE_1)
	s_and_b32 s56, s57, exec_lo
.LBB53_212:                             ;   in Loop: Header=BB53_4 Depth=1
	s_or_b32 exec_lo, exec_lo, s55
	s_delay_alu instid0(SALU_CYCLE_1)
	s_and_b32 s55, s56, exec_lo
.LBB53_213:                             ;   in Loop: Header=BB53_4 Depth=1
	s_or_b32 exec_lo, exec_lo, s54
	s_delay_alu instid0(SALU_CYCLE_1)
	s_and_b32 s54, s55, exec_lo
.LBB53_214:                             ;   in Loop: Header=BB53_4 Depth=1
	s_or_b32 exec_lo, exec_lo, s53
	s_delay_alu instid0(SALU_CYCLE_1)
	s_and_b32 s53, s54, exec_lo
.LBB53_215:                             ;   in Loop: Header=BB53_4 Depth=1
	s_or_b32 exec_lo, exec_lo, s52
	s_delay_alu instid0(SALU_CYCLE_1)
	s_and_b32 s52, s53, exec_lo
.LBB53_216:                             ;   in Loop: Header=BB53_4 Depth=1
	s_or_b32 exec_lo, exec_lo, s51
	s_delay_alu instid0(SALU_CYCLE_1)
	s_and_b32 s51, s52, exec_lo
.LBB53_217:                             ;   in Loop: Header=BB53_4 Depth=1
	s_or_b32 exec_lo, exec_lo, s50
	s_delay_alu instid0(SALU_CYCLE_1)
	s_and_b32 s50, s51, exec_lo
.LBB53_218:                             ;   in Loop: Header=BB53_4 Depth=1
	s_or_b32 exec_lo, exec_lo, s49
	s_delay_alu instid0(SALU_CYCLE_1)
	s_and_b32 s49, s50, exec_lo
.LBB53_219:                             ;   in Loop: Header=BB53_4 Depth=1
	s_or_b32 exec_lo, exec_lo, s48
	s_delay_alu instid0(SALU_CYCLE_1)
	s_and_b32 s48, s49, exec_lo
.LBB53_220:                             ;   in Loop: Header=BB53_4 Depth=1
	s_or_b32 exec_lo, exec_lo, s47
	s_delay_alu instid0(SALU_CYCLE_1)
	s_and_b32 s47, s48, exec_lo
.LBB53_221:                             ;   in Loop: Header=BB53_4 Depth=1
	s_or_b32 exec_lo, exec_lo, s46
	s_delay_alu instid0(SALU_CYCLE_1)
	s_and_b32 s46, s47, exec_lo
.LBB53_222:                             ;   in Loop: Header=BB53_4 Depth=1
	s_or_b32 exec_lo, exec_lo, s45
	s_delay_alu instid0(SALU_CYCLE_1)
	s_and_b32 s45, s46, exec_lo
.LBB53_223:                             ;   in Loop: Header=BB53_4 Depth=1
	s_or_b32 exec_lo, exec_lo, s44
	s_delay_alu instid0(SALU_CYCLE_1)
	s_and_b32 s44, s45, exec_lo
.LBB53_224:                             ;   in Loop: Header=BB53_4 Depth=1
	s_or_b32 exec_lo, exec_lo, s43
	s_delay_alu instid0(SALU_CYCLE_1)
	s_and_b32 s43, s44, exec_lo
.LBB53_225:                             ;   in Loop: Header=BB53_4 Depth=1
	s_or_b32 exec_lo, exec_lo, s42
	s_delay_alu instid0(SALU_CYCLE_1)
	s_and_b32 s42, s43, exec_lo
.LBB53_226:                             ;   in Loop: Header=BB53_4 Depth=1
	s_or_b32 exec_lo, exec_lo, s41
	s_delay_alu instid0(SALU_CYCLE_1)
	s_and_b32 s41, s42, exec_lo
.LBB53_227:                             ;   in Loop: Header=BB53_4 Depth=1
	s_or_b32 exec_lo, exec_lo, s40
	s_delay_alu instid0(SALU_CYCLE_1)
	s_and_b32 s40, s41, exec_lo
.LBB53_228:                             ;   in Loop: Header=BB53_4 Depth=1
	s_or_b32 exec_lo, exec_lo, s39
	s_delay_alu instid0(SALU_CYCLE_1)
	s_and_b32 s39, s40, exec_lo
.LBB53_229:                             ;   in Loop: Header=BB53_4 Depth=1
	s_or_b32 exec_lo, exec_lo, s38
	s_delay_alu instid0(SALU_CYCLE_1)
	s_and_b32 s38, s39, exec_lo
.LBB53_230:                             ;   in Loop: Header=BB53_4 Depth=1
	s_or_b32 exec_lo, exec_lo, s37
	s_delay_alu instid0(SALU_CYCLE_1)
	s_and_b32 s37, s38, exec_lo
.LBB53_231:                             ;   in Loop: Header=BB53_4 Depth=1
	s_or_b32 exec_lo, exec_lo, s36
	s_delay_alu instid0(SALU_CYCLE_1)
	s_and_b32 s36, s37, exec_lo
.LBB53_232:                             ;   in Loop: Header=BB53_4 Depth=1
	s_or_b32 exec_lo, exec_lo, s35
	s_delay_alu instid0(SALU_CYCLE_1)
	s_and_b32 s35, s36, exec_lo
.LBB53_233:                             ;   in Loop: Header=BB53_4 Depth=1
	s_or_b32 exec_lo, exec_lo, s34
	s_delay_alu instid0(SALU_CYCLE_1)
	s_and_b32 s34, s35, exec_lo
.LBB53_234:                             ;   in Loop: Header=BB53_4 Depth=1
	s_or_b32 exec_lo, exec_lo, s33
	s_delay_alu instid0(SALU_CYCLE_1)
	s_and_b32 s33, s34, exec_lo
.LBB53_235:                             ;   in Loop: Header=BB53_4 Depth=1
	s_or_b32 exec_lo, exec_lo, s31
	s_delay_alu instid0(SALU_CYCLE_1)
	s_and_b32 s31, s33, exec_lo
.LBB53_236:                             ;   in Loop: Header=BB53_4 Depth=1
	s_or_b32 exec_lo, exec_lo, s30
	s_delay_alu instid0(SALU_CYCLE_1)
	s_and_b32 s30, s31, exec_lo
.LBB53_237:                             ;   in Loop: Header=BB53_4 Depth=1
	s_or_b32 exec_lo, exec_lo, s29
	s_delay_alu instid0(SALU_CYCLE_1)
	s_and_b32 s29, s30, exec_lo
.LBB53_238:                             ;   in Loop: Header=BB53_4 Depth=1
	s_or_b32 exec_lo, exec_lo, s28
	s_delay_alu instid0(SALU_CYCLE_1)
	s_and_b32 s28, s29, exec_lo
.LBB53_239:                             ;   in Loop: Header=BB53_4 Depth=1
	s_or_b32 exec_lo, exec_lo, s27
	s_delay_alu instid0(SALU_CYCLE_1)
	s_and_b32 s27, s28, exec_lo
.LBB53_240:                             ;   in Loop: Header=BB53_4 Depth=1
	s_or_b32 exec_lo, exec_lo, s26
	s_delay_alu instid0(SALU_CYCLE_1)
	s_and_b32 s26, s27, exec_lo
.LBB53_241:                             ;   in Loop: Header=BB53_4 Depth=1
	s_or_b32 exec_lo, exec_lo, s25
	s_delay_alu instid0(SALU_CYCLE_1)
	s_and_b32 s25, s26, exec_lo
.LBB53_242:                             ;   in Loop: Header=BB53_4 Depth=1
	s_or_b32 exec_lo, exec_lo, s24
	s_delay_alu instid0(SALU_CYCLE_1)
	s_and_b32 s24, s25, exec_lo
.LBB53_243:                             ;   in Loop: Header=BB53_4 Depth=1
	s_or_b32 exec_lo, exec_lo, s23
	s_delay_alu instid0(SALU_CYCLE_1)
	s_and_b32 s23, s24, exec_lo
.LBB53_244:                             ;   in Loop: Header=BB53_4 Depth=1
	s_or_b32 exec_lo, exec_lo, s22
	s_delay_alu instid0(SALU_CYCLE_1)
	s_and_b32 s22, s23, exec_lo
.LBB53_245:                             ;   in Loop: Header=BB53_4 Depth=1
	s_or_b32 exec_lo, exec_lo, s21
	s_delay_alu instid0(SALU_CYCLE_1)
	s_and_b32 s21, s22, exec_lo
.LBB53_246:                             ;   in Loop: Header=BB53_4 Depth=1
	s_or_b32 exec_lo, exec_lo, s20
	s_delay_alu instid0(SALU_CYCLE_1)
	s_and_b32 s20, s21, exec_lo
.LBB53_247:                             ;   in Loop: Header=BB53_4 Depth=1
	s_or_b32 exec_lo, exec_lo, s19
	s_delay_alu instid0(SALU_CYCLE_1)
	s_and_b32 s19, s20, exec_lo
.LBB53_248:                             ;   in Loop: Header=BB53_4 Depth=1
	s_or_b32 exec_lo, exec_lo, s18
	s_delay_alu instid0(SALU_CYCLE_1)
	s_and_b32 s18, s19, exec_lo
.LBB53_249:                             ;   in Loop: Header=BB53_4 Depth=1
	s_or_b32 exec_lo, exec_lo, s17
	s_delay_alu instid0(SALU_CYCLE_1)
	s_and_b32 s17, s18, exec_lo
.LBB53_250:                             ;   in Loop: Header=BB53_4 Depth=1
	s_or_b32 exec_lo, exec_lo, s16
	s_delay_alu instid0(SALU_CYCLE_1)
	s_and_b32 s16, s17, exec_lo
.LBB53_251:                             ;   in Loop: Header=BB53_4 Depth=1
	s_or_b32 exec_lo, exec_lo, s15
	s_delay_alu instid0(SALU_CYCLE_1)
	s_and_b32 s15, s16, exec_lo
.LBB53_252:                             ;   in Loop: Header=BB53_4 Depth=1
	s_or_b32 exec_lo, exec_lo, s14
	s_delay_alu instid0(SALU_CYCLE_1)
	s_and_b32 s14, s15, exec_lo
.LBB53_253:                             ;   in Loop: Header=BB53_4 Depth=1
	s_or_b32 exec_lo, exec_lo, s13
	s_delay_alu instid0(SALU_CYCLE_1)
	s_and_b32 s13, s14, exec_lo
.LBB53_254:                             ;   in Loop: Header=BB53_4 Depth=1
	s_or_b32 exec_lo, exec_lo, s12
	s_delay_alu instid0(SALU_CYCLE_1)
	s_and_b32 s12, s13, exec_lo
.LBB53_255:                             ;   in Loop: Header=BB53_4 Depth=1
	s_wait_alu 0xfffe
	s_or_b32 exec_lo, exec_lo, s11
	s_delay_alu instid0(SALU_CYCLE_1)
	s_and_b32 s11, s12, exec_lo
.LBB53_256:                             ;   in Loop: Header=BB53_4 Depth=1
	s_wait_alu 0xfffe
	s_or_b32 exec_lo, exec_lo, s10
	s_delay_alu instid0(SALU_CYCLE_1)
	s_and_b32 s10, s11, exec_lo
.LBB53_257:                             ;   in Loop: Header=BB53_4 Depth=1
	s_wait_alu 0xfffe
	s_or_b32 exec_lo, exec_lo, s9
	v_cndmask_b32_e64 v1, 0, 1, s10
	s_mov_b32 s11, exec_lo
	s_delay_alu instid0(VALU_DEP_1)
	v_cmp_ne_u32_e32 vcc_lo, 0, v1
	s_and_saveexec_b32 s9, s0
	s_cbranch_execz .LBB53_3
; %bb.258:                              ;   in Loop: Header=BB53_4 Depth=1
	s_wait_alu 0xfffe
	s_cmp_eq_u32 vcc_lo, s11
	s_cselect_b32 s10, -1, 0
	s_wait_alu 0xfffe
	v_cndmask_b32_e64 v1, 0, 1, s10
	ds_store_b32 v5, v1
	s_branch .LBB53_3
.LBB53_259:                             ;   in Loop: Header=BB53_4 Depth=1
	s_cbranch_execz .LBB53_4
.LBB53_260:
	s_mov_b32 s0, exec_lo
	v_cmpx_eq_u32_e32 0, v0
	s_cbranch_execz .LBB53_262
; %bb.261:
	s_mul_i32 s0, s1, ttmp7
	v_dual_mov_b32 v0, 0 :: v_dual_mov_b32 v1, s4
	s_add_co_i32 s0, s0, ttmp9
	s_delay_alu instid0(SALU_CYCLE_1) | instskip(NEXT) | instid1(SALU_CYCLE_1)
	s_ashr_i32 s1, s0, 31
	s_lshl_b64 s[0:1], s[0:1], 2
	s_delay_alu instid0(SALU_CYCLE_1)
	s_add_nc_u64 s[0:1], s[2:3], s[0:1]
	global_store_b32 v0, v1, s[0:1]
.LBB53_262:
	s_endpgm
	.section	.rodata,"a",@progbits
	.p2align	6, 0x0
	.amdhsa_kernel _ZL25flash_attn_mask_to_KV_maxILi64EEvPK7__half2Piiii
		.amdhsa_group_segment_fixed_size 128
		.amdhsa_private_segment_fixed_size 0
		.amdhsa_kernarg_size 288
		.amdhsa_user_sgpr_count 2
		.amdhsa_user_sgpr_dispatch_ptr 0
		.amdhsa_user_sgpr_queue_ptr 0
		.amdhsa_user_sgpr_kernarg_segment_ptr 1
		.amdhsa_user_sgpr_dispatch_id 0
		.amdhsa_user_sgpr_private_segment_size 0
		.amdhsa_wavefront_size32 1
		.amdhsa_uses_dynamic_stack 0
		.amdhsa_enable_private_segment 0
		.amdhsa_system_sgpr_workgroup_id_x 1
		.amdhsa_system_sgpr_workgroup_id_y 1
		.amdhsa_system_sgpr_workgroup_id_z 0
		.amdhsa_system_sgpr_workgroup_info 0
		.amdhsa_system_vgpr_workitem_id 0
		.amdhsa_next_free_vgpr 10
		.amdhsa_next_free_sgpr 105
		.amdhsa_reserve_vcc 1
		.amdhsa_float_round_mode_32 0
		.amdhsa_float_round_mode_16_64 0
		.amdhsa_float_denorm_mode_32 3
		.amdhsa_float_denorm_mode_16_64 3
		.amdhsa_fp16_overflow 0
		.amdhsa_workgroup_processor_mode 1
		.amdhsa_memory_ordered 1
		.amdhsa_forward_progress 1
		.amdhsa_inst_pref_size 78
		.amdhsa_round_robin_scheduling 0
		.amdhsa_exception_fp_ieee_invalid_op 0
		.amdhsa_exception_fp_denorm_src 0
		.amdhsa_exception_fp_ieee_div_zero 0
		.amdhsa_exception_fp_ieee_overflow 0
		.amdhsa_exception_fp_ieee_underflow 0
		.amdhsa_exception_fp_ieee_inexact 0
		.amdhsa_exception_int_div_zero 0
	.end_amdhsa_kernel
	.section	.text._ZL25flash_attn_mask_to_KV_maxILi64EEvPK7__half2Piiii,"axG",@progbits,_ZL25flash_attn_mask_to_KV_maxILi64EEvPK7__half2Piiii,comdat
.Lfunc_end53:
	.size	_ZL25flash_attn_mask_to_KV_maxILi64EEvPK7__half2Piiii, .Lfunc_end53-_ZL25flash_attn_mask_to_KV_maxILi64EEvPK7__half2Piiii
                                        ; -- End function
	.set _ZL25flash_attn_mask_to_KV_maxILi64EEvPK7__half2Piiii.num_vgpr, 10
	.set _ZL25flash_attn_mask_to_KV_maxILi64EEvPK7__half2Piiii.num_agpr, 0
	.set _ZL25flash_attn_mask_to_KV_maxILi64EEvPK7__half2Piiii.numbered_sgpr, 105
	.set _ZL25flash_attn_mask_to_KV_maxILi64EEvPK7__half2Piiii.num_named_barrier, 0
	.set _ZL25flash_attn_mask_to_KV_maxILi64EEvPK7__half2Piiii.private_seg_size, 0
	.set _ZL25flash_attn_mask_to_KV_maxILi64EEvPK7__half2Piiii.uses_vcc, 1
	.set _ZL25flash_attn_mask_to_KV_maxILi64EEvPK7__half2Piiii.uses_flat_scratch, 0
	.set _ZL25flash_attn_mask_to_KV_maxILi64EEvPK7__half2Piiii.has_dyn_sized_stack, 0
	.set _ZL25flash_attn_mask_to_KV_maxILi64EEvPK7__half2Piiii.has_recursion, 0
	.set _ZL25flash_attn_mask_to_KV_maxILi64EEvPK7__half2Piiii.has_indirect_call, 0
	.section	.AMDGPU.csdata,"",@progbits
; Kernel info:
; codeLenInByte = 9908
; TotalNumSgprs: 107
; NumVgprs: 10
; ScratchSize: 0
; MemoryBound: 0
; FloatMode: 240
; IeeeMode: 1
; LDSByteSize: 128 bytes/workgroup (compile time only)
; SGPRBlocks: 0
; VGPRBlocks: 1
; NumSGPRsForWavesPerEU: 107
; NumVGPRsForWavesPerEU: 10
; Occupancy: 16
; WaveLimiterHint : 0
; COMPUTE_PGM_RSRC2:SCRATCH_EN: 0
; COMPUTE_PGM_RSRC2:USER_SGPR: 2
; COMPUTE_PGM_RSRC2:TRAP_HANDLER: 0
; COMPUTE_PGM_RSRC2:TGID_X_EN: 1
; COMPUTE_PGM_RSRC2:TGID_Y_EN: 1
; COMPUTE_PGM_RSRC2:TGID_Z_EN: 0
; COMPUTE_PGM_RSRC2:TIDIG_COMP_CNT: 0
	.section	.text._ZL33flash_attn_stream_k_fixup_uniformILi96ELi64ELi1EEvPfPK15HIP_vector_typeIfLj2EEiiiiiiS1_IjLj3EES5_S5_,"axG",@progbits,_ZL33flash_attn_stream_k_fixup_uniformILi96ELi64ELi1EEvPfPK15HIP_vector_typeIfLj2EEiiiiiiS1_IjLj3EES5_S5_,comdat
	.globl	_ZL33flash_attn_stream_k_fixup_uniformILi96ELi64ELi1EEvPfPK15HIP_vector_typeIfLj2EEiiiiiiS1_IjLj3EES5_S5_ ; -- Begin function _ZL33flash_attn_stream_k_fixup_uniformILi96ELi64ELi1EEvPfPK15HIP_vector_typeIfLj2EEiiiiiiS1_IjLj3EES5_S5_
	.p2align	8
	.type	_ZL33flash_attn_stream_k_fixup_uniformILi96ELi64ELi1EEvPfPK15HIP_vector_typeIfLj2EEiiiiiiS1_IjLj3EES5_S5_,@function
_ZL33flash_attn_stream_k_fixup_uniformILi96ELi64ELi1EEvPfPK15HIP_vector_typeIfLj2EEiiiiiiS1_IjLj3EES5_S5_: ; @_ZL33flash_attn_stream_k_fixup_uniformILi96ELi64ELi1EEvPfPK15HIP_vector_typeIfLj2EEiiiiiiS1_IjLj3EES5_S5_
; %bb.0:
	s_clause 0x1
	s_load_b256 s[4:11], s[0:1], 0x1c
	s_load_b128 s[12:15], s[0:1], 0x3c
	s_wait_kmcnt 0x0
	s_mul_hi_u32 s2, s7, ttmp9
	s_delay_alu instid0(SALU_CYCLE_1) | instskip(NEXT) | instid1(SALU_CYCLE_1)
	s_add_co_i32 s2, ttmp9, s2
	s_lshr_b32 s7, s2, s8
	s_delay_alu instid0(SALU_CYCLE_1) | instskip(NEXT) | instid1(SALU_CYCLE_1)
	s_mul_i32 s2, s7, s9
	s_sub_co_i32 s8, ttmp9, s2
	s_delay_alu instid0(SALU_CYCLE_1) | instskip(NEXT) | instid1(SALU_CYCLE_1)
	s_mul_hi_u32 s2, s8, s10
	s_add_co_i32 s9, s8, s2
	s_load_b64 s[2:3], s[0:1], 0x10
	s_lshr_b32 s10, s9, s11
	s_delay_alu instid0(SALU_CYCLE_1) | instskip(NEXT) | instid1(SALU_CYCLE_1)
	s_mul_i32 s9, s10, s12
	s_sub_co_i32 s8, s8, s9
	s_delay_alu instid0(SALU_CYCLE_1) | instskip(NEXT) | instid1(SALU_CYCLE_1)
	s_mul_hi_u32 s9, s8, s13
	s_add_co_i32 s9, s8, s9
	s_delay_alu instid0(SALU_CYCLE_1) | instskip(NEXT) | instid1(SALU_CYCLE_1)
	s_lshr_b32 s11, s9, s14
	s_mul_i32 s9, s11, s15
	s_delay_alu instid0(SALU_CYCLE_1) | instskip(SKIP_2) | instid1(SALU_CYCLE_1)
	s_sub_co_i32 s12, s8, s9
	s_and_b32 s8, ttmp7, 0xffff
	s_lshl_b32 s9, s12, 6
	s_add_co_i32 s13, s9, s8
	s_lshr_b32 s9, ttmp7, 16
	s_wait_kmcnt 0x0
	s_cmp_lt_i32 s13, s2
	s_cselect_b32 s13, -1, 0
	s_add_co_i32 s11, s11, s9
	s_delay_alu instid0(SALU_CYCLE_1) | instskip(SKIP_1) | instid1(SALU_CYCLE_1)
	s_cmp_lt_i32 s11, s5
	s_cselect_b32 s14, -1, 0
	s_and_b32 s13, s13, s14
	s_delay_alu instid0(SALU_CYCLE_1)
	s_and_not1_b32 vcc_lo, exec_lo, s13
	s_cbranch_vccnz .LBB54_6
; %bb.1:
	s_mul_i32 s10, s10, s5
	s_mul_i32 s5, s3, s12
	;; [unrolled: 1-line block ×3, first 2 shown]
	s_mulk_i32 s5, 0x1800
	s_add_co_i32 s2, s2, s8
	v_or_b32_e32 v1, s5, v0
	s_mul_i32 s7, s2, s3
	s_add_co_i32 s5, s11, s10
	s_load_b128 s[0:3], s[0:1], 0x0
	s_add_co_i32 s5, s5, s7
	s_mul_i32 s7, s6, ttmp9
	s_wait_alu 0xfffe
	v_mad_co_u64_u32 v[1:2], null, 0x60, s5, v[1:2]
	s_add_co_i32 s5, s7, s6
	s_add_co_i32 s10, s8, s9
	s_wait_alu 0xfffe
	s_add_co_i32 s8, s5, -2
	v_ashrrev_i32_e32 v2, 31, v1
	s_delay_alu instid0(VALU_DEP_1) | instskip(SKIP_1) | instid1(VALU_DEP_1)
	v_lshlrev_b64_e32 v[1:2], 2, v[1:2]
	s_wait_kmcnt 0x0
	v_add_co_u32 v1, vcc_lo, s0, v1
	s_delay_alu instid0(VALU_DEP_1)
	v_add_co_ci_u32_e64 v2, null, s1, v2, vcc_lo
	s_lshl_b32 s0, s5, 6
	s_wait_alu 0xfffe
	s_add_co_i32 s0, s10, s0
	global_load_b32 v5, v[1:2], off
	s_wait_alu 0xfffe
	s_sub_co_i32 s0, s0, 64
	s_wait_alu 0xfffe
	s_ashr_i32 s1, s0, 31
	s_wait_alu 0xfffe
	s_lshl_b64 s[0:1], s[0:1], 3
	s_cmp_lt_i32 s8, s7
	s_wait_alu 0xfffe
	s_add_nc_u64 s[0:1], s[2:3], s[0:1]
	s_load_b32 s11, s[0:1], 0x4
	s_cbranch_scc1 .LBB54_4
; %bb.2:
	s_load_b32 s0, s[0:1], 0x0
	s_add_co_i32 s1, ttmp9, 1
	s_lshl_b32 s8, s4, 8
	s_wait_alu 0xfffe
	s_mul_i32 s1, s6, s1
	s_mul_i32 s6, s10, 0x60
	s_wait_alu 0xfffe
	s_lshl_b32 s12, s1, 6
	s_mulk_i32 s1, 0x1800
	s_ashr_i32 s9, s8, 31
	s_wait_alu 0xfffe
	s_add_co_i32 s6, s6, s1
	s_add_co_i32 s10, s10, s12
	s_lshl_b32 s1, s4, 6
	v_add3_u32 v3, s6, v0, 0xffffd000
	s_wait_kmcnt 0x0
	v_mov_b32_e32 v6, s11
	s_lshl_b64 s[8:9], s[8:9], 2
	s_wait_alu 0xfffe
	s_add_co_i32 s4, s10, s1
	s_add_nc_u64 s[8:9], s[2:3], s[8:9]
	s_add_co_i32 s1, s5, -1
	s_wait_alu 0xfffe
	s_addk_co_i32 s4, 0xff80
.LBB54_3:                               ; =>This Inner Loop Header: Depth=1
	v_ashrrev_i32_e32 v4, 31, v3
	s_wait_alu 0xfffe
	s_ashr_i32 s5, s4, 31
	v_mov_b32_e32 v10, v6
	s_wait_alu 0xfffe
	s_lshl_b64 s[10:11], s[4:5], 3
	s_wait_loadcnt 0x0
	v_mov_b32_e32 v9, v5
	v_lshlrev_b64_e32 v[7:8], 2, v[3:4]
	s_wait_alu 0xfffe
	s_add_nc_u64 s[10:11], s[2:3], s[10:11]
	v_max_num_f32_e64 v4, s0, s0
	s_load_b64 s[10:11], s[10:11], 0x0
	v_add_nc_u32_e32 v3, 0xffffe800, v3
	v_add_co_u32 v7, vcc_lo, s8, v7
	s_wait_alu 0xfffd
	v_add_co_ci_u32_e64 v8, null, s9, v8, vcc_lo
	v_readfirstlane_b32 s5, v4
	global_load_b32 v0, v[7:8], off
	s_wait_kmcnt 0x0
	v_max_num_f32_e64 v4, s10, s10
	s_delay_alu instid0(VALU_DEP_1) | instskip(SKIP_2) | instid1(SALU_CYCLE_2)
	v_readfirstlane_b32 s6, v4
	s_max_num_f32 s5, s5, s6
	s_wait_alu 0xfffe
	s_sub_f32 s0, s0, s5
	s_sub_f32 s6, s10, s5
	s_wait_alu 0xfffe
	s_delay_alu instid0(SALU_CYCLE_1) | instskip(NEXT) | instid1(SALU_CYCLE_1)
	s_mul_f32 s10, s0, 0x3fb8aa3b
	s_mul_f32 s12, s6, 0x3fb8aa3b
	s_wait_alu 0xfffe
	s_delay_alu instid0(SALU_CYCLE_1)
	s_xor_b32 s13, s10, 0x80000000
	s_rndne_f32 s14, s10
	s_fmamk_f32 s13, s0, 0x3fb8aa3b, s13
	s_cmp_nlt_f32 s0, 0xc2ce8ed0
	s_rndne_f32 s15, s12
	s_wait_alu 0xfffe
	s_sub_f32 s10, s10, s14
	s_fmamk_f32 s13, s0, 0x32a5705f, s13
	s_cvt_i32_f32 s14, s14
	s_cselect_b32 vcc_lo, -1, 0
	s_cmp_ngt_f32 s0, 0x42b17218
	s_wait_alu 0xfffe
	s_add_f32 s10, s10, s13
	s_sub_f32 s13, s12, s15
	s_wait_alu 0xfffe
	s_delay_alu instid0(SALU_CYCLE_1) | instskip(SKIP_1) | instid1(TRANS32_DEP_1)
	v_s_exp_f32 s10, s10
	s_wait_alu 0xf1ff
	v_ldexp_f32 v4, s10, s14
	s_cvt_i32_f32 s10, s15
	s_delay_alu instid0(VALU_DEP_1) | instskip(SKIP_3) | instid1(VALU_DEP_1)
	v_cndmask_b32_e32 v4, 0, v4, vcc_lo
	s_cselect_b32 vcc_lo, -1, 0
	s_cmp_ge_f32 s0, 0xc1a00000
	s_wait_alu 0xfffe
	v_cndmask_b32_e32 v4, 0x7f800000, v4, vcc_lo
	s_cselect_b32 vcc_lo, -1, 0
	s_xor_b32 s0, s12, 0x80000000
	s_cmp_nlt_f32 s6, 0xc2ce8ed0
	s_wait_alu 0xfffe
	s_fmamk_f32 s0, s6, 0x3fb8aa3b, s0
	s_wait_alu 0xfffe
	s_delay_alu instid0(SALU_CYCLE_2) | instskip(SKIP_1) | instid1(SALU_CYCLE_2)
	s_fmamk_f32 s0, s6, 0x32a5705f, s0
	s_wait_alu 0xfffe
	s_add_f32 s0, s13, s0
	s_wait_alu 0xfffe
	s_delay_alu instid0(SALU_CYCLE_2) | instskip(SKIP_1) | instid1(TRANS32_DEP_1)
	v_s_exp_f32 s0, s0
	s_wait_alu 0xf1ff
	v_ldexp_f32 v7, s0, s10
	s_cselect_b32 s0, -1, 0
	s_cmp_ngt_f32 s6, 0x42b17218
	s_wait_alu 0xfffe
	s_delay_alu instid0(VALU_DEP_1) | instskip(SKIP_3) | instid1(VALU_DEP_1)
	v_cndmask_b32_e64 v7, 0, v7, s0
	s_cselect_b32 s0, -1, 0
	s_cmp_ge_f32 s6, 0xc1a00000
	s_wait_alu 0xfffe
	v_cndmask_b32_e64 v7, 0x7f800000, v7, s0
	s_cselect_b32 s0, -1, 0
	s_add_co_i32 s1, s1, -1
	s_sub_co_i32 s4, s4, 64
	s_wait_alu 0xfffe
	s_cmp_le_i32 s1, s7
	v_cndmask_b32_e64 v7, 0, v7, s0
	s_mov_b32 s0, s5
	s_wait_loadcnt 0x0
	s_delay_alu instid0(VALU_DEP_1) | instskip(NEXT) | instid1(VALU_DEP_1)
	v_dual_mul_f32 v5, v0, v7 :: v_dual_cndmask_b32 v4, 0, v4
	v_dual_mul_f32 v8, s11, v7 :: v_dual_fmac_f32 v5, v9, v4
	s_delay_alu instid0(VALU_DEP_1) | instskip(NEXT) | instid1(VALU_DEP_1)
	v_mov_b32_e32 v6, v8
	v_fmac_f32_e32 v6, v10, v4
	s_cbranch_scc0 .LBB54_3
	s_branch .LBB54_5
.LBB54_4:
	s_wait_kmcnt 0x0
	v_mov_b32_e32 v6, s11
.LBB54_5:
	s_wait_loadcnt 0x0
	s_delay_alu instid0(VALU_DEP_1) | instskip(NEXT) | instid1(VALU_DEP_1)
	v_div_scale_f32 v0, null, v6, v6, v5
	v_rcp_f32_e32 v3, v0
	s_delay_alu instid0(TRANS32_DEP_1) | instskip(NEXT) | instid1(VALU_DEP_1)
	v_fma_f32 v4, -v0, v3, 1.0
	v_fmac_f32_e32 v3, v4, v3
	v_div_scale_f32 v4, vcc_lo, v5, v6, v5
	s_delay_alu instid0(VALU_DEP_1) | instskip(NEXT) | instid1(VALU_DEP_1)
	v_mul_f32_e32 v7, v4, v3
	v_fma_f32 v8, -v0, v7, v4
	s_delay_alu instid0(VALU_DEP_1) | instskip(NEXT) | instid1(VALU_DEP_1)
	v_fmac_f32_e32 v7, v8, v3
	v_fma_f32 v0, -v0, v7, v4
	s_wait_alu 0xfffd
	s_delay_alu instid0(VALU_DEP_1) | instskip(NEXT) | instid1(VALU_DEP_1)
	v_div_fmas_f32 v0, v0, v3, v7
	v_div_fixup_f32 v0, v0, v6, v5
	global_store_b32 v[1:2], v0, off
.LBB54_6:
	s_endpgm
	.section	.rodata,"a",@progbits
	.p2align	6, 0x0
	.amdhsa_kernel _ZL33flash_attn_stream_k_fixup_uniformILi96ELi64ELi1EEvPfPK15HIP_vector_typeIfLj2EEiiiiiiS1_IjLj3EES5_S5_
		.amdhsa_group_segment_fixed_size 0
		.amdhsa_private_segment_fixed_size 0
		.amdhsa_kernarg_size 76
		.amdhsa_user_sgpr_count 2
		.amdhsa_user_sgpr_dispatch_ptr 0
		.amdhsa_user_sgpr_queue_ptr 0
		.amdhsa_user_sgpr_kernarg_segment_ptr 1
		.amdhsa_user_sgpr_dispatch_id 0
		.amdhsa_user_sgpr_private_segment_size 0
		.amdhsa_wavefront_size32 1
		.amdhsa_uses_dynamic_stack 0
		.amdhsa_enable_private_segment 0
		.amdhsa_system_sgpr_workgroup_id_x 1
		.amdhsa_system_sgpr_workgroup_id_y 1
		.amdhsa_system_sgpr_workgroup_id_z 1
		.amdhsa_system_sgpr_workgroup_info 0
		.amdhsa_system_vgpr_workitem_id 0
		.amdhsa_next_free_vgpr 11
		.amdhsa_next_free_sgpr 16
		.amdhsa_reserve_vcc 1
		.amdhsa_float_round_mode_32 0
		.amdhsa_float_round_mode_16_64 0
		.amdhsa_float_denorm_mode_32 3
		.amdhsa_float_denorm_mode_16_64 3
		.amdhsa_fp16_overflow 0
		.amdhsa_workgroup_processor_mode 1
		.amdhsa_memory_ordered 1
		.amdhsa_forward_progress 1
		.amdhsa_inst_pref_size 9
		.amdhsa_round_robin_scheduling 0
		.amdhsa_exception_fp_ieee_invalid_op 0
		.amdhsa_exception_fp_denorm_src 0
		.amdhsa_exception_fp_ieee_div_zero 0
		.amdhsa_exception_fp_ieee_overflow 0
		.amdhsa_exception_fp_ieee_underflow 0
		.amdhsa_exception_fp_ieee_inexact 0
		.amdhsa_exception_int_div_zero 0
	.end_amdhsa_kernel
	.section	.text._ZL33flash_attn_stream_k_fixup_uniformILi96ELi64ELi1EEvPfPK15HIP_vector_typeIfLj2EEiiiiiiS1_IjLj3EES5_S5_,"axG",@progbits,_ZL33flash_attn_stream_k_fixup_uniformILi96ELi64ELi1EEvPfPK15HIP_vector_typeIfLj2EEiiiiiiS1_IjLj3EES5_S5_,comdat
.Lfunc_end54:
	.size	_ZL33flash_attn_stream_k_fixup_uniformILi96ELi64ELi1EEvPfPK15HIP_vector_typeIfLj2EEiiiiiiS1_IjLj3EES5_S5_, .Lfunc_end54-_ZL33flash_attn_stream_k_fixup_uniformILi96ELi64ELi1EEvPfPK15HIP_vector_typeIfLj2EEiiiiiiS1_IjLj3EES5_S5_
                                        ; -- End function
	.set _ZL33flash_attn_stream_k_fixup_uniformILi96ELi64ELi1EEvPfPK15HIP_vector_typeIfLj2EEiiiiiiS1_IjLj3EES5_S5_.num_vgpr, 11
	.set _ZL33flash_attn_stream_k_fixup_uniformILi96ELi64ELi1EEvPfPK15HIP_vector_typeIfLj2EEiiiiiiS1_IjLj3EES5_S5_.num_agpr, 0
	.set _ZL33flash_attn_stream_k_fixup_uniformILi96ELi64ELi1EEvPfPK15HIP_vector_typeIfLj2EEiiiiiiS1_IjLj3EES5_S5_.numbered_sgpr, 16
	.set _ZL33flash_attn_stream_k_fixup_uniformILi96ELi64ELi1EEvPfPK15HIP_vector_typeIfLj2EEiiiiiiS1_IjLj3EES5_S5_.num_named_barrier, 0
	.set _ZL33flash_attn_stream_k_fixup_uniformILi96ELi64ELi1EEvPfPK15HIP_vector_typeIfLj2EEiiiiiiS1_IjLj3EES5_S5_.private_seg_size, 0
	.set _ZL33flash_attn_stream_k_fixup_uniformILi96ELi64ELi1EEvPfPK15HIP_vector_typeIfLj2EEiiiiiiS1_IjLj3EES5_S5_.uses_vcc, 1
	.set _ZL33flash_attn_stream_k_fixup_uniformILi96ELi64ELi1EEvPfPK15HIP_vector_typeIfLj2EEiiiiiiS1_IjLj3EES5_S5_.uses_flat_scratch, 0
	.set _ZL33flash_attn_stream_k_fixup_uniformILi96ELi64ELi1EEvPfPK15HIP_vector_typeIfLj2EEiiiiiiS1_IjLj3EES5_S5_.has_dyn_sized_stack, 0
	.set _ZL33flash_attn_stream_k_fixup_uniformILi96ELi64ELi1EEvPfPK15HIP_vector_typeIfLj2EEiiiiiiS1_IjLj3EES5_S5_.has_recursion, 0
	.set _ZL33flash_attn_stream_k_fixup_uniformILi96ELi64ELi1EEvPfPK15HIP_vector_typeIfLj2EEiiiiiiS1_IjLj3EES5_S5_.has_indirect_call, 0
	.section	.AMDGPU.csdata,"",@progbits
; Kernel info:
; codeLenInByte = 1136
; TotalNumSgprs: 18
; NumVgprs: 11
; ScratchSize: 0
; MemoryBound: 0
; FloatMode: 240
; IeeeMode: 1
; LDSByteSize: 0 bytes/workgroup (compile time only)
; SGPRBlocks: 0
; VGPRBlocks: 1
; NumSGPRsForWavesPerEU: 18
; NumVGPRsForWavesPerEU: 11
; Occupancy: 16
; WaveLimiterHint : 0
; COMPUTE_PGM_RSRC2:SCRATCH_EN: 0
; COMPUTE_PGM_RSRC2:USER_SGPR: 2
; COMPUTE_PGM_RSRC2:TRAP_HANDLER: 0
; COMPUTE_PGM_RSRC2:TGID_X_EN: 1
; COMPUTE_PGM_RSRC2:TGID_Y_EN: 1
; COMPUTE_PGM_RSRC2:TGID_Z_EN: 1
; COMPUTE_PGM_RSRC2:TIDIG_COMP_CNT: 0
	.section	.text._ZL33flash_attn_stream_k_fixup_generalILi96ELi64ELi1EEvPfPK15HIP_vector_typeIfLj2EEiiiiS1_IjLj3EES5_S5_S5_,"axG",@progbits,_ZL33flash_attn_stream_k_fixup_generalILi96ELi64ELi1EEvPfPK15HIP_vector_typeIfLj2EEiiiiS1_IjLj3EES5_S5_S5_,comdat
	.globl	_ZL33flash_attn_stream_k_fixup_generalILi96ELi64ELi1EEvPfPK15HIP_vector_typeIfLj2EEiiiiS1_IjLj3EES5_S5_S5_ ; -- Begin function _ZL33flash_attn_stream_k_fixup_generalILi96ELi64ELi1EEvPfPK15HIP_vector_typeIfLj2EEiiiiS1_IjLj3EES5_S5_S5_
	.p2align	8
	.type	_ZL33flash_attn_stream_k_fixup_generalILi96ELi64ELi1EEvPfPK15HIP_vector_typeIfLj2EEiiiiS1_IjLj3EES5_S5_S5_,@function
_ZL33flash_attn_stream_k_fixup_generalILi96ELi64ELi1EEvPfPK15HIP_vector_typeIfLj2EEiiiiS1_IjLj3EES5_S5_S5_: ; @_ZL33flash_attn_stream_k_fixup_generalILi96ELi64ELi1EEvPfPK15HIP_vector_typeIfLj2EEiiiiS1_IjLj3EES5_S5_S5_
; %bb.0:
	s_clause 0x1
	s_load_b128 s[4:7], s[0:1], 0x10
	s_load_b32 s16, s[0:1], 0x50
	s_mov_b32 s2, ttmp9
	s_ashr_i32 s3, ttmp9, 31
	s_mov_b32 s17, 0
	s_delay_alu instid0(SALU_CYCLE_1) | instskip(SKIP_3) | instid1(SALU_CYCLE_1)
	s_mov_b32 s8, s17
	s_wait_kmcnt 0x0
	s_ashr_i32 s19, s7, 31
	s_mov_b32 s18, s7
	s_mul_u64 s[2:3], s[18:19], s[2:3]
	s_delay_alu instid0(SALU_CYCLE_1) | instskip(NEXT) | instid1(SALU_CYCLE_1)
	s_mov_b32 s9, s3
	s_cmp_lg_u64 s[8:9], 0
	s_cbranch_scc0 .LBB55_21
; %bb.1:
	s_add_nc_u64 s[8:9], s[16:17], 0
	s_mov_b32 s15, s17
	s_xor_b64 s[8:9], s[8:9], 0
	s_mov_b32 s23, s17
	s_cvt_f32_u32 s7, s8
	s_cvt_f32_u32 s10, s9
	s_sub_nc_u64 s[12:13], 0, s[8:9]
	s_delay_alu instid0(SALU_CYCLE_2) | instskip(NEXT) | instid1(SALU_CYCLE_3)
	s_fmamk_f32 s7, s10, 0x4f800000, s7
	v_s_rcp_f32 s7, s7
	s_delay_alu instid0(TRANS32_DEP_1) | instskip(SKIP_1) | instid1(SALU_CYCLE_2)
	s_mul_f32 s7, s7, 0x5f7ffffc
	s_wait_alu 0xfffe
	s_mul_f32 s10, s7, 0x2f800000
	s_delay_alu instid0(SALU_CYCLE_3) | instskip(NEXT) | instid1(SALU_CYCLE_3)
	s_trunc_f32 s10, s10
	s_fmamk_f32 s7, s10, 0xcf800000, s7
	s_cvt_u32_f32 s11, s10
	s_wait_alu 0xfffe
	s_delay_alu instid0(SALU_CYCLE_1) | instskip(NEXT) | instid1(SALU_CYCLE_3)
	s_cvt_u32_f32 s10, s7
	s_mul_u64 s[20:21], s[12:13], s[10:11]
	s_delay_alu instid0(SALU_CYCLE_1)
	s_mul_hi_u32 s25, s10, s21
	s_mul_i32 s24, s10, s21
	s_mul_hi_u32 s14, s10, s20
	s_mul_i32 s22, s11, s20
	s_add_nc_u64 s[14:15], s[14:15], s[24:25]
	s_mul_hi_u32 s7, s11, s20
	s_mul_hi_u32 s26, s11, s21
	s_add_co_u32 s14, s14, s22
	s_wait_alu 0xfffe
	s_add_co_ci_u32 s22, s15, s7
	s_mul_i32 s20, s11, s21
	s_add_co_ci_u32 s21, s26, 0
	s_delay_alu instid0(SALU_CYCLE_1)
	s_add_nc_u64 s[14:15], s[22:23], s[20:21]
	s_mov_b32 s21, s17
	s_add_co_u32 s10, s10, s14
	s_cselect_b32 s7, -1, 0
	s_wait_alu 0xfffe
	s_cmp_lg_u32 s7, 0
	s_add_co_ci_u32 s11, s11, s15
	s_mov_b32 s15, s17
	s_mul_u64 s[12:13], s[12:13], s[10:11]
	s_delay_alu instid0(SALU_CYCLE_1)
	s_mul_hi_u32 s23, s10, s13
	s_mul_i32 s22, s10, s13
	s_mul_hi_u32 s14, s10, s12
	s_mul_i32 s20, s11, s12
	s_add_nc_u64 s[14:15], s[14:15], s[22:23]
	s_mul_hi_u32 s7, s11, s12
	s_mul_hi_u32 s24, s11, s13
	s_mul_i32 s12, s11, s13
	s_add_co_u32 s13, s14, s20
	s_wait_alu 0xfffe
	s_add_co_ci_u32 s20, s15, s7
	s_add_co_ci_u32 s13, s24, 0
	s_mov_b32 s15, s17
	s_add_nc_u64 s[12:13], s[20:21], s[12:13]
	s_delay_alu instid0(SALU_CYCLE_1) | instskip(SKIP_1) | instid1(SALU_CYCLE_1)
	s_add_co_u32 s7, s10, s12
	s_cselect_b32 s10, -1, 0
	s_cmp_lg_u32 s10, 0
	s_add_co_ci_u32 s20, s11, s13
	s_ashr_i32 s10, s3, 31
	s_delay_alu instid0(SALU_CYCLE_1) | instskip(NEXT) | instid1(SALU_CYCLE_1)
	s_mov_b32 s11, s10
	s_add_nc_u64 s[12:13], s[2:3], s[10:11]
	s_delay_alu instid0(SALU_CYCLE_1) | instskip(NEXT) | instid1(SALU_CYCLE_1)
	s_xor_b64 s[12:13], s[12:13], s[10:11]
	s_mul_hi_u32 s23, s12, s20
	s_mul_i32 s22, s12, s20
	s_wait_alu 0xfffe
	s_mul_hi_u32 s14, s12, s7
	s_mul_hi_u32 s24, s13, s7
	s_mul_i32 s7, s13, s7
	s_add_nc_u64 s[14:15], s[14:15], s[22:23]
	s_mul_hi_u32 s3, s13, s20
	s_wait_alu 0xfffe
	s_add_co_u32 s7, s14, s7
	s_mul_i32 s22, s13, s20
	s_add_co_ci_u32 s20, s15, s24
	s_add_co_ci_u32 s23, s3, 0
	s_delay_alu instid0(SALU_CYCLE_1) | instskip(NEXT) | instid1(SALU_CYCLE_1)
	s_add_nc_u64 s[14:15], s[20:21], s[22:23]
	s_mul_u64 s[20:21], s[8:9], s[14:15]
	s_delay_alu instid0(SALU_CYCLE_1)
	s_sub_co_u32 s3, s12, s20
	s_cselect_b32 s7, -1, 0
	s_sub_co_i32 s12, s13, s21
	s_wait_alu 0xfffe
	s_cmp_lg_u32 s7, 0
	s_sub_co_ci_u32 s12, s12, s9
	s_sub_co_u32 s20, s3, s8
	s_cselect_b32 s22, -1, 0
	s_delay_alu instid0(SALU_CYCLE_1) | instskip(SKIP_2) | instid1(SALU_CYCLE_1)
	s_cmp_lg_u32 s22, 0
	s_add_nc_u64 s[22:23], s[14:15], 1
	s_sub_co_ci_u32 s12, s12, 0
	s_cmp_ge_u32 s12, s9
	s_cselect_b32 s24, -1, 0
	s_cmp_ge_u32 s20, s8
	s_cselect_b32 s20, -1, 0
	s_cmp_eq_u32 s12, s9
	s_cselect_b32 s12, s20, s24
	s_add_nc_u64 s[24:25], s[14:15], 2
	s_cmp_lg_u32 s12, 0
	s_cselect_b32 s12, s24, s22
	s_cselect_b32 s20, s25, s23
	s_cmp_lg_u32 s7, 0
	s_sub_co_ci_u32 s7, s13, s21
	s_wait_alu 0xfffe
	s_cmp_ge_u32 s7, s9
	s_cselect_b32 s13, -1, 0
	s_cmp_ge_u32 s3, s8
	s_cselect_b32 s3, -1, 0
	s_cmp_eq_u32 s7, s9
	s_cselect_b32 s3, s3, s13
	s_delay_alu instid0(SALU_CYCLE_1) | instskip(SKIP_4) | instid1(SALU_CYCLE_1)
	s_cmp_lg_u32 s3, 0
	s_mov_b32 s3, s17
	s_cselect_b32 s9, s20, s15
	s_cselect_b32 s8, s12, s14
	s_xor_b64 s[10:11], s[10:11], 0
	s_xor_b64 s[8:9], s[8:9], s[10:11]
	s_delay_alu instid0(SALU_CYCLE_1)
	s_sub_nc_u64 s[20:21], s[8:9], s[10:11]
	s_and_not1_b32 vcc_lo, exec_lo, s3
	s_cbranch_vccnz .LBB55_3
.LBB55_2:
	v_cvt_f32_u32_e32 v1, s16
	s_sub_co_i32 s7, 0, s16
	s_delay_alu instid0(VALU_DEP_1) | instskip(NEXT) | instid1(TRANS32_DEP_1)
	v_rcp_iflag_f32_e32 v1, v1
	v_mul_f32_e32 v1, 0x4f7ffffe, v1
	s_delay_alu instid0(VALU_DEP_1) | instskip(NEXT) | instid1(VALU_DEP_1)
	v_cvt_u32_f32_e32 v1, v1
	v_readfirstlane_b32 s3, v1
	s_wait_alu 0xfffe
	s_mul_i32 s7, s7, s3
	s_wait_alu 0xfffe
	s_mul_hi_u32 s7, s3, s7
	s_wait_alu 0xfffe
	s_add_co_i32 s3, s3, s7
	s_delay_alu instid0(SALU_CYCLE_1) | instskip(NEXT) | instid1(SALU_CYCLE_1)
	s_mul_hi_u32 s3, s2, s3
	s_mul_i32 s7, s3, s16
	s_wait_alu 0xfffe
	s_sub_co_i32 s2, s2, s7
	s_add_co_i32 s7, s3, 1
	s_sub_co_i32 s8, s2, s16
	s_cmp_ge_u32 s2, s16
	s_wait_alu 0xfffe
	s_cselect_b32 s3, s7, s3
	s_cselect_b32 s2, s8, s2
	s_add_co_i32 s7, s3, 1
	s_cmp_ge_u32 s2, s16
	s_wait_alu 0xfffe
	s_cselect_b32 s20, s7, s3
.LBB55_3:
	s_add_co_i32 s2, ttmp9, 1
	s_mov_b32 s8, 0
	s_ashr_i32 s3, s2, 31
	s_delay_alu instid0(SALU_CYCLE_1) | instskip(NEXT) | instid1(SALU_CYCLE_1)
	s_mul_u64 s[2:3], s[18:19], s[2:3]
	s_mov_b32 s9, s3
	s_delay_alu instid0(SALU_CYCLE_1)
	s_cmp_lg_u64 s[8:9], 0
	s_cbranch_scc0 .LBB55_22
; %bb.4:
	s_add_nc_u64 s[10:11], s[16:17], 0
	s_mov_b32 s23, s8
	s_xor_b64 s[10:11], s[10:11], 0
	s_mov_b32 s27, s8
	s_cvt_f32_u32 s7, s10
	s_cvt_f32_u32 s9, s11
	s_sub_nc_u64 s[14:15], 0, s[10:11]
	s_wait_alu 0xfffe
	s_delay_alu instid0(SALU_CYCLE_1) | instskip(SKIP_1) | instid1(SALU_CYCLE_2)
	s_fmamk_f32 s7, s9, 0x4f800000, s7
	s_wait_alu 0xfffe
	v_s_rcp_f32 s7, s7
	s_delay_alu instid0(TRANS32_DEP_1) | instskip(SKIP_1) | instid1(SALU_CYCLE_2)
	s_mul_f32 s7, s7, 0x5f7ffffc
	s_wait_alu 0xfffe
	s_mul_f32 s9, s7, 0x2f800000
	s_delay_alu instid0(SALU_CYCLE_3) | instskip(NEXT) | instid1(SALU_CYCLE_3)
	s_trunc_f32 s9, s9
	s_fmamk_f32 s7, s9, 0xcf800000, s7
	s_cvt_u32_f32 s13, s9
	s_wait_alu 0xfffe
	s_delay_alu instid0(SALU_CYCLE_1) | instskip(NEXT) | instid1(SALU_CYCLE_3)
	s_cvt_u32_f32 s12, s7
	s_mul_u64 s[24:25], s[14:15], s[12:13]
	s_delay_alu instid0(SALU_CYCLE_1)
	s_mul_hi_u32 s29, s12, s25
	s_mul_i32 s28, s12, s25
	s_mul_hi_u32 s22, s12, s24
	s_mul_i32 s9, s13, s24
	s_add_nc_u64 s[22:23], s[22:23], s[28:29]
	s_mul_hi_u32 s7, s13, s24
	s_mul_hi_u32 s21, s13, s25
	s_add_co_u32 s9, s22, s9
	s_wait_alu 0xfffe
	s_add_co_ci_u32 s26, s23, s7
	s_mul_i32 s24, s13, s25
	s_add_co_ci_u32 s25, s21, 0
	s_delay_alu instid0(SALU_CYCLE_1)
	s_add_nc_u64 s[22:23], s[26:27], s[24:25]
	s_mov_b32 s25, s8
	s_add_co_u32 s12, s12, s22
	s_cselect_b32 s7, -1, 0
	s_wait_alu 0xfffe
	s_cmp_lg_u32 s7, 0
	s_add_co_ci_u32 s13, s13, s23
	s_mov_b32 s23, s8
	s_mul_u64 s[14:15], s[14:15], s[12:13]
	s_delay_alu instid0(SALU_CYCLE_1)
	s_mul_hi_u32 s27, s12, s15
	s_mul_i32 s26, s12, s15
	s_mul_hi_u32 s22, s12, s14
	s_mul_i32 s9, s13, s14
	s_add_nc_u64 s[22:23], s[22:23], s[26:27]
	s_mul_hi_u32 s7, s13, s14
	s_mul_hi_u32 s21, s13, s15
	s_add_co_u32 s9, s22, s9
	s_wait_alu 0xfffe
	s_add_co_ci_u32 s24, s23, s7
	s_mul_i32 s14, s13, s15
	s_add_co_ci_u32 s15, s21, 0
	s_mov_b32 s23, s8
	s_add_nc_u64 s[14:15], s[24:25], s[14:15]
	s_delay_alu instid0(SALU_CYCLE_1) | instskip(SKIP_1) | instid1(SALU_CYCLE_1)
	s_add_co_u32 s7, s12, s14
	s_cselect_b32 s9, -1, 0
	s_cmp_lg_u32 s9, 0
	s_add_co_ci_u32 s9, s13, s15
	s_ashr_i32 s12, s3, 31
	s_delay_alu instid0(SALU_CYCLE_1) | instskip(NEXT) | instid1(SALU_CYCLE_1)
	s_mov_b32 s13, s12
	s_add_nc_u64 s[14:15], s[2:3], s[12:13]
	s_delay_alu instid0(SALU_CYCLE_1) | instskip(NEXT) | instid1(SALU_CYCLE_1)
	s_xor_b64 s[14:15], s[14:15], s[12:13]
	s_mul_hi_u32 s27, s14, s9
	s_mul_i32 s26, s14, s9
	s_wait_alu 0xfffe
	s_mul_hi_u32 s22, s14, s7
	s_mul_hi_u32 s21, s15, s7
	s_mul_i32 s7, s15, s7
	s_add_nc_u64 s[22:23], s[22:23], s[26:27]
	s_mul_hi_u32 s3, s15, s9
	s_wait_alu 0xfffe
	s_add_co_u32 s7, s22, s7
	s_add_co_ci_u32 s24, s23, s21
	s_mul_i32 s26, s15, s9
	s_add_co_ci_u32 s27, s3, 0
	s_delay_alu instid0(SALU_CYCLE_1) | instskip(NEXT) | instid1(SALU_CYCLE_1)
	s_add_nc_u64 s[22:23], s[24:25], s[26:27]
	s_mul_u64 s[24:25], s[10:11], s[22:23]
	s_add_nc_u64 s[26:27], s[22:23], 1
	s_sub_co_u32 s3, s14, s24
	s_cselect_b32 s7, -1, 0
	s_sub_co_i32 s9, s15, s25
	s_wait_alu 0xfffe
	s_cmp_lg_u32 s7, 0
	s_add_nc_u64 s[28:29], s[22:23], 2
	s_sub_co_ci_u32 s9, s9, s11
	s_sub_co_u32 s14, s3, s10
	s_cselect_b32 s21, -1, 0
	s_delay_alu instid0(SALU_CYCLE_1) | instskip(SKIP_1) | instid1(SALU_CYCLE_1)
	s_cmp_lg_u32 s21, 0
	s_sub_co_ci_u32 s9, s9, 0
	s_cmp_ge_u32 s9, s11
	s_cselect_b32 s21, -1, 0
	s_cmp_ge_u32 s14, s10
	s_cselect_b32 s14, -1, 0
	s_cmp_eq_u32 s9, s11
	s_cselect_b32 s9, s14, s21
	s_delay_alu instid0(SALU_CYCLE_1)
	s_cmp_lg_u32 s9, 0
	s_cselect_b32 s9, s28, s26
	s_cselect_b32 s14, s29, s27
	s_cmp_lg_u32 s7, 0
	s_sub_co_ci_u32 s7, s15, s25
	s_wait_alu 0xfffe
	s_cmp_ge_u32 s7, s11
	s_cselect_b32 s15, -1, 0
	s_cmp_ge_u32 s3, s10
	s_cselect_b32 s3, -1, 0
	s_cmp_eq_u32 s7, s11
	s_cselect_b32 s3, s3, s15
	s_delay_alu instid0(SALU_CYCLE_1) | instskip(SKIP_3) | instid1(SALU_CYCLE_1)
	s_cmp_lg_u32 s3, 0
	s_cselect_b32 s11, s14, s23
	s_cselect_b32 s10, s9, s22
	s_xor_b64 s[12:13], s[12:13], 0
	s_xor_b64 s[10:11], s[10:11], s[12:13]
	s_delay_alu instid0(SALU_CYCLE_1)
	s_sub_nc_u64 s[10:11], s[10:11], s[12:13]
	s_load_b96 s[12:14], s[0:1], 0x44
	s_and_not1_b32 vcc_lo, exec_lo, s8
	s_cbranch_vccnz .LBB55_6
.LBB55_5:
	v_cvt_f32_u32_e32 v1, s16
	s_sub_co_i32 s7, 0, s16
	s_delay_alu instid0(VALU_DEP_1) | instskip(NEXT) | instid1(TRANS32_DEP_1)
	v_rcp_iflag_f32_e32 v1, v1
	v_mul_f32_e32 v1, 0x4f7ffffe, v1
	s_delay_alu instid0(VALU_DEP_1) | instskip(NEXT) | instid1(VALU_DEP_1)
	v_cvt_u32_f32_e32 v1, v1
	v_readfirstlane_b32 s3, v1
	s_wait_alu 0xfffe
	s_mul_i32 s7, s7, s3
	s_wait_alu 0xfffe
	s_mul_hi_u32 s7, s3, s7
	s_wait_alu 0xfffe
	s_add_co_i32 s3, s3, s7
	s_delay_alu instid0(SALU_CYCLE_1) | instskip(NEXT) | instid1(SALU_CYCLE_1)
	s_mul_hi_u32 s3, s2, s3
	s_mul_i32 s7, s3, s16
	s_wait_alu 0xfffe
	s_sub_co_i32 s2, s2, s7
	s_add_co_i32 s7, s3, 1
	s_sub_co_i32 s8, s2, s16
	s_cmp_ge_u32 s2, s16
	s_wait_alu 0xfffe
	s_cselect_b32 s3, s7, s3
	s_cselect_b32 s2, s8, s2
	s_add_co_i32 s7, s3, 1
	s_cmp_ge_u32 s2, s16
	s_wait_alu 0xfffe
	s_cselect_b32 s10, s7, s3
.LBB55_6:
	s_mov_b32 s21, 0
	s_wait_kmcnt 0x0
	s_mov_b32 s22, s12
	s_mov_b32 s23, s21
	s_cmp_eq_u32 s20, s10
	s_mul_u64 s[2:3], s[20:21], s[22:23]
	s_cselect_b32 s7, -1, 0
	s_add_co_i32 s2, s3, s20
	s_mov_b32 s11, s21
	s_lshr_b32 s12, s2, s13
	s_mul_u64 s[2:3], s[10:11], s[22:23]
	s_mul_i32 s2, s12, s14
	s_delay_alu instid0(SALU_CYCLE_1) | instskip(SKIP_2) | instid1(SALU_CYCLE_1)
	s_cmp_eq_u32 s2, s20
	s_cselect_b32 s2, -1, 0
	s_add_co_i32 s3, s3, s10
	s_lshr_b32 s3, s3, s13
	s_delay_alu instid0(SALU_CYCLE_1)
	s_cmp_eq_u32 s12, s3
	s_mul_i32 s3, s3, s14
	s_cselect_b32 s8, -1, 0
	s_cmp_lg_u32 s3, s10
	s_cselect_b32 s3, -1, 0
	s_wait_alu 0xfffe
	s_or_b32 s2, s7, s2
	s_and_b32 s3, s8, s3
	s_delay_alu instid0(SALU_CYCLE_1) | instskip(NEXT) | instid1(SALU_CYCLE_1)
	s_or_b32 s2, s2, s3
	s_and_b32 vcc_lo, exec_lo, s2
	s_cbranch_vccnz .LBB55_24
; %bb.7:
	s_load_b256 s[24:31], s[0:1], 0x20
	s_mov_b32 s3, s21
	s_and_b32 s15, ttmp7, 0xffff
	s_wait_kmcnt 0x0
	s_mov_b32 s2, s24
	s_delay_alu instid0(SALU_CYCLE_1) | instskip(NEXT) | instid1(SALU_CYCLE_1)
	s_mul_u64 s[2:3], s[20:21], s[2:3]
	s_add_co_i32 s2, s3, s20
	s_delay_alu instid0(SALU_CYCLE_1) | instskip(SKIP_4) | instid1(SALU_CYCLE_1)
	s_lshr_b32 s3, s2, s25
	s_load_b32 s2, s[0:1], 0x40
	s_mul_i32 s7, s3, s26
	s_wait_alu 0xfffe
	s_sub_co_i32 s8, s20, s7
	s_mul_hi_u32 s7, s8, s27
	s_wait_alu 0xfffe
	s_add_co_i32 s7, s8, s7
	s_wait_alu 0xfffe
	s_lshr_b32 s7, s7, s28
	s_wait_alu 0xfffe
	s_mul_i32 s9, s7, s29
	s_delay_alu instid0(SALU_CYCLE_1) | instskip(NEXT) | instid1(SALU_CYCLE_1)
	s_sub_co_i32 s8, s8, s9
	s_mul_hi_u32 s9, s8, s30
	s_delay_alu instid0(SALU_CYCLE_1) | instskip(NEXT) | instid1(SALU_CYCLE_1)
	s_add_co_i32 s9, s8, s9
	s_lshr_b32 s24, s9, s31
	s_mov_b32 s9, s21
	s_wait_kmcnt 0x0
	s_mul_i32 s2, s24, s2
	s_delay_alu instid0(SALU_CYCLE_1) | instskip(NEXT) | instid1(SALU_CYCLE_1)
	s_sub_co_i32 s8, s8, s2
	s_mul_u64 s[10:11], s[8:9], s[22:23]
	s_delay_alu instid0(SALU_CYCLE_1) | instskip(NEXT) | instid1(SALU_CYCLE_1)
	s_add_co_i32 s2, s8, s11
	s_lshr_b32 s21, s2, s13
	s_delay_alu instid0(SALU_CYCLE_1) | instskip(NEXT) | instid1(SALU_CYCLE_1)
	s_lshl_b32 s2, s21, 6
	s_add_co_i32 s8, s2, s15
	s_lshr_b32 s2, ttmp7, 16
	s_cmp_lt_i32 s8, s4
	s_cselect_b32 s8, -1, 0
	s_add_co_i32 s24, s24, s2
	s_delay_alu instid0(SALU_CYCLE_1) | instskip(SKIP_1) | instid1(SALU_CYCLE_1)
	s_cmp_lt_i32 s24, s6
	s_cselect_b32 s9, -1, 0
	s_and_b32 s8, s8, s9
	s_delay_alu instid0(SALU_CYCLE_1)
	s_and_not1_b32 vcc_lo, exec_lo, s8
	s_cbranch_vccnz .LBB55_24
; %bb.8:
	s_mul_i32 s3, s3, s4
	s_load_b128 s[8:11], s[0:1], 0x0
	s_add_co_i32 s0, s3, s15
	s_mul_i32 s7, s7, s6
	s_mul_i32 s0, s0, s5
	s_wait_alu 0xfffe
	s_add_co_i32 s1, s24, s7
	s_mul_i32 s3, s5, s21
	s_add_co_i32 s0, s1, s0
	s_mulk_i32 s3, 0x1800
	s_mulk_i32 s0, 0x60
	s_add_co_i32 s15, s15, s2
	v_add3_u32 v1, s3, s0, v0
	s_add_nc_u64 s[0:1], s[16:17], 0
	v_cvt_f32_u32_e32 v3, s16
	s_wait_alu 0xfffe
	s_xor_b64 s[6:7], s[0:1], 0
	s_lshl_b32 s0, ttmp9, 6
	v_ashrrev_i32_e32 v2, 31, v1
	s_wait_alu 0xfffe
	s_cvt_f32_u32 s1, s6
	s_cvt_f32_u32 s2, s7
	s_add_co_i32 s0, s0, s15
	v_rcp_iflag_f32_e32 v3, v3
	v_lshlrev_b64_e32 v[1:2], 2, v[1:2]
	s_wait_alu 0xfffe
	s_fmamk_f32 s2, s2, 0x4f800000, s1
	s_ashr_i32 s1, s0, 31
	s_add_co_i32 s34, ttmp9, -1
	s_wait_alu 0xfffe
	s_lshl_b64 s[0:1], s[0:1], 3
	v_s_rcp_f32 s2, s2
	s_wait_kmcnt 0x0
	v_add_co_u32 v1, vcc_lo, s8, v1
	s_delay_alu instid0(VALU_DEP_1)
	v_add_co_ci_u32_e64 v2, null, s9, v2, vcc_lo
	s_wait_alu 0xfffe
	s_add_nc_u64 s[0:1], s[10:11], s[0:1]
	s_mov_b32 s8, 0
	s_load_b64 s[26:27], s[0:1], 0x0
	global_load_b32 v5, v[1:2], off
	s_mul_f32 s2, s2, 0x5f7ffffc
	s_lshl_b32 s0, s16, 8
	s_mov_b32 s1, s8
	v_mul_f32_e32 v6, 0x4f7ffffe, v3
	s_wait_alu 0xfffe
	s_mul_f32 s3, s2, 0x2f800000
	s_lshl_b64 s[0:1], s[0:1], 2
	v_mad_co_u64_u32 v[3:4], null, 0x60, s15, v[0:1]
	s_wait_alu 0xfffe
	s_trunc_f32 s3, s3
	s_add_nc_u64 s[24:25], s[10:11], s[0:1]
	v_cvt_u32_f32_e32 v0, v6
	s_sub_nc_u64 s[30:31], 0, s[6:7]
	s_wait_alu 0xfffe
	s_fmamk_f32 s0, s3, 0xcf800000, s2
	s_cvt_u32_f32 s29, s3
	s_wait_alu 0xfffe
	s_delay_alu instid0(SALU_CYCLE_1)
	s_cvt_u32_f32 s28, s0
	s_wait_kmcnt 0x0
	v_mov_b32_e32 v4, s27
.LBB55_9:                               ; =>This Inner Loop Header: Depth=1
	s_wait_alu 0xfffe
	s_ashr_i32 s35, s34, 31
	s_mov_b32 s2, -1
	s_wait_alu 0xfffe
	s_mul_u64 s[0:1], s[34:35], s[18:19]
                                        ; implicit-def: $sgpr38_sgpr39
	s_wait_alu 0xfffe
	s_mov_b32 s9, s1
	s_wait_alu 0xfffe
	s_cmp_lg_u64 s[8:9], 0
	s_cbranch_scc0 .LBB55_11
; %bb.10:                               ;   in Loop: Header=BB55_9 Depth=1
	s_mul_u64 s[2:3], s[30:31], s[28:29]
	s_mov_b32 s37, s8
	s_wait_alu 0xfffe
	s_mul_hi_u32 s5, s28, s3
	s_mul_i32 s4, s28, s3
	s_mul_hi_u32 s36, s28, s2
	s_mul_hi_u32 s9, s29, s2
	s_wait_alu 0xfffe
	s_add_nc_u64 s[4:5], s[36:37], s[4:5]
	s_mul_i32 s2, s29, s2
	s_mul_hi_u32 s17, s29, s3
	s_wait_alu 0xfffe
	s_add_co_u32 s2, s4, s2
	s_add_co_ci_u32 s2, s5, s9
	s_add_co_ci_u32 s5, s17, 0
	s_mul_i32 s4, s29, s3
	s_mov_b32 s3, s8
	s_mov_b32 s39, s8
	s_wait_alu 0xfffe
	s_add_nc_u64 s[2:3], s[2:3], s[4:5]
	s_wait_alu 0xfffe
	s_add_co_u32 s2, s28, s2
	s_cselect_b32 s4, -1, 0
	s_wait_alu 0xfffe
	s_cmp_lg_u32 s4, 0
	s_add_co_ci_u32 s3, s29, s3
	s_wait_alu 0xfffe
	s_mul_u64 s[4:5], s[30:31], s[2:3]
	s_wait_alu 0xfffe
	s_mul_hi_u32 s37, s2, s5
	s_mul_i32 s36, s2, s5
	s_mul_hi_u32 s38, s2, s4
	s_mul_hi_u32 s9, s3, s4
	s_mul_i32 s4, s3, s4
	s_wait_alu 0xfffe
	s_add_nc_u64 s[36:37], s[38:39], s[36:37]
	s_mul_hi_u32 s17, s3, s5
	s_wait_alu 0xfffe
	s_add_co_u32 s4, s36, s4
	s_add_co_ci_u32 s4, s37, s9
	s_add_co_ci_u32 s37, s17, 0
	s_mul_i32 s36, s3, s5
	s_mov_b32 s5, s8
	s_wait_alu 0xfffe
	s_add_nc_u64 s[4:5], s[4:5], s[36:37]
	s_mov_b32 s37, s8
	s_wait_alu 0xfffe
	s_add_co_u32 s9, s2, s4
	s_cselect_b32 s2, -1, 0
	s_wait_alu 0xfffe
	s_cmp_lg_u32 s2, 0
	s_add_co_ci_u32 s17, s3, s5
	s_ashr_i32 s2, s1, 31
	s_wait_alu 0xfffe
	s_mov_b32 s3, s2
	s_wait_alu 0xfffe
	s_add_nc_u64 s[4:5], s[0:1], s[2:3]
	s_wait_alu 0xfffe
	s_xor_b64 s[4:5], s[4:5], s[2:3]
	s_wait_alu 0xfffe
	s_mul_hi_u32 s39, s4, s17
	s_mul_i32 s38, s4, s17
	s_mul_hi_u32 s36, s4, s9
	s_mul_i32 s21, s5, s9
	s_wait_alu 0xfffe
	s_add_nc_u64 s[36:37], s[36:37], s[38:39]
	s_mul_hi_u32 s9, s5, s9
	s_mul_hi_u32 s1, s5, s17
	s_wait_alu 0xfffe
	s_add_co_u32 s21, s36, s21
	s_add_co_ci_u32 s36, s37, s9
	s_add_co_ci_u32 s39, s1, 0
	s_mul_i32 s38, s5, s17
	s_mov_b32 s37, s8
	s_wait_alu 0xfffe
	s_add_nc_u64 s[36:37], s[36:37], s[38:39]
	s_wait_alu 0xfffe
	s_mul_u64 s[38:39], s[6:7], s[36:37]
	s_add_nc_u64 s[40:41], s[36:37], 1
	s_sub_co_u32 s1, s4, s38
	s_cselect_b32 s4, -1, 0
	s_sub_co_i32 s9, s5, s39
	s_wait_alu 0xfffe
	s_cmp_lg_u32 s4, 0
	s_add_nc_u64 s[42:43], s[36:37], 2
	s_sub_co_ci_u32 s9, s9, s7
	s_sub_co_u32 s17, s1, s6
	s_cselect_b32 s21, -1, 0
	s_delay_alu instid0(SALU_CYCLE_1)
	s_cmp_lg_u32 s21, 0
	s_wait_alu 0xfffe
	s_sub_co_ci_u32 s9, s9, 0
	s_wait_alu 0xfffe
	s_cmp_ge_u32 s9, s7
	s_cselect_b32 s21, -1, 0
	s_cmp_ge_u32 s17, s6
	s_cselect_b32 s17, -1, 0
	s_cmp_eq_u32 s9, s7
	s_wait_alu 0xfffe
	s_cselect_b32 s9, s17, s21
	s_wait_alu 0xfffe
	s_cmp_lg_u32 s9, 0
	s_cselect_b32 s9, s42, s40
	s_cselect_b32 s17, s43, s41
	s_cmp_lg_u32 s4, 0
	s_sub_co_ci_u32 s4, s5, s39
	s_wait_alu 0xfffe
	s_cmp_ge_u32 s4, s7
	s_cselect_b32 s5, -1, 0
	s_cmp_ge_u32 s1, s6
	s_cselect_b32 s1, -1, 0
	s_cmp_eq_u32 s4, s7
	s_wait_alu 0xfffe
	s_cselect_b32 s1, s1, s5
	s_wait_alu 0xfffe
	s_cmp_lg_u32 s1, 0
	s_cselect_b32 s5, s17, s37
	s_cselect_b32 s4, s9, s36
	s_xor_b64 s[2:3], s[2:3], 0
	s_wait_alu 0xfffe
	s_xor_b64 s[4:5], s[4:5], s[2:3]
	s_wait_alu 0xfffe
	s_sub_nc_u64 s[38:39], s[4:5], s[2:3]
	s_mov_b32 s2, 0
.LBB55_11:                              ;   in Loop: Header=BB55_9 Depth=1
	s_wait_alu 0xfffe
	s_and_not1_b32 vcc_lo, exec_lo, s2
	s_wait_alu 0xfffe
	s_cbranch_vccnz .LBB55_13
; %bb.12:                               ;   in Loop: Header=BB55_9 Depth=1
	v_readfirstlane_b32 s1, v0
	s_sub_co_i32 s2, 0, s16
	s_wait_alu 0xfffe
	s_mul_i32 s2, s2, s1
	s_wait_alu 0xfffe
	s_mul_hi_u32 s2, s1, s2
	s_wait_alu 0xfffe
	s_add_co_i32 s1, s1, s2
	s_wait_alu 0xfffe
	s_mul_hi_u32 s1, s0, s1
	s_wait_alu 0xfffe
	s_mul_i32 s2, s1, s16
	s_wait_alu 0xfffe
	s_sub_co_i32 s0, s0, s2
	s_add_co_i32 s2, s1, 1
	s_wait_alu 0xfffe
	s_sub_co_i32 s3, s0, s16
	s_cmp_ge_u32 s0, s16
	s_cselect_b32 s1, s2, s1
	s_wait_alu 0xfffe
	s_cselect_b32 s0, s3, s0
	s_add_co_i32 s2, s1, 1
	s_wait_alu 0xfffe
	s_cmp_ge_u32 s0, s16
	s_cselect_b32 s38, s2, s1
.LBB55_13:                              ;   in Loop: Header=BB55_9 Depth=1
	v_readfirstlane_b32 s9, v0
	s_cmp_lg_u32 s20, s38
	s_mov_b32 s0, -1
                                        ; implicit-def: $sgpr21
                                        ; implicit-def: $vgpr6
                                        ; implicit-def: $vgpr7
                                        ; implicit-def: $sgpr17
                                        ; implicit-def: $sgpr27
	s_cbranch_scc1 .LBB55_16
; %bb.14:                               ;   in Loop: Header=BB55_9 Depth=1
	s_wait_alu 0xfffe
	s_and_not1_b32 vcc_lo, exec_lo, s0
	s_wait_alu 0xfffe
	s_cbranch_vccz .LBB55_19
.LBB55_15:                              ;   in Loop: Header=BB55_9 Depth=1
	s_and_not1_b32 vcc_lo, exec_lo, s21
	s_wait_alu 0xfffe
	s_cbranch_vccnz .LBB55_20
	s_branch .LBB55_23
.LBB55_16:                              ;   in Loop: Header=BB55_9 Depth=1
	s_add_co_i32 s0, s34, s16
	s_mov_b32 s1, s8
	s_wait_alu 0xfffe
	s_lshl_b32 s0, s0, 6
	v_max_num_f32_e64 v6, s26, s26
	s_wait_alu 0xfffe
	s_add_co_i32 s0, s0, s15
	s_mov_b32 s39, s8
	s_wait_alu 0xfffe
	s_lshl_b64 s[0:1], s[0:1], 3
	s_mul_u64 s[40:41], s[38:39], s[22:23]
	s_wait_alu 0xfffe
	s_add_nc_u64 s[0:1], s[10:11], s[0:1]
	s_mov_b32 s27, s20
	s_load_b64 s[36:37], s[0:1], 0x0
	v_readfirstlane_b32 s0, v6
	s_wait_kmcnt 0x0
	v_max_num_f32_e64 v7, s36, s36
	s_delay_alu instid0(VALU_DEP_1) | instskip(SKIP_2) | instid1(SALU_CYCLE_2)
	v_readfirstlane_b32 s1, v7
	s_max_num_f32 s9, s0, s1
	s_wait_alu 0xfffe
	s_sub_f32 s33, s26, s9
	s_sub_f32 s35, s36, s9
	s_wait_alu 0xfffe
	s_delay_alu instid0(SALU_CYCLE_1)
	s_cmp_nlt_f32 s33, 0xc2ce8ed0
	s_cselect_b32 s0, -1, 0
	s_cmp_ngt_f32 s33, 0x42b17218
	s_cselect_b32 s1, -1, 0
	s_cmp_ge_f32 s33, 0xc1a00000
	s_cselect_b32 s2, -1, 0
	s_cmp_nlt_f32 s35, 0xc2ce8ed0
	s_cselect_b32 s3, -1, 0
	s_cmp_ngt_f32 s35, 0x42b17218
	s_cselect_b32 s4, -1, 0
	s_cmp_ge_f32 s35, 0xc1a00000
	s_cselect_b32 s5, -1, 0
	s_add_co_i32 s17, s41, s38
	s_wait_alu 0xfffe
	s_lshr_b32 s17, s17, s13
	s_wait_alu 0xfffe
	s_mul_i32 s21, s17, s14
	s_delay_alu instid0(SALU_CYCLE_1)
	s_cmp_eq_u32 s21, s38
	s_cselect_b32 s21, -1, 0
	s_cmp_lt_u32 s17, s12
	s_cselect_b32 s17, -1, 0
	s_wait_alu 0xfffe
	s_or_b32 s17, s17, s21
	s_mov_b32 s21, -1
	s_wait_alu 0xfffe
	s_and_b32 vcc_lo, exec_lo, s17
	s_mov_b32 s17, s34
	s_wait_alu 0xfffe
	s_cbranch_vccnz .LBB55_18
; %bb.17:                               ;   in Loop: Header=BB55_9 Depth=1
	s_add_co_i32 s17, s34, -1
	s_mov_b32 s21, 0
	s_mov_b32 s27, s38
.LBB55_18:                              ;   in Loop: Header=BB55_9 Depth=1
	v_mad_co_u64_u32 v[6:7], null, 0x1800, s34, v[3:4]
	s_mul_f32 s36, s35, 0x3fb8aa3b
	s_mul_f32 s38, s33, 0x3fb8aa3b
	s_wait_alu 0xfffe
	s_delay_alu instid0(SALU_CYCLE_1)
	s_xor_b32 s39, s36, 0x80000000
	s_rndne_f32 s40, s36
	v_ashrrev_i32_e32 v7, 31, v6
	s_fmamk_f32 s39, s35, 0x3fb8aa3b, s39
	s_xor_b32 s41, s38, 0x80000000
	s_sub_f32 s36, s36, s40
	s_rndne_f32 s42, s38
	v_lshlrev_b64_e32 v[6:7], 2, v[6:7]
	s_fmamk_f32 s35, s35, 0x32a5705f, s39
	s_fmamk_f32 s39, s33, 0x3fb8aa3b, s41
	s_sub_f32 s38, s38, s42
	s_wait_alu 0xfffe
	s_add_f32 s35, s36, s35
	v_add_co_u32 v6, vcc_lo, s24, v6
	s_wait_alu 0xfffd
	v_add_co_ci_u32_e64 v7, null, s25, v7, vcc_lo
	s_fmamk_f32 s33, s33, 0x32a5705f, s39
	s_wait_alu 0xfffe
	v_s_exp_f32 s35, s35
	s_cvt_i32_f32 s36, s40
	global_load_b32 v6, v[6:7], off
	s_add_f32 s33, s38, s33
	s_wait_alu 0xfffe
	s_delay_alu instid0(SALU_CYCLE_2) | instskip(SKIP_2) | instid1(VALU_DEP_1)
	v_s_exp_f32 s33, s33
	v_ldexp_f32 v7, s35, s36
	s_cvt_i32_f32 s35, s42
	v_cndmask_b32_e64 v7, 0, v7, s3
	s_wait_alu 0xf1fe
	s_delay_alu instid0(TRANS32_DEP_1) | instid1(SALU_CYCLE_1)
	v_ldexp_f32 v8, s33, s35
	s_delay_alu instid0(VALU_DEP_2) | instskip(NEXT) | instid1(VALU_DEP_2)
	v_cndmask_b32_e64 v7, 0x7f800000, v7, s4
	v_cndmask_b32_e64 v8, 0, v8, s0
	s_delay_alu instid0(VALU_DEP_2) | instskip(NEXT) | instid1(VALU_DEP_2)
	v_cndmask_b32_e64 v7, 0, v7, s5
	v_cndmask_b32_e64 v8, 0x7f800000, v8, s1
	s_delay_alu instid0(VALU_DEP_1) | instskip(SKIP_1) | instid1(VALU_DEP_3)
	v_cndmask_b32_e64 v8, 0, v8, s2
	s_wait_loadcnt 0x0
	v_mul_f32_e32 v6, v6, v7
	v_mul_f32_e32 v7, s37, v7
	s_delay_alu instid0(VALU_DEP_1) | instskip(NEXT) | instid1(VALU_DEP_3)
	v_fmac_f32_e32 v7, v4, v8
	v_fmac_f32_e32 v6, v5, v8
	s_cbranch_execnz .LBB55_15
.LBB55_19:                              ;   in Loop: Header=BB55_9 Depth=1
	s_wait_loadcnt 0x0
	v_dual_mov_b32 v7, v4 :: v_dual_mov_b32 v6, v5
	s_add_co_i32 s17, s34, -1
	s_mov_b32 s27, s20
	s_mov_b32 s9, s26
	s_cbranch_execz .LBB55_23
.LBB55_20:                              ;   in Loop: Header=BB55_9 Depth=1
	s_wait_loadcnt 0x0
	v_dual_mov_b32 v4, v7 :: v_dual_mov_b32 v5, v6
	s_wait_alu 0xfffe
	s_mov_b32 s20, s27
	s_mov_b32 s34, s17
	;; [unrolled: 1-line block ×3, first 2 shown]
	s_branch .LBB55_9
.LBB55_21:
                                        ; implicit-def: $sgpr20_sgpr21
	s_branch .LBB55_2
.LBB55_22:
                                        ; implicit-def: $sgpr10_sgpr11
	s_load_b96 s[12:14], s[0:1], 0x44
	s_branch .LBB55_5
.LBB55_23:
	v_div_scale_f32 v0, null, v7, v7, v6
	s_delay_alu instid0(VALU_DEP_1) | instskip(NEXT) | instid1(TRANS32_DEP_1)
	v_rcp_f32_e32 v3, v0
	v_fma_f32 v4, -v0, v3, 1.0
	s_delay_alu instid0(VALU_DEP_1) | instskip(SKIP_2) | instid1(VALU_DEP_1)
	v_fmac_f32_e32 v3, v4, v3
	v_div_scale_f32 v4, vcc_lo, v6, v7, v6
	s_wait_loadcnt 0x0
	v_mul_f32_e32 v5, v4, v3
	s_delay_alu instid0(VALU_DEP_1) | instskip(NEXT) | instid1(VALU_DEP_1)
	v_fma_f32 v8, -v0, v5, v4
	v_fmac_f32_e32 v5, v8, v3
	s_delay_alu instid0(VALU_DEP_1) | instskip(SKIP_1) | instid1(VALU_DEP_1)
	v_fma_f32 v0, -v0, v5, v4
	s_wait_alu 0xfffd
	v_div_fmas_f32 v0, v0, v3, v5
	s_delay_alu instid0(VALU_DEP_1)
	v_div_fixup_f32 v0, v0, v7, v6
	global_store_b32 v[1:2], v0, off
.LBB55_24:
	s_endpgm
	.section	.rodata,"a",@progbits
	.p2align	6, 0x0
	.amdhsa_kernel _ZL33flash_attn_stream_k_fixup_generalILi96ELi64ELi1EEvPfPK15HIP_vector_typeIfLj2EEiiiiS1_IjLj3EES5_S5_S5_
		.amdhsa_group_segment_fixed_size 0
		.amdhsa_private_segment_fixed_size 0
		.amdhsa_kernarg_size 336
		.amdhsa_user_sgpr_count 2
		.amdhsa_user_sgpr_dispatch_ptr 0
		.amdhsa_user_sgpr_queue_ptr 0
		.amdhsa_user_sgpr_kernarg_segment_ptr 1
		.amdhsa_user_sgpr_dispatch_id 0
		.amdhsa_user_sgpr_private_segment_size 0
		.amdhsa_wavefront_size32 1
		.amdhsa_uses_dynamic_stack 0
		.amdhsa_enable_private_segment 0
		.amdhsa_system_sgpr_workgroup_id_x 1
		.amdhsa_system_sgpr_workgroup_id_y 1
		.amdhsa_system_sgpr_workgroup_id_z 1
		.amdhsa_system_sgpr_workgroup_info 0
		.amdhsa_system_vgpr_workitem_id 0
		.amdhsa_next_free_vgpr 9
		.amdhsa_next_free_sgpr 44
		.amdhsa_reserve_vcc 1
		.amdhsa_float_round_mode_32 0
		.amdhsa_float_round_mode_16_64 0
		.amdhsa_float_denorm_mode_32 3
		.amdhsa_float_denorm_mode_16_64 3
		.amdhsa_fp16_overflow 0
		.amdhsa_workgroup_processor_mode 1
		.amdhsa_memory_ordered 1
		.amdhsa_forward_progress 1
		.amdhsa_inst_pref_size 28
		.amdhsa_round_robin_scheduling 0
		.amdhsa_exception_fp_ieee_invalid_op 0
		.amdhsa_exception_fp_denorm_src 0
		.amdhsa_exception_fp_ieee_div_zero 0
		.amdhsa_exception_fp_ieee_overflow 0
		.amdhsa_exception_fp_ieee_underflow 0
		.amdhsa_exception_fp_ieee_inexact 0
		.amdhsa_exception_int_div_zero 0
	.end_amdhsa_kernel
	.section	.text._ZL33flash_attn_stream_k_fixup_generalILi96ELi64ELi1EEvPfPK15HIP_vector_typeIfLj2EEiiiiS1_IjLj3EES5_S5_S5_,"axG",@progbits,_ZL33flash_attn_stream_k_fixup_generalILi96ELi64ELi1EEvPfPK15HIP_vector_typeIfLj2EEiiiiS1_IjLj3EES5_S5_S5_,comdat
.Lfunc_end55:
	.size	_ZL33flash_attn_stream_k_fixup_generalILi96ELi64ELi1EEvPfPK15HIP_vector_typeIfLj2EEiiiiS1_IjLj3EES5_S5_S5_, .Lfunc_end55-_ZL33flash_attn_stream_k_fixup_generalILi96ELi64ELi1EEvPfPK15HIP_vector_typeIfLj2EEiiiiS1_IjLj3EES5_S5_S5_
                                        ; -- End function
	.set _ZL33flash_attn_stream_k_fixup_generalILi96ELi64ELi1EEvPfPK15HIP_vector_typeIfLj2EEiiiiS1_IjLj3EES5_S5_S5_.num_vgpr, 9
	.set _ZL33flash_attn_stream_k_fixup_generalILi96ELi64ELi1EEvPfPK15HIP_vector_typeIfLj2EEiiiiS1_IjLj3EES5_S5_S5_.num_agpr, 0
	.set _ZL33flash_attn_stream_k_fixup_generalILi96ELi64ELi1EEvPfPK15HIP_vector_typeIfLj2EEiiiiS1_IjLj3EES5_S5_S5_.numbered_sgpr, 44
	.set _ZL33flash_attn_stream_k_fixup_generalILi96ELi64ELi1EEvPfPK15HIP_vector_typeIfLj2EEiiiiS1_IjLj3EES5_S5_S5_.num_named_barrier, 0
	.set _ZL33flash_attn_stream_k_fixup_generalILi96ELi64ELi1EEvPfPK15HIP_vector_typeIfLj2EEiiiiS1_IjLj3EES5_S5_S5_.private_seg_size, 0
	.set _ZL33flash_attn_stream_k_fixup_generalILi96ELi64ELi1EEvPfPK15HIP_vector_typeIfLj2EEiiiiS1_IjLj3EES5_S5_S5_.uses_vcc, 1
	.set _ZL33flash_attn_stream_k_fixup_generalILi96ELi64ELi1EEvPfPK15HIP_vector_typeIfLj2EEiiiiS1_IjLj3EES5_S5_S5_.uses_flat_scratch, 0
	.set _ZL33flash_attn_stream_k_fixup_generalILi96ELi64ELi1EEvPfPK15HIP_vector_typeIfLj2EEiiiiS1_IjLj3EES5_S5_S5_.has_dyn_sized_stack, 0
	.set _ZL33flash_attn_stream_k_fixup_generalILi96ELi64ELi1EEvPfPK15HIP_vector_typeIfLj2EEiiiiS1_IjLj3EES5_S5_S5_.has_recursion, 0
	.set _ZL33flash_attn_stream_k_fixup_generalILi96ELi64ELi1EEvPfPK15HIP_vector_typeIfLj2EEiiiiS1_IjLj3EES5_S5_S5_.has_indirect_call, 0
	.section	.AMDGPU.csdata,"",@progbits
; Kernel info:
; codeLenInByte = 3552
; TotalNumSgprs: 46
; NumVgprs: 9
; ScratchSize: 0
; MemoryBound: 0
; FloatMode: 240
; IeeeMode: 1
; LDSByteSize: 0 bytes/workgroup (compile time only)
; SGPRBlocks: 0
; VGPRBlocks: 1
; NumSGPRsForWavesPerEU: 46
; NumVGPRsForWavesPerEU: 9
; Occupancy: 16
; WaveLimiterHint : 0
; COMPUTE_PGM_RSRC2:SCRATCH_EN: 0
; COMPUTE_PGM_RSRC2:USER_SGPR: 2
; COMPUTE_PGM_RSRC2:TRAP_HANDLER: 0
; COMPUTE_PGM_RSRC2:TGID_X_EN: 1
; COMPUTE_PGM_RSRC2:TGID_Y_EN: 1
; COMPUTE_PGM_RSRC2:TGID_Z_EN: 1
; COMPUTE_PGM_RSRC2:TIDIG_COMP_CNT: 0
	.section	.text._ZL15flash_attn_tileILi96ELi96ELi32ELi1ELb0EEvPKcS1_S1_S1_S1_PKiPfP15HIP_vector_typeIfLj2EEffffjfiS5_IjLj3EEiiiiiiiiiiiliiliiiiil,"axG",@progbits,_ZL15flash_attn_tileILi96ELi96ELi32ELi1ELb0EEvPKcS1_S1_S1_S1_PKiPfP15HIP_vector_typeIfLj2EEffffjfiS5_IjLj3EEiiiiiiiiiiiliiliiiiil,comdat
	.globl	_ZL15flash_attn_tileILi96ELi96ELi32ELi1ELb0EEvPKcS1_S1_S1_S1_PKiPfP15HIP_vector_typeIfLj2EEffffjfiS5_IjLj3EEiiiiiiiiiiiliiliiiiil ; -- Begin function _ZL15flash_attn_tileILi96ELi96ELi32ELi1ELb0EEvPKcS1_S1_S1_S1_PKiPfP15HIP_vector_typeIfLj2EEffffjfiS5_IjLj3EEiiiiiiiiiiiliiliiiiil
	.p2align	8
	.type	_ZL15flash_attn_tileILi96ELi96ELi32ELi1ELb0EEvPKcS1_S1_S1_S1_PKiPfP15HIP_vector_typeIfLj2EEffffjfiS5_IjLj3EEiiiiiiiiiiiliiliiiiil,@function
_ZL15flash_attn_tileILi96ELi96ELi32ELi1ELb0EEvPKcS1_S1_S1_S1_PKiPfP15HIP_vector_typeIfLj2EEffffjfiS5_IjLj3EEiiiiiiiiiiiliiliiiiil: ; @_ZL15flash_attn_tileILi96ELi96ELi32ELi1ELb0EEvPKcS1_S1_S1_S1_PKiPfP15HIP_vector_typeIfLj2EEffffjfiS5_IjLj3EEiiiiiiiiiiiliiliiiiil
; %bb.0:
	s_clause 0x1
	s_load_b128 s[24:27], s[0:1], 0x5c
	s_load_b64 s[42:43], s[0:1], 0x80
	s_lshr_b32 s28, ttmp7, 16
	s_load_b512 s[8:23], s[0:1], 0x0
	s_mov_b32 s37, 0
	s_mov_b64 s[34:35], 0
	s_wait_kmcnt 0x0
	s_cvt_f32_u32 s2, s27
	s_sub_co_i32 s3, 0, s27
	s_delay_alu instid0(SALU_CYCLE_2) | instskip(NEXT) | instid1(TRANS32_DEP_1)
	v_rcp_iflag_f32_e32 v1, s2
	v_readfirstlane_b32 s2, v1
	s_mul_f32 s2, s2, 0x4f7ffffe
	s_wait_alu 0xfffe
	s_delay_alu instid0(SALU_CYCLE_2) | instskip(SKIP_1) | instid1(SALU_CYCLE_2)
	s_cvt_u32_f32 s2, s2
	s_wait_alu 0xfffe
	s_mul_i32 s3, s3, s2
	s_wait_alu 0xfffe
	s_mul_hi_u32 s3, s2, s3
	s_wait_alu 0xfffe
	s_add_co_i32 s2, s2, s3
	s_wait_alu 0xfffe
	s_mul_hi_u32 s2, s28, s2
	s_wait_alu 0xfffe
	s_mul_i32 s3, s2, s27
	s_add_co_i32 s4, s2, 1
	s_wait_alu 0xfffe
	s_sub_co_i32 s3, s28, s3
	s_wait_alu 0xfffe
	s_sub_co_i32 s5, s3, s27
	s_cmp_ge_u32 s3, s27
	s_cselect_b32 s2, s4, s2
	s_cselect_b32 s3, s5, s3
	s_wait_alu 0xfffe
	s_add_co_i32 s4, s2, 1
	s_cmp_ge_u32 s3, s27
	s_cselect_b32 s30, s4, s2
	s_abs_i32 s2, s43
	s_abs_i32 s5, s27
	s_wait_alu 0xfffe
	s_cvt_f32_u32 s3, s2
	s_sub_co_i32 s4, 0, s2
	s_mul_i32 s36, s30, s27
	s_wait_alu 0xfffe
	v_rcp_iflag_f32_e32 v1, s3
	s_delay_alu instid0(TRANS32_DEP_1) | instskip(SKIP_2) | instid1(SALU_CYCLE_2)
	v_readfirstlane_b32 s3, v1
	s_mul_f32 s3, s3, 0x4f7ffffe
	s_wait_alu 0xfffe
	s_cvt_u32_f32 s3, s3
	s_wait_alu 0xfffe
	s_delay_alu instid0(SALU_CYCLE_2) | instskip(NEXT) | instid1(SALU_CYCLE_1)
	s_mul_i32 s4, s4, s3
	s_mul_hi_u32 s4, s3, s4
	s_delay_alu instid0(SALU_CYCLE_1)
	s_add_co_i32 s3, s3, s4
	s_xor_b32 s4, s27, s43
	s_wait_alu 0xfffe
	s_mul_hi_u32 s3, s5, s3
	s_ashr_i32 s4, s4, 31
	s_wait_alu 0xfffe
	s_mul_i32 s6, s3, s2
	s_delay_alu instid0(SALU_CYCLE_1)
	s_sub_co_i32 s5, s5, s6
	s_add_co_i32 s6, s3, 1
	s_sub_co_i32 s7, s5, s2
	s_cmp_ge_u32 s5, s2
	s_cselect_b32 s3, s6, s3
	s_cselect_b32 s5, s7, s5
	s_wait_alu 0xfffe
	s_add_co_i32 s6, s3, 1
	s_cmp_ge_u32 s5, s2
	s_cselect_b32 s2, s6, s3
	s_wait_alu 0xfffe
	s_xor_b32 s2, s2, s4
	s_wait_alu 0xfffe
	s_sub_co_i32 s31, s2, s4
	s_load_b64 s[2:3], s[0:1], 0xb8
	s_abs_i32 s33, s31
	s_cmp_eq_u64 s[14:15], 0
	s_cvt_f32_u32 s4, s33
	s_delay_alu instid0(SALU_CYCLE_3) | instskip(NEXT) | instid1(TRANS32_DEP_1)
	v_rcp_iflag_f32_e32 v1, s4
	v_readfirstlane_b32 s4, v1
	s_mul_f32 s29, s4, 0x4f7ffffe
	s_cbranch_scc1 .LBB56_2
; %bb.1:
	s_wait_kmcnt 0x0
	s_abs_i32 s2, s2
	s_wait_alu 0xfffe
	s_cvt_f32_u32 s4, s2
	s_wait_alu 0xfffe
	s_delay_alu instid0(SALU_CYCLE_2) | instskip(NEXT) | instid1(TRANS32_DEP_1)
	v_rcp_iflag_f32_e32 v1, s4
	v_readfirstlane_b32 s4, v1
	s_mul_f32 s4, s4, 0x4f7ffffe
	s_wait_alu 0xfffe
	s_delay_alu instid0(SALU_CYCLE_2) | instskip(SKIP_2) | instid1(SALU_CYCLE_1)
	s_cvt_u32_f32 s6, s4
	s_sub_co_i32 s4, 0, s2
	s_wait_alu 0xfffe
	s_mul_i32 s4, s4, s6
	s_wait_alu 0xfffe
	s_mul_hi_u32 s7, s6, s4
	s_load_b64 s[4:5], s[0:1], 0xc8
	s_add_co_i32 s6, s6, s7
	s_delay_alu instid0(SALU_CYCLE_1) | instskip(NEXT) | instid1(SALU_CYCLE_1)
	s_mul_hi_u32 s6, s30, s6
	s_mul_i32 s6, s6, s2
	s_delay_alu instid0(SALU_CYCLE_1) | instskip(NEXT) | instid1(SALU_CYCLE_1)
	s_sub_co_i32 s6, s30, s6
	s_sub_co_i32 s7, s6, s2
	s_cmp_ge_u32 s6, s2
	s_cselect_b32 s6, s7, s6
	s_delay_alu instid0(SALU_CYCLE_1) | instskip(SKIP_2) | instid1(SALU_CYCLE_1)
	s_sub_co_i32 s7, s6, s2
	s_cmp_ge_u32 s6, s2
	s_cselect_b32 s6, s7, s6
	s_ashr_i32 s7, s6, 31
	s_wait_kmcnt 0x0
	s_mul_u64 s[4:5], s[4:5], s[6:7]
	s_wait_alu 0xfffe
	s_add_nc_u64 s[34:35], s[14:15], s[4:5]
.LBB56_2:
	s_load_b128 s[4:7], s[0:1], 0x40
	s_wait_kmcnt 0x0
	s_load_b32 s2, s[0:1], 0x50
	s_sub_co_i32 s14, 0, s33
	s_sub_co_i32 s28, s28, s36
	v_mov_b32_e32 v95, 1.0
	s_cmp_le_f32 s5, 0
	s_cvt_u32_f32 s5, s29
	s_cbranch_scc1 .LBB56_4
; %bb.3:
	s_wait_kmcnt 0x0
	v_sub_co_u32 v1, s2, s28, s2
	s_and_b32 s29, s2, exec_lo
	s_cselect_b32 s7, s6, s7
	v_readfirstlane_b32 s15, v1
	s_lshl_b32 s6, s15, 1
	s_add_co_i32 s15, s28, 1
	s_or_b32 s6, s6, 1
	s_and_b32 s2, s2, exec_lo
	s_cselect_b32 s2, s15, s6
	s_cmp_neq_f32 s7, 1.0
	s_wait_alu 0xfffe
	s_cvt_f32_i32 s2, s2
	s_wait_alu 0xfffe
	s_delay_alu instid0(SALU_CYCLE_2) | instskip(NEXT) | instid1(SALU_CYCLE_1)
	s_cselect_b32 s6, s2, 1.0
	s_cmp_neq_f32 s6, 0
	s_cselect_b32 s2, s7, 1.0
	s_wait_alu 0xfffe
	v_frexp_mant_f32_e64 v1, |s2|
	s_delay_alu instid0(VALU_DEP_1) | instskip(SKIP_3) | instid1(SALU_CYCLE_1)
	v_readfirstlane_b32 s7, v1
	v_cvt_f64_f32_e64 v[1:2], |s2|
	s_cmp_lt_f32 s7, 0x3f2aaaab
	s_cselect_b32 s15, -1, 0
	s_and_b32 s29, s15, exec_lo
	s_cselect_b32 s29, 2.0, 1.0
	s_wait_alu 0xfffe
	s_mul_f32 s7, s7, s29
	s_delay_alu instid0(SALU_CYCLE_3) | instskip(SKIP_2) | instid1(SALU_CYCLE_1)
	s_add_f32 s29, s7, 1.0
	s_add_f32 s38, s7, -1.0
	s_wait_alu 0xfffe
	v_s_rcp_f32 s36, s29
	s_add_f32 s41, s29, -1.0
	s_delay_alu instid0(SALU_CYCLE_3) | instskip(NEXT) | instid1(TRANS32_DEP_1)
	s_sub_f32 s7, s7, s41
	s_mul_f32 s39, s38, s36
	s_delay_alu instid0(SALU_CYCLE_3) | instskip(NEXT) | instid1(SALU_CYCLE_3)
	s_mul_f32 s40, s29, s39
	s_xor_b32 s43, s40, 0x80000000
	s_delay_alu instid0(VALU_DEP_1) | instskip(SKIP_1) | instid1(SALU_CYCLE_3)
	v_frexp_exp_i32_f64_e32 v1, v[1:2]
	s_fmac_f32 s43, s39, s29
	s_fmac_f32 s43, s39, s7
	s_delay_alu instid0(SALU_CYCLE_3) | instskip(NEXT) | instid1(SALU_CYCLE_3)
	s_add_f32 s7, s40, s43
	s_sub_f32 s29, s38, s7
	s_sub_f32 s40, s7, s40
	s_wait_alu 0xfffe
	s_delay_alu instid0(SALU_CYCLE_1) | instskip(NEXT) | instid1(SALU_CYCLE_1)
	s_sub_f32 s38, s38, s29
	s_sub_f32 s40, s40, s43
	s_delay_alu instid0(SALU_CYCLE_2) | instskip(NEXT) | instid1(SALU_CYCLE_3)
	s_sub_f32 s7, s38, s7
	s_add_f32 s7, s40, s7
	s_mov_b32 s40, 0x3e76c4e1
	s_delay_alu instid0(SALU_CYCLE_2) | instskip(NEXT) | instid1(SALU_CYCLE_3)
	s_add_f32 s7, s29, s7
	s_mul_f32 s7, s36, s7
	s_delay_alu instid0(SALU_CYCLE_3) | instskip(SKIP_1) | instid1(SALU_CYCLE_2)
	s_add_f32 s29, s39, s7
	s_wait_alu 0xfffe
	s_sub_f32 s36, s29, s39
	s_mul_f32 s38, s29, s29
	s_delay_alu instid0(SALU_CYCLE_2) | instskip(NEXT) | instid1(SALU_CYCLE_2)
	s_sub_f32 s7, s7, s36
	s_xor_b32 s36, s38, 0x80000000
	s_delay_alu instid0(SALU_CYCLE_1) | instskip(NEXT) | instid1(SALU_CYCLE_1)
	s_fmac_f32 s36, s29, s29
	s_add_f32 s39, s7, s7
	s_delay_alu instid0(SALU_CYCLE_3) | instskip(NEXT) | instid1(SALU_CYCLE_3)
	s_fmac_f32 s36, s29, s39
	s_add_f32 s39, s38, s36
	s_delay_alu instid0(SALU_CYCLE_3) | instskip(SKIP_1) | instid1(SALU_CYCLE_2)
	s_fmaak_f32 s40, s39, s40, 0x3e91f4c4
	s_sub_f32 s38, s39, s38
	s_fmaak_f32 s40, s39, s40, 0x3ecccdef
	s_delay_alu instid0(SALU_CYCLE_2) | instskip(SKIP_1) | instid1(SALU_CYCLE_1)
	s_sub_f32 s36, s36, s38
	s_mul_f32 s38, s29, s39
	s_mul_f32 s41, s39, s40
	s_delay_alu instid0(SALU_CYCLE_2) | instskip(NEXT) | instid1(SALU_CYCLE_2)
	s_xor_b32 s44, s38, 0x80000000
	s_xor_b32 s43, s41, 0x80000000
	s_fmac_f32 s44, s39, s29
	s_fmac_f32 s43, s39, s40
	s_delay_alu instid0(SALU_CYCLE_2) | instskip(NEXT) | instid1(SALU_CYCLE_2)
	s_fmac_f32 s44, s39, s7
	s_fmac_f32 s43, s36, s40
	s_delay_alu instid0(SALU_CYCLE_2) | instskip(NEXT) | instid1(SALU_CYCLE_2)
	s_fmac_f32 s44, s36, s29
	s_add_f32 s40, s41, s43
	s_delay_alu instid0(SALU_CYCLE_3) | instskip(SKIP_1) | instid1(SALU_CYCLE_2)
	s_sub_f32 s41, s40, s41
	s_add_f32 s45, s40, 0x3f2aaaaa
	s_sub_f32 s41, s43, s41
	s_delay_alu instid0(SALU_CYCLE_2) | instskip(NEXT) | instid1(SALU_CYCLE_2)
	s_add_f32 s43, s45, 0xbf2aaaaa
	s_add_f32 s39, s41, 0x31739010
	s_delay_alu instid0(SALU_CYCLE_2) | instskip(NEXT) | instid1(SALU_CYCLE_3)
	s_sub_f32 s40, s40, s43
	s_add_f32 s36, s39, s40
	s_add_f32 s39, s38, s44
	s_delay_alu instid0(SALU_CYCLE_2) | instskip(NEXT) | instid1(SALU_CYCLE_2)
	s_add_f32 s40, s45, s36
	s_sub_f32 s38, s39, s38
	s_delay_alu instid0(SALU_CYCLE_2) | instskip(SKIP_1) | instid1(SALU_CYCLE_1)
	s_mul_f32 s41, s39, s40
	s_sub_f32 s43, s45, s40
	s_sub_f32 s38, s44, s38
	s_delay_alu instid0(SALU_CYCLE_1) | instskip(NEXT) | instid1(SALU_CYCLE_1)
	s_xor_b32 s45, s41, 0x80000000
	s_add_f32 s36, s36, s43
	s_fmac_f32 s45, s39, s40
	v_readfirstlane_b32 s43, v1
	v_ldexp_f32 v1, s29, 1
	s_cmp_lg_u32 s15, 0
	s_fmac_f32 s45, s39, s36
	s_sub_co_ci_u32 s15, s43, 0
	s_delay_alu instid0(VALU_DEP_1) | instskip(NEXT) | instid1(SALU_CYCLE_1)
	v_readfirstlane_b32 s29, v1
	s_fmac_f32 s45, s38, s40
	s_cvt_f32_i32 s15, s15
	v_ldexp_f32 v1, s7, 1
	s_delay_alu instid0(SALU_CYCLE_1) | instskip(NEXT) | instid1(SALU_CYCLE_1)
	s_add_f32 s36, s41, s45
	s_mul_f32 s7, s15, 0x3f317218
	s_delay_alu instid0(VALU_DEP_1) | instskip(NEXT) | instid1(SALU_CYCLE_1)
	v_readfirstlane_b32 s40, v1
	s_add_f32 s38, s29, s36
	s_sub_f32 s39, s36, s41
	s_wait_alu 0xfffe
	s_xor_b32 s41, s7, 0x80000000
	s_sub_f32 s29, s38, s29
	s_sub_f32 s39, s45, s39
	s_fmamk_f32 s41, s15, 0x3f317218, s41
	s_wait_alu 0xfffe
	s_sub_f32 s29, s36, s29
	s_add_f32 s36, s40, s39
	s_fmamk_f32 s15, s15, 0xb102e308, s41
	s_wait_alu 0xfffe
	s_delay_alu instid0(SALU_CYCLE_1) | instskip(NEXT) | instid1(SALU_CYCLE_1)
	s_add_f32 s29, s36, s29
	s_add_f32 s36, s7, s15
	s_wait_alu 0xfffe
	s_delay_alu instid0(SALU_CYCLE_1) | instskip(NEXT) | instid1(SALU_CYCLE_1)
	s_add_f32 s39, s38, s29
	s_sub_f32 s7, s36, s7
	s_delay_alu instid0(SALU_CYCLE_2)
	s_add_f32 s40, s36, s39
	s_sub_f32 s38, s39, s38
	s_wait_alu 0xfffe
	s_sub_f32 s7, s15, s7
	s_sub_f32 s41, s40, s36
	;; [unrolled: 1-line block ×3, first 2 shown]
	s_delay_alu instid0(SALU_CYCLE_2) | instskip(SKIP_4) | instid1(SALU_CYCLE_3)
	s_sub_f32 s43, s40, s41
	s_sub_f32 s29, s39, s41
	s_wait_alu 0xfffe
	s_add_f32 s38, s7, s15
	s_sub_f32 s36, s36, s43
	s_add_f32 s29, s29, s36
	s_delay_alu instid0(SALU_CYCLE_1) | instskip(SKIP_1) | instid1(SALU_CYCLE_1)
	s_sub_f32 s36, s38, s7
	s_wait_alu 0xfffe
	s_add_f32 s29, s38, s29
	s_delay_alu instid0(SALU_CYCLE_1) | instskip(SKIP_4) | instid1(SALU_CYCLE_2)
	s_sub_f32 s38, s38, s36
	s_sub_f32 s15, s15, s36
	s_wait_alu 0xfffe
	s_add_f32 s39, s40, s29
	s_sub_f32 s7, s7, s38
	s_sub_f32 s36, s39, s40
	s_wait_alu 0xfffe
	s_delay_alu instid0(SALU_CYCLE_1) | instskip(NEXT) | instid1(SALU_CYCLE_1)
	s_add_f32 s7, s15, s7
	s_sub_f32 s15, s29, s36
	s_wait_alu 0xfffe
	s_delay_alu instid0(SALU_CYCLE_2) | instskip(SKIP_1) | instid1(SALU_CYCLE_2)
	s_add_f32 s7, s7, s15
	s_wait_alu 0xfffe
	s_add_f32 s15, s39, s7
	s_delay_alu instid0(SALU_CYCLE_3) | instskip(SKIP_2) | instid1(SALU_CYCLE_1)
	s_mul_f32 s29, s6, s15
	s_sub_f32 s36, s15, s39
	s_wait_alu 0xfffe
	s_xor_b32 s38, s29, 0x80000000
	s_delay_alu instid0(SALU_CYCLE_1) | instskip(SKIP_2) | instid1(SALU_CYCLE_2)
	s_sub_f32 s7, s7, s36
	s_fmac_f32 s38, s6, s15
	s_wait_alu 0xfffe
	s_fmac_f32 s38, s6, s7
	v_cmp_class_f32_e64 s7, s29, 0x204
	s_delay_alu instid0(SALU_CYCLE_2) | instskip(SKIP_1) | instid1(SALU_CYCLE_2)
	s_add_f32 s15, s29, s38
	s_and_b32 s7, s7, exec_lo
	s_sub_f32 s7, s15, s29
	s_cselect_b32 s15, s29, s15
	s_delay_alu instid0(SALU_CYCLE_1) | instskip(SKIP_4) | instid1(SALU_CYCLE_1)
	s_and_b32 s29, s15, 0x7fffffff
	s_wait_alu 0xfffe
	s_sub_f32 s7, s38, s7
	s_cmp_neq_f32 s29, 0x7f800000
	s_wait_alu 0xfffe
	s_cselect_b32 s7, s7, 0
	s_cmp_eq_f32 s15, 0x42b17218
	s_cselect_b32 s29, 0x37000000, 0
	s_wait_alu 0xfffe
	s_sub_f32 s15, s15, s29
	s_add_f32 s7, s29, s7
	s_delay_alu instid0(SALU_CYCLE_2) | instskip(NEXT) | instid1(SALU_CYCLE_3)
	s_mul_f32 s36, s15, 0x3fb8aa3b
	s_xor_b32 s38, s36, 0x80000000
	s_rndne_f32 s39, s36
	s_fmamk_f32 s38, s15, 0x3fb8aa3b, s38
	s_cmp_nlt_f32 s15, 0xc2ce8ed0
	s_delay_alu instid0(SALU_CYCLE_1) | instskip(NEXT) | instid1(SALU_CYCLE_1)
	s_sub_f32 s36, s36, s39
	s_fmamk_f32 s38, s15, 0x32a5705f, s38
	s_cselect_b32 vcc_lo, -1, 0
	s_cmp_ngt_f32 s15, 0x42b17218
	s_trunc_f32 s15, s6
	s_add_f32 s36, s36, s38
	s_cvt_i32_f32 s38, s39
	s_delay_alu instid0(SALU_CYCLE_2)
	v_s_exp_f32 s36, s36
	s_wait_alu 0xf1ff
	s_delay_alu instid0(TRANS32_DEP_1) | instid1(SALU_CYCLE_1)
	v_ldexp_f32 v1, s36, s38
	s_mul_f32 s36, s6, 0.5
	s_delay_alu instid0(VALU_DEP_1)
	v_cndmask_b32_e32 v1, 0, v1, vcc_lo
	s_cselect_b32 vcc_lo, -1, 0
	s_cmp_eq_f32 s15, s6
	s_wait_alu 0xfffe
	s_trunc_f32 s38, s36
	v_cndmask_b32_e32 v1, 0x7f800000, v1, vcc_lo
	s_cselect_b32 s39, -1, 0
	s_wait_alu 0xfffe
	s_cmp_neq_f32 s38, s36
	s_delay_alu instid0(VALU_DEP_1)
	v_fma_f32 v2, s7, v1, v1
	v_cmp_class_f32_e64 vcc_lo, v1, 0x204
	s_cselect_b32 s29, -1, 0
	s_wait_alu 0xfffe
	s_and_b32 s7, s39, s29
	s_wait_alu 0xfffd
	v_cndmask_b32_e32 v1, v2, v1, vcc_lo
	s_wait_alu 0xfffe
	s_and_b32 s29, s7, exec_lo
	s_cselect_b32 s29, s2, 1.0
	s_cmp_eq_f32 s15, s6
	v_cmp_class_f32_e64 s15, s2, 0x204
	s_wait_alu 0xfffe
	v_bfi_b32 v1, 0x7fffffff, v1, s29
	s_cselect_b32 vcc_lo, -1, 0
	s_cmp_lt_f32 s2, 0
	s_wait_alu 0xfffe
	s_delay_alu instid0(VALU_DEP_1) | instskip(SKIP_3) | instid1(VALU_DEP_1)
	v_cndmask_b32_e32 v2, 0x7fc00000, v1, vcc_lo
	s_cselect_b32 vcc_lo, -1, 0
	s_cmp_eq_f32 s2, 0
	s_wait_alu 0xfffe
	v_cndmask_b32_e32 v1, v1, v2, vcc_lo
	s_cselect_b32 s29, -1, 0
	s_wait_alu 0xfffe
	s_or_b32 vcc_lo, s29, s15
	s_cmp_lt_f32 s6, 0
	s_cselect_b32 s6, -1, 0
	s_wait_alu 0xfffe
	s_xor_b32 s6, s6, s29
	s_wait_alu 0xfffe
	s_and_b32 s6, s6, exec_lo
	s_cselect_b32 s6, 0, 0x7f800000
	s_and_b32 s7, s7, exec_lo
	s_cselect_b32 s7, s2, 0
	s_cmp_o_f32 s2, s2
	s_wait_alu 0xfffe
	v_mov_b32_e32 v2, s7
	s_delay_alu instid0(VALU_DEP_1) | instskip(NEXT) | instid1(VALU_DEP_1)
	v_bfi_b32 v2, 0x7fffffff, s6, v2
	v_cndmask_b32_e32 v1, v1, v2, vcc_lo
	s_cselect_b32 vcc_lo, -1, 0
	s_wait_alu 0xfffe
	s_delay_alu instid0(VALU_DEP_1)
	v_cndmask_b32_e32 v95, 0x7fc00000, v1, vcc_lo
.LBB56_4:
	s_load_b96 s[44:46], s[0:1], 0x70
	v_and_b32_e32 v79, 0x3ff, v0
	v_bfe_u32 v105, v0, 10, 10
	s_lshl_b32 s15, ttmp9, 5
	s_mul_i32 s14, s14, s5
	s_delay_alu instid0(VALU_DEP_2) | instskip(NEXT) | instid1(VALU_DEP_2)
	v_lshlrev_b32_e32 v0, 4, v79
	v_lshlrev_b32_e32 v82, 2, v105
	s_wait_kmcnt 0x0
	v_cmp_gt_u32_e64 s2, 24, v79
	v_lshlrev_b32_e32 v84, 3, v79
	s_delay_alu instid0(VALU_DEP_3)
	v_add_nc_u32_e32 v83, s15, v82
	s_mul_i32 s6, s30, s46
	s_mul_i32 s38, s28, s45
	s_wait_alu 0xfffe
	s_ashr_i32 s7, s6, 31
	s_ashr_i32 s39, s38, 31
	s_wait_alu 0xfffe
	s_add_nc_u64 s[6:7], s[8:9], s[6:7]
	s_ashr_i32 s45, s44, 31
	s_wait_alu 0xfffe
	s_add_nc_u64 s[6:7], s[6:7], s[38:39]
	s_wait_alu 0xfffe
	v_add_co_u32 v0, s6, s6, v0
	s_wait_alu 0xf1ff
	v_add_co_ci_u32_e64 v1, null, s7, 0, s6
	s_lshr_b64 s[6:7], s[44:45], 2
	s_and_saveexec_b32 s8, s2
	s_cbranch_execz .LBB56_6
; %bb.5:
	v_mul_hi_u32 v2, v83, s24
	v_mad_u32_u24 v6, 0x300, v105, v84
	s_delay_alu instid0(VALU_DEP_2) | instskip(NEXT) | instid1(VALU_DEP_1)
	v_add_nc_u32_e32 v2, v83, v2
	v_lshrrev_b32_e32 v2, s25, v2
	s_delay_alu instid0(VALU_DEP_1) | instskip(NEXT) | instid1(VALU_DEP_1)
	v_mul_lo_u32 v2, v2, s26
	v_sub_nc_u32_e32 v4, v83, v2
	s_wait_alu 0xfffe
	s_delay_alu instid0(VALU_DEP_1) | instskip(NEXT) | instid1(VALU_DEP_1)
	v_mad_co_u64_u32 v[2:3], null, s6, v4, 0
	v_mad_co_u64_u32 v[3:4], null, s7, v4, v[3:4]
	s_delay_alu instid0(VALU_DEP_1) | instskip(NEXT) | instid1(VALU_DEP_1)
	v_lshlrev_b64_e32 v[2:3], 2, v[2:3]
	v_add_co_u32 v2, vcc_lo, v0, v2
	s_wait_alu 0xfffd
	s_delay_alu instid0(VALU_DEP_2)
	v_add_co_ci_u32_e64 v3, null, v1, v3, vcc_lo
	global_load_b128 v[2:5], v[2:3], off
	s_wait_loadcnt 0x0
	v_fma_mixlo_f16 v3, s4, v3, 0
	v_fma_mixlo_f16 v2, s4, v2, 0
	;; [unrolled: 1-line block ×4, first 2 shown]
	s_delay_alu instid0(VALU_DEP_4) | instskip(NEXT) | instid1(VALU_DEP_4)
	v_lshlrev_b32_e32 v3, 16, v3
	v_and_b32_e32 v2, 0xffff, v2
	s_delay_alu instid0(VALU_DEP_4) | instskip(NEXT) | instid1(VALU_DEP_4)
	v_and_b32_e32 v4, 0xffff, v4
	v_lshlrev_b32_e32 v5, 16, v5
	s_delay_alu instid0(VALU_DEP_3) | instskip(NEXT) | instid1(VALU_DEP_2)
	v_or_b32_e32 v2, v3, v2
	v_or3_b32 v3, v5, v4, 0
	s_delay_alu instid0(VALU_DEP_2)
	v_or3_b32 v2, 0, 0, v2
	ds_store_b64 v6, v[2:3]
.LBB56_6:
	s_or_b32 exec_lo, exec_lo, s8
	v_or_b32_e32 v80, 1, v82
	s_mul_hi_u32 s8, s5, s14
	s_delay_alu instid0(VALU_DEP_1)
	v_add_nc_u32_e32 v81, s15, v80
	s_and_saveexec_b32 s9, s2
	s_cbranch_execz .LBB56_8
; %bb.7:
	s_delay_alu instid0(VALU_DEP_1) | instskip(SKIP_1) | instid1(VALU_DEP_2)
	v_mul_hi_u32 v2, v81, s24
	v_mad_u32_u24 v6, 0xc0, v80, v84
	v_add_nc_u32_e32 v2, v81, v2
	s_delay_alu instid0(VALU_DEP_1) | instskip(NEXT) | instid1(VALU_DEP_1)
	v_lshrrev_b32_e32 v2, s25, v2
	v_mul_lo_u32 v2, v2, s26
	s_delay_alu instid0(VALU_DEP_1) | instskip(SKIP_1) | instid1(VALU_DEP_1)
	v_sub_nc_u32_e32 v4, v81, v2
	s_wait_alu 0xfffe
	v_mad_co_u64_u32 v[2:3], null, s6, v4, 0
	s_delay_alu instid0(VALU_DEP_1) | instskip(NEXT) | instid1(VALU_DEP_1)
	v_mad_co_u64_u32 v[3:4], null, s7, v4, v[3:4]
	v_lshlrev_b64_e32 v[2:3], 2, v[2:3]
	s_delay_alu instid0(VALU_DEP_1) | instskip(SKIP_1) | instid1(VALU_DEP_2)
	v_add_co_u32 v2, vcc_lo, v0, v2
	s_wait_alu 0xfffd
	v_add_co_ci_u32_e64 v3, null, v1, v3, vcc_lo
	global_load_b128 v[2:5], v[2:3], off
	s_wait_loadcnt 0x0
	v_fma_mixlo_f16 v3, s4, v3, 0
	v_fma_mixlo_f16 v2, s4, v2, 0
	;; [unrolled: 1-line block ×4, first 2 shown]
	s_delay_alu instid0(VALU_DEP_4) | instskip(NEXT) | instid1(VALU_DEP_4)
	v_lshlrev_b32_e32 v3, 16, v3
	v_and_b32_e32 v2, 0xffff, v2
	s_delay_alu instid0(VALU_DEP_4) | instskip(NEXT) | instid1(VALU_DEP_4)
	v_and_b32_e32 v4, 0xffff, v4
	v_lshlrev_b32_e32 v5, 16, v5
	s_delay_alu instid0(VALU_DEP_3) | instskip(NEXT) | instid1(VALU_DEP_2)
	v_or_b32_e32 v2, v3, v2
	v_or3_b32 v3, v5, v4, 0
	s_delay_alu instid0(VALU_DEP_2)
	v_or3_b32 v2, 0, 0, v2
	ds_store_b64 v6, v[2:3]
.LBB56_8:
	s_or_b32 exec_lo, exec_lo, s9
	v_or_b32_e32 v78, 2, v82
	s_abs_i32 s36, s28
	s_add_co_i32 s8, s5, s8
	s_and_saveexec_b32 s5, s2
	s_cbranch_execz .LBB56_10
; %bb.9:
	v_add_nc_u32_e32 v2, s15, v78
	v_mad_u32_u24 v6, 0xc0, v78, v84
	s_delay_alu instid0(VALU_DEP_2) | instskip(NEXT) | instid1(VALU_DEP_1)
	v_mul_hi_u32 v3, v2, s24
	v_add_nc_u32_e32 v3, v2, v3
	s_delay_alu instid0(VALU_DEP_1) | instskip(NEXT) | instid1(VALU_DEP_1)
	v_lshrrev_b32_e32 v3, s25, v3
	v_mul_lo_u32 v3, v3, s26
	s_delay_alu instid0(VALU_DEP_1) | instskip(SKIP_1) | instid1(VALU_DEP_1)
	v_sub_nc_u32_e32 v4, v2, v3
	s_wait_alu 0xfffe
	v_mad_co_u64_u32 v[2:3], null, s6, v4, 0
	s_delay_alu instid0(VALU_DEP_1) | instskip(NEXT) | instid1(VALU_DEP_1)
	v_mad_co_u64_u32 v[3:4], null, s7, v4, v[3:4]
	v_lshlrev_b64_e32 v[2:3], 2, v[2:3]
	s_delay_alu instid0(VALU_DEP_1) | instskip(SKIP_1) | instid1(VALU_DEP_2)
	v_add_co_u32 v2, vcc_lo, v0, v2
	s_wait_alu 0xfffd
	v_add_co_ci_u32_e64 v3, null, v1, v3, vcc_lo
	global_load_b128 v[2:5], v[2:3], off
	s_wait_loadcnt 0x0
	v_fma_mixlo_f16 v3, s4, v3, 0
	v_fma_mixlo_f16 v2, s4, v2, 0
	;; [unrolled: 1-line block ×4, first 2 shown]
	s_delay_alu instid0(VALU_DEP_4) | instskip(NEXT) | instid1(VALU_DEP_4)
	v_lshlrev_b32_e32 v3, 16, v3
	v_and_b32_e32 v2, 0xffff, v2
	s_delay_alu instid0(VALU_DEP_4) | instskip(NEXT) | instid1(VALU_DEP_4)
	v_and_b32_e32 v4, 0xffff, v4
	v_lshlrev_b32_e32 v5, 16, v5
	s_delay_alu instid0(VALU_DEP_3) | instskip(NEXT) | instid1(VALU_DEP_2)
	v_or_b32_e32 v2, v3, v2
	v_or3_b32 v3, v5, v4, 0
	s_delay_alu instid0(VALU_DEP_2)
	v_or3_b32 v2, 0, 0, v2
	ds_store_b64 v6, v[2:3]
.LBB56_10:
	s_wait_alu 0xfffe
	s_or_b32 exec_lo, exec_lo, s5
	v_or_b32_e32 v77, 3, v82
	s_mov_b32 s9, s37
	s_and_saveexec_b32 s5, s2
	s_cbranch_execz .LBB56_12
; %bb.11:
	s_delay_alu instid0(VALU_DEP_1) | instskip(NEXT) | instid1(VALU_DEP_1)
	v_add_nc_u32_e32 v2, s15, v77
	v_mul_hi_u32 v3, v2, s24
	s_delay_alu instid0(VALU_DEP_1) | instskip(NEXT) | instid1(VALU_DEP_1)
	v_add_nc_u32_e32 v3, v2, v3
	v_lshrrev_b32_e32 v3, s25, v3
	s_delay_alu instid0(VALU_DEP_1) | instskip(NEXT) | instid1(VALU_DEP_1)
	v_mul_lo_u32 v3, v3, s26
	v_sub_nc_u32_e32 v4, v2, v3
	s_delay_alu instid0(VALU_DEP_1) | instskip(NEXT) | instid1(VALU_DEP_1)
	v_mad_co_u64_u32 v[2:3], null, s6, v4, 0
	v_mad_co_u64_u32 v[3:4], null, s7, v4, v[3:4]
	v_mad_u32_u24 v4, 0xc0, v77, v84
	s_delay_alu instid0(VALU_DEP_2) | instskip(NEXT) | instid1(VALU_DEP_1)
	v_lshlrev_b64_e32 v[2:3], 2, v[2:3]
	v_add_co_u32 v0, vcc_lo, v0, v2
	s_wait_alu 0xfffd
	s_delay_alu instid0(VALU_DEP_2)
	v_add_co_ci_u32_e64 v1, null, v1, v3, vcc_lo
	global_load_b128 v[0:3], v[0:1], off
	s_wait_loadcnt 0x0
	v_fma_mixlo_f16 v1, s4, v1, 0
	v_fma_mixlo_f16 v0, s4, v0, 0
	;; [unrolled: 1-line block ×4, first 2 shown]
	s_delay_alu instid0(VALU_DEP_4) | instskip(NEXT) | instid1(VALU_DEP_4)
	v_lshlrev_b32_e32 v1, 16, v1
	v_and_b32_e32 v0, 0xffff, v0
	s_delay_alu instid0(VALU_DEP_4) | instskip(NEXT) | instid1(VALU_DEP_4)
	v_and_b32_e32 v2, 0xffff, v2
	v_lshlrev_b32_e32 v3, 16, v3
	s_delay_alu instid0(VALU_DEP_3) | instskip(NEXT) | instid1(VALU_DEP_2)
	v_or_b32_e32 v0, v1, v0
	v_or3_b32 v1, v3, v2, 0
	s_delay_alu instid0(VALU_DEP_2)
	v_or3_b32 v0, 0, 0, v0
	ds_store_b64 v4, v[0:1]
.LBB56_12:
	s_wait_alu 0xfffe
	s_or_b32 exec_lo, exec_lo, s5
	s_ashr_i32 s29, s28, 31
	s_ashr_i32 s14, s31, 31
	s_mul_u64 s[8:9], s[36:37], s[8:9]
	s_cmp_eq_u64 s[18:19], 0
	s_wait_dscnt 0x0
	s_barrier_signal -1
	s_barrier_wait -1
	global_inv scope:SCOPE_SE
	s_cbranch_scc1 .LBB56_14
; %bb.13:
	s_load_b32 s4, s[0:1], 0xd0
	s_mov_b32 s5, 0
	s_wait_kmcnt 0x0
	s_mul_i32 s4, s4, s30
	s_wait_alu 0xfffe
	s_add_co_i32 s4, s4, ttmp9
	s_wait_alu 0xfffe
	s_lshl_b64 s[4:5], s[4:5], 2
	s_wait_alu 0xfffe
	s_add_nc_u64 s[4:5], s[18:19], s[4:5]
	s_load_b32 s42, s[4:5], 0x0
.LBB56_14:
	s_clause 0x2
	s_load_b64 s[38:39], s[0:1], 0x8c
	s_load_b128 s[4:7], s[0:1], 0x98
	s_load_b64 s[40:41], s[0:1], 0xa8
	s_mul_i32 s8, s9, s33
	s_ashr_i32 s19, s3, 1
	s_sub_co_i32 s8, s36, s8
	s_xor_b32 s3, s29, s14
	s_add_co_i32 s14, s9, 1
	s_sub_co_i32 s18, s8, s33
	v_lshlrev_b32_e32 v68, 2, v79
	s_mov_b32 s31, 0
	v_lshrrev_b32_e32 v108, 1, v79
	v_lshrrev_b32_e32 v106, 2, v79
	v_mul_u32_u24_e32 v100, 0x70, v79
	v_mul_u32_u24_e32 v99, 0x300, v105
	v_lshl_add_u32 v86, v105, 8, 0x2680
	v_and_b32_e32 v107, 4, v68
	v_and_b32_e32 v98, 12, v68
	v_lshrrev_b32_e32 v97, 3, v79
	v_and_b32_e32 v96, 28, v68
	s_wait_kmcnt 0x0
	s_ashr_i32 s44, s38, 2
	s_ashr_i32 s36, s6, 2
	s_cmp_ge_u32 s8, s33
	s_mul_u64 s[4:5], s[4:5], s[30:31]
	s_wait_alu 0xfffe
	s_cselect_b32 s6, s14, s9
	s_cselect_b32 s8, s18, s8
	s_wait_alu 0xfffe
	s_add_co_i32 s9, s6, 1
	s_cmp_ge_u32 s8, s33
	s_mul_u64 s[40:41], s[40:41], s[30:31]
	s_cselect_b32 s6, s9, s6
	s_add_nc_u64 s[4:5], s[10:11], s[4:5]
	s_wait_alu 0xfffe
	s_xor_b32 s6, s6, s3
	s_and_b32 s18, ttmp7, 0xffff
	s_wait_alu 0xfffe
	s_sub_co_i32 s3, s6, s3
	v_mbcnt_lo_u32_b32 v85, -1, 0
	s_wait_alu 0xfffe
	s_mul_i32 s10, s3, s39
	s_mul_i32 s6, s3, s7
	s_add_nc_u64 s[8:9], s[12:13], s[40:41]
	s_sub_co_i32 s31, s42, 32
	s_lshl_b32 s40, s18, 5
	s_ashr_i32 s11, s10, 31
	s_wait_alu 0xfffe
	s_ashr_i32 s7, s6, 31
	s_add_nc_u64 s[46:47], s[4:5], s[10:11]
	s_cmp_ge_i32 s40, s31
	s_wait_alu 0xfffe
	s_add_nc_u64 s[38:39], s[8:9], s[6:7]
	s_cbranch_scc1 .LBB56_42
; %bb.15:
	v_or_b32_e32 v5, 1, v83
	v_or_b32_e32 v6, 2, v83
	;; [unrolled: 1-line block ×3, first 2 shown]
	v_lshl_add_u32 v4, v105, 3, v106
	v_mul_hi_u32 v2, s24, v83
	v_mul_hi_u32 v3, s24, v5
	;; [unrolled: 1-line block ×4, first 2 shown]
	v_dual_mov_b32 v92, 0 :: v_dual_lshlrev_b32 v13, 2, v98
	v_lshl_add_u32 v0, v105, 4, v108
	v_dual_mov_b32 v87, 0 :: v_dual_lshlrev_b32 v8, 2, v107
	v_dual_mov_b32 v88, 0 :: v_dual_add_nc_u32 v3, v5, v3
	v_dual_mov_b32 v90, 0 :: v_dual_add_nc_u32 v9, v6, v9
	;; [unrolled: 1-line block ×3, first 2 shown]
	s_delay_alu instid0(VALU_DEP_3) | instskip(NEXT) | instid1(VALU_DEP_3)
	v_lshrrev_b32_e32 v3, s25, v3
	v_lshrrev_b32_e32 v9, s25, v9
	v_add_nc_u32_e32 v2, v83, v2
	v_mul_u32_u24_e32 v1, 0x70, v0
	v_lshrrev_b32_e32 v10, s25, v10
	v_mul_lo_u32 v12, v3, s26
	v_mul_lo_u32 v9, v9, s26
	v_cmp_gt_u32_e64 s3, 32, v0
	v_add3_u32 v109, v1, v8, 0x1840
	v_mul_u32_u24_e32 v8, 0x70, v4
	v_mul_lo_u32 v10, v10, s26
	v_mul_lo_u32 v0, s44, v0
	v_mov_b32_e32 v94, 0
	v_sub_nc_u32_e32 v5, v5, v12
	v_sub_nc_u32_e32 v6, v6, v9
	v_add_nc_u32_e32 v9, v97, v82
	v_add3_u32 v110, v8, v13, 0x1800
	s_ashr_i32 s45, s44, 31
	v_mul_lo_u32 v112, v5, s19
	v_mul_u32_u24_e32 v5, 0xc0, v4
	v_mul_lo_u32 v113, v6, s19
	v_mul_lo_u32 v6, s36, v4
	v_mul_lo_u32 v8, s36, v9
	v_sub_nc_u32_e32 v7, v7, v10
	v_or_b32_e32 v5, v5, v13
	v_ashrrev_i32_e32 v1, 31, v0
	v_mul_u32_u24_e32 v10, 0xc0, v9
	v_cmp_gt_u32_e64 s6, 16, v9
	v_mul_lo_u32 v114, v7, s19
	v_dual_mov_b32 v122, 0 :: v_dual_add_nc_u32 v115, 0x1880, v5
	v_mov_b32_e32 v5, 0xfeffffff
	v_lshrrev_b32_e32 v11, s25, v2
	v_mul_lo_u32 v2, s44, v4
	v_ashrrev_i32_e32 v7, 31, v6
	v_ashrrev_i32_e32 v9, 31, v8
	v_lshlrev_b64_e32 v[69:70], 2, v[0:1]
	v_mul_lo_u32 v11, v11, s26
	v_cmp_gt_u32_e64 s4, 32, v4
	v_lshlrev_b64_e32 v[73:74], 2, v[6:7]
	v_lshlrev_b64_e32 v[75:76], 2, v[8:9]
	v_ashrrev_i32_e32 v3, 31, v2
	v_cmp_gt_u32_e64 s5, 16, v4
	v_dual_mov_b32 v4, 0xfeffffff :: v_dual_lshlrev_b32 v117, 2, v107
	v_sub_nc_u32_e32 v11, v83, v11
	s_delay_alu instid0(VALU_DEP_4) | instskip(SKIP_2) | instid1(VALU_DEP_4)
	v_lshlrev_b64_e32 v[71:72], 2, v[2:3]
	v_dual_mov_b32 v91, 0 :: v_dual_lshlrev_b32 v118, 2, v98
	v_mbcnt_lo_u32_b32 v119, -1, 0
	v_mul_lo_u32 v111, v11, s19
	v_dual_mov_b32 v6, 0xfeffffff :: v_dual_lshlrev_b32 v11, 2, v96
	v_dual_mov_b32 v93, 0 :: v_dual_mov_b32 v120, 0
	v_mov_b32_e32 v7, 0xfeffffff
	s_delay_alu instid0(VALU_DEP_3)
	v_add3_u32 v116, v10, v11, 0x1800
	v_mov_b32_e32 v123, 0
	v_mov_b32_e32 v121, 0
	s_cmp_lg_u64 s[34:35], 0
	s_add_nc_u64 s[48:49], s[0:1], 0xd0
	s_cselect_b32 s33, -1, 0
	s_ashr_i32 s37, s36, 31
.LBB56_16:                              ; =>This Inner Loop Header: Depth=1
	s_ashr_i32 s41, s40, 31
	s_wait_alu 0xfffe
	s_mul_u64 s[8:9], s[40:41], s[44:45]
	s_wait_alu 0xfffe
	s_lshl_b64 s[8:9], s[8:9], 2
	s_wait_alu 0xfffe
	s_add_nc_u64 s[8:9], s[46:47], s[8:9]
	s_and_saveexec_b32 s7, s3
	s_cbranch_execz .LBB56_18
; %bb.17:                               ;   in Loop: Header=BB56_16 Depth=1
	s_wait_alu 0xfffe
	v_add_co_u32 v0, vcc_lo, s8, v69
	s_wait_alu 0xfffd
	v_add_co_ci_u32_e64 v1, null, s9, v70, vcc_lo
	s_delay_alu instid0(VALU_DEP_2) | instskip(SKIP_1) | instid1(VALU_DEP_2)
	v_add_co_u32 v0, vcc_lo, v0, v117
	s_wait_alu 0xfffd
	v_add_co_ci_u32_e64 v1, null, 0, v1, vcc_lo
	global_load_b128 v[0:3], v[0:1], off offset:64
	s_wait_loadcnt 0x0
	ds_store_b128 v109, v[0:3]
.LBB56_18:                              ;   in Loop: Header=BB56_16 Depth=1
	s_wait_alu 0xfffe
	s_or_b32 exec_lo, exec_lo, s7
	s_and_saveexec_b32 s7, s4
	s_cbranch_execz .LBB56_20
; %bb.19:                               ;   in Loop: Header=BB56_16 Depth=1
	v_add_co_u32 v0, vcc_lo, s8, v71
	s_wait_alu 0xfffd
	v_add_co_ci_u32_e64 v1, null, s9, v72, vcc_lo
	s_delay_alu instid0(VALU_DEP_2) | instskip(SKIP_1) | instid1(VALU_DEP_2)
	v_add_co_u32 v0, vcc_lo, v0, v118
	s_wait_alu 0xfffd
	v_add_co_ci_u32_e64 v1, null, 0, v1, vcc_lo
	global_load_b128 v[0:3], v[0:1], off
	s_wait_loadcnt 0x0
	ds_store_b128 v110, v[0:3]
.LBB56_20:                              ;   in Loop: Header=BB56_16 Depth=1
	s_wait_alu 0xfffe
	s_or_b32 exec_lo, exec_lo, s7
	s_wait_loadcnt_dscnt 0x0
	s_barrier_signal -1
	s_barrier_wait -1
	global_inv scope:SCOPE_SE
	ds_load_b128 v[8:11], v100 offset:6144
	ds_load_b128 v[12:15], v99
	ds_load_b128 v[16:19], v99 offset:192
	ds_load_b128 v[20:23], v99 offset:384
	;; [unrolled: 1-line block ×3, first 2 shown]
	v_dual_mov_b32 v3, 0 :: v_dual_mov_b32 v2, 0
	v_dual_mov_b32 v1, 0 :: v_dual_mov_b32 v0, 0
	s_wait_dscnt 0x3
	;;#ASMSTART
	v_dot2_f32_f16 v3, v8, v12, v3
	;;#ASMEND
	;;#ASMSTART
	v_dot2_f32_f16 v3, v9, v13, v3
	;;#ASMEND
	;;#ASMSTART
	v_dot2_f32_f16 v3, v10, v14, v3
	;;#ASMEND
	;;#ASMSTART
	v_dot2_f32_f16 v3, v11, v15, v3
	;;#ASMEND
	s_wait_dscnt 0x2
	;;#ASMSTART
	v_dot2_f32_f16 v2, v8, v16, v2
	;;#ASMEND
	;;#ASMSTART
	v_dot2_f32_f16 v2, v9, v17, v2
	;;#ASMEND
	;;#ASMSTART
	v_dot2_f32_f16 v2, v10, v18, v2
	;;#ASMEND
	;;#ASMSTART
	v_dot2_f32_f16 v2, v11, v19, v2
	;;#ASMEND
	s_wait_dscnt 0x1
	;;#ASMSTART
	v_dot2_f32_f16 v1, v8, v20, v1
	;;#ASMEND
	;;#ASMSTART
	v_dot2_f32_f16 v1, v9, v21, v1
	;;#ASMEND
	;;#ASMSTART
	v_dot2_f32_f16 v1, v10, v22, v1
	;;#ASMEND
	;;#ASMSTART
	v_dot2_f32_f16 v1, v11, v23, v1
	;;#ASMEND
	s_wait_dscnt 0x0
	;;#ASMSTART
	v_dot2_f32_f16 v0, v8, v24, v0
	;;#ASMEND
	;;#ASMSTART
	v_dot2_f32_f16 v0, v9, v25, v0
	;;#ASMEND
	;;#ASMSTART
	v_dot2_f32_f16 v0, v10, v26, v0
	;;#ASMEND
	;;#ASMSTART
	v_dot2_f32_f16 v0, v11, v27, v0
	;;#ASMEND
	ds_load_b128 v[8:11], v100 offset:6160
	ds_load_b128 v[12:15], v99 offset:16
	ds_load_b128 v[16:19], v99 offset:208
	ds_load_b128 v[20:23], v99 offset:400
	ds_load_b128 v[24:27], v99 offset:592
	s_wait_dscnt 0x3
	;;#ASMSTART
	v_dot2_f32_f16 v3, v8, v12, v3
	;;#ASMEND
	;;#ASMSTART
	v_dot2_f32_f16 v3, v9, v13, v3
	;;#ASMEND
	;;#ASMSTART
	v_dot2_f32_f16 v3, v10, v14, v3
	;;#ASMEND
	;;#ASMSTART
	v_dot2_f32_f16 v3, v11, v15, v3
	;;#ASMEND
	s_wait_dscnt 0x2
	;;#ASMSTART
	v_dot2_f32_f16 v2, v8, v16, v2
	;;#ASMEND
	;;#ASMSTART
	v_dot2_f32_f16 v2, v9, v17, v2
	;;#ASMEND
	;;#ASMSTART
	v_dot2_f32_f16 v2, v10, v18, v2
	;;#ASMEND
	;;#ASMSTART
	v_dot2_f32_f16 v2, v11, v19, v2
	;;#ASMEND
	s_wait_dscnt 0x1
	;;#ASMSTART
	v_dot2_f32_f16 v1, v8, v20, v1
	;;#ASMEND
	;;#ASMSTART
	v_dot2_f32_f16 v1, v9, v21, v1
	;;#ASMEND
	;;#ASMSTART
	v_dot2_f32_f16 v1, v10, v22, v1
	;;#ASMEND
	;;#ASMSTART
	v_dot2_f32_f16 v1, v11, v23, v1
	;;#ASMEND
	s_wait_dscnt 0x0
	;;#ASMSTART
	v_dot2_f32_f16 v0, v8, v24, v0
	;;#ASMEND
	;;#ASMSTART
	v_dot2_f32_f16 v0, v9, v25, v0
	;;#ASMEND
	;;#ASMSTART
	v_dot2_f32_f16 v0, v10, v26, v0
	;;#ASMEND
	;;#ASMSTART
	v_dot2_f32_f16 v0, v11, v27, v0
	;;#ASMEND
	ds_load_b128 v[8:11], v100 offset:6176
	ds_load_b128 v[12:15], v99 offset:32
	ds_load_b128 v[16:19], v99 offset:224
	ds_load_b128 v[20:23], v99 offset:416
	ds_load_b128 v[24:27], v99 offset:608
	;; [unrolled: 57-line block ×5, first 2 shown]
	s_wait_dscnt 0x3
	;;#ASMSTART
	v_dot2_f32_f16 v3, v8, v12, v3
	;;#ASMEND
	;;#ASMSTART
	v_dot2_f32_f16 v3, v9, v13, v3
	;;#ASMEND
	;;#ASMSTART
	v_dot2_f32_f16 v3, v10, v14, v3
	;;#ASMEND
	;;#ASMSTART
	v_dot2_f32_f16 v3, v11, v15, v3
	;;#ASMEND
	s_wait_dscnt 0x2
	;;#ASMSTART
	v_dot2_f32_f16 v2, v8, v16, v2
	;;#ASMEND
	;;#ASMSTART
	v_dot2_f32_f16 v2, v9, v17, v2
	;;#ASMEND
	;;#ASMSTART
	v_dot2_f32_f16 v2, v10, v18, v2
	;;#ASMEND
	;;#ASMSTART
	v_dot2_f32_f16 v2, v11, v19, v2
	;;#ASMEND
	;; [unrolled: 13-line block ×4, first 2 shown]
	s_wait_loadcnt 0x0
	s_barrier_signal -1
	s_barrier_wait -1
	global_inv scope:SCOPE_SE
	s_and_saveexec_b32 s7, s3
	s_cbranch_execz .LBB56_22
; %bb.21:                               ;   in Loop: Header=BB56_16 Depth=1
	v_add_co_u32 v8, vcc_lo, s8, v69
	s_wait_alu 0xfffd
	v_add_co_ci_u32_e64 v9, null, s9, v70, vcc_lo
	s_delay_alu instid0(VALU_DEP_2) | instskip(SKIP_1) | instid1(VALU_DEP_2)
	v_add_co_u32 v8, vcc_lo, v8, v117
	s_wait_alu 0xfffd
	v_add_co_ci_u32_e64 v9, null, 0, v9, vcc_lo
	global_load_b128 v[8:11], v[8:9], off offset:160
	s_wait_loadcnt 0x0
	ds_store_b128 v109, v[8:11]
.LBB56_22:                              ;   in Loop: Header=BB56_16 Depth=1
	s_wait_alu 0xfffe
	s_or_b32 exec_lo, exec_lo, s7
	s_and_saveexec_b32 s7, s4
	s_cbranch_execz .LBB56_24
; %bb.23:                               ;   in Loop: Header=BB56_16 Depth=1
	v_add_co_u32 v8, vcc_lo, s8, v71
	s_wait_alu 0xfffd
	v_add_co_ci_u32_e64 v9, null, s9, v72, vcc_lo
	s_delay_alu instid0(VALU_DEP_2) | instskip(SKIP_1) | instid1(VALU_DEP_2)
	v_add_co_u32 v8, vcc_lo, v8, v118
	s_wait_alu 0xfffd
	v_add_co_ci_u32_e64 v9, null, 0, v9, vcc_lo
	global_load_b128 v[8:11], v[8:9], off offset:96
	s_wait_loadcnt 0x0
	ds_store_b128 v110, v[8:11]
.LBB56_24:                              ;   in Loop: Header=BB56_16 Depth=1
	s_wait_alu 0xfffe
	s_or_b32 exec_lo, exec_lo, s7
	s_wait_loadcnt_dscnt 0x0
	s_barrier_signal -1
	s_barrier_wait -1
	global_inv scope:SCOPE_SE
	ds_load_b128 v[8:11], v100 offset:6144
	ds_load_b128 v[12:15], v99 offset:96
	;; [unrolled: 1-line block ×5, first 2 shown]
	s_and_not1_b32 vcc_lo, exec_lo, s33
	s_wait_dscnt 0x3
	;;#ASMSTART
	v_dot2_f32_f16 v3, v8, v12, v3
	;;#ASMEND
	;;#ASMSTART
	v_dot2_f32_f16 v3, v9, v13, v3
	;;#ASMEND
	;;#ASMSTART
	v_dot2_f32_f16 v3, v10, v14, v3
	;;#ASMEND
	;;#ASMSTART
	v_dot2_f32_f16 v3, v11, v15, v3
	;;#ASMEND
	s_wait_dscnt 0x2
	;;#ASMSTART
	v_dot2_f32_f16 v2, v8, v16, v2
	;;#ASMEND
	;;#ASMSTART
	v_dot2_f32_f16 v2, v9, v17, v2
	;;#ASMEND
	;;#ASMSTART
	v_dot2_f32_f16 v2, v10, v18, v2
	;;#ASMEND
	;;#ASMSTART
	v_dot2_f32_f16 v2, v11, v19, v2
	;;#ASMEND
	s_wait_dscnt 0x1
	;;#ASMSTART
	v_dot2_f32_f16 v1, v8, v20, v1
	;;#ASMEND
	;;#ASMSTART
	v_dot2_f32_f16 v1, v9, v21, v1
	;;#ASMEND
	;;#ASMSTART
	v_dot2_f32_f16 v1, v10, v22, v1
	;;#ASMEND
	;;#ASMSTART
	v_dot2_f32_f16 v1, v11, v23, v1
	;;#ASMEND
	s_wait_dscnt 0x0
	;;#ASMSTART
	v_dot2_f32_f16 v0, v8, v24, v0
	;;#ASMEND
	;;#ASMSTART
	v_dot2_f32_f16 v0, v9, v25, v0
	;;#ASMEND
	;;#ASMSTART
	v_dot2_f32_f16 v0, v10, v26, v0
	;;#ASMEND
	;;#ASMSTART
	v_dot2_f32_f16 v0, v11, v27, v0
	;;#ASMEND
	ds_load_b128 v[8:11], v100 offset:6160
	ds_load_b128 v[12:15], v99 offset:112
	ds_load_b128 v[16:19], v99 offset:304
	ds_load_b128 v[20:23], v99 offset:496
	ds_load_b128 v[24:27], v99 offset:688
	s_wait_dscnt 0x3
	;;#ASMSTART
	v_dot2_f32_f16 v3, v8, v12, v3
	;;#ASMEND
	;;#ASMSTART
	v_dot2_f32_f16 v3, v9, v13, v3
	;;#ASMEND
	;;#ASMSTART
	v_dot2_f32_f16 v3, v10, v14, v3
	;;#ASMEND
	;;#ASMSTART
	v_dot2_f32_f16 v3, v11, v15, v3
	;;#ASMEND
	s_wait_dscnt 0x2
	;;#ASMSTART
	v_dot2_f32_f16 v2, v8, v16, v2
	;;#ASMEND
	;;#ASMSTART
	v_dot2_f32_f16 v2, v9, v17, v2
	;;#ASMEND
	;;#ASMSTART
	v_dot2_f32_f16 v2, v10, v18, v2
	;;#ASMEND
	;;#ASMSTART
	v_dot2_f32_f16 v2, v11, v19, v2
	;;#ASMEND
	s_wait_dscnt 0x1
	;;#ASMSTART
	v_dot2_f32_f16 v1, v8, v20, v1
	;;#ASMEND
	;;#ASMSTART
	v_dot2_f32_f16 v1, v9, v21, v1
	;;#ASMEND
	;;#ASMSTART
	v_dot2_f32_f16 v1, v10, v22, v1
	;;#ASMEND
	;;#ASMSTART
	v_dot2_f32_f16 v1, v11, v23, v1
	;;#ASMEND
	s_wait_dscnt 0x0
	;;#ASMSTART
	v_dot2_f32_f16 v0, v8, v24, v0
	;;#ASMEND
	;;#ASMSTART
	v_dot2_f32_f16 v0, v9, v25, v0
	;;#ASMEND
	;;#ASMSTART
	v_dot2_f32_f16 v0, v10, v26, v0
	;;#ASMEND
	;;#ASMSTART
	v_dot2_f32_f16 v0, v11, v27, v0
	;;#ASMEND
	ds_load_b128 v[8:11], v100 offset:6176
	ds_load_b128 v[12:15], v99 offset:128
	ds_load_b128 v[16:19], v99 offset:320
	ds_load_b128 v[20:23], v99 offset:512
	ds_load_b128 v[24:27], v99 offset:704
	;; [unrolled: 57-line block ×5, first 2 shown]
	s_wait_dscnt 0x3
	;;#ASMSTART
	v_dot2_f32_f16 v3, v11, v15, v3
	;;#ASMEND
	;;#ASMSTART
	v_dot2_f32_f16 v3, v12, v16, v3
	;;#ASMEND
	;; [unrolled: 3-line block ×4, first 2 shown]
	s_wait_dscnt 0x2
	;;#ASMSTART
	v_dot2_f32_f16 v2, v11, v19, v2
	;;#ASMEND
	;;#ASMSTART
	v_dot2_f32_f16 v2, v12, v20, v2
	;;#ASMEND
	;;#ASMSTART
	v_dot2_f32_f16 v2, v13, v21, v2
	;;#ASMEND
	;;#ASMSTART
	v_dot2_f32_f16 v2, v14, v22, v2
	;;#ASMEND
	s_wait_dscnt 0x1
	;;#ASMSTART
	v_dot2_f32_f16 v1, v11, v23, v1
	;;#ASMEND
	v_dual_mov_b32 v8, 0 :: v_dual_add_nc_u32 v9, s40, v79
	v_mov_b32_e32 v10, 0
	;;#ASMSTART
	v_dot2_f32_f16 v1, v12, v24, v1
	;;#ASMEND
	;;#ASMSTART
	v_dot2_f32_f16 v1, v13, v25, v1
	;;#ASMEND
	;; [unrolled: 3-line block ×3, first 2 shown]
	s_wait_dscnt 0x0
	;;#ASMSTART
	v_dot2_f32_f16 v0, v11, v27, v0
	;;#ASMEND
	;;#ASMSTART
	v_dot2_f32_f16 v0, v12, v28, v0
	;;#ASMEND
	;; [unrolled: 3-line block ×4, first 2 shown]
	s_wait_alu 0xfffe
	s_cbranch_vccnz .LBB56_26
; %bb.25:                               ;   in Loop: Header=BB56_16 Depth=1
	v_add_nc_u32_e32 v10, v9, v111
	s_delay_alu instid0(VALU_DEP_1) | instskip(NEXT) | instid1(VALU_DEP_1)
	v_ashrrev_i32_e32 v11, 31, v10
	v_lshlrev_b64_e32 v[10:11], 1, v[10:11]
	s_delay_alu instid0(VALU_DEP_1) | instskip(SKIP_1) | instid1(VALU_DEP_2)
	v_add_co_u32 v10, vcc_lo, s34, v10
	s_wait_alu 0xfffd
	v_add_co_ci_u32_e64 v11, null, s35, v11, vcc_lo
	global_load_u16 v10, v[10:11], off
	s_wait_loadcnt 0x0
	v_cvt_f32_f16_e32 v10, v10
	s_delay_alu instid0(VALU_DEP_1)
	v_mul_f32_e32 v10, v95, v10
.LBB56_26:                              ;   in Loop: Header=BB56_16 Depth=1
	v_xor_b32_e32 v11, 16, v119
	s_delay_alu instid0(VALU_DEP_2) | instskip(SKIP_1) | instid1(VALU_DEP_3)
	v_dual_add_f32 v3, v3, v10 :: v_dual_max_num_f32 v10, v5, v5
	v_xor_b32_e32 v13, 8, v119
	v_cmp_gt_i32_e32 vcc_lo, 32, v11
	s_delay_alu instid0(VALU_DEP_3)
	v_add_f32_e32 v12, 0x40051340, v3
	s_wait_alu 0xfffd
	v_cndmask_b32_e32 v11, v119, v11, vcc_lo
	v_cmp_gt_i32_e32 vcc_lo, 32, v13
	s_wait_alu 0xfffd
	v_dual_cndmask_b32 v13, v119, v13 :: v_dual_max_num_f32 v10, v10, v12
	s_delay_alu instid0(VALU_DEP_3) | instskip(SKIP_4) | instid1(VALU_DEP_2)
	v_lshlrev_b32_e32 v11, 2, v11
	ds_bpermute_b32 v12, v11, v10
	s_wait_dscnt 0x0
	v_max_num_f32_e32 v14, v12, v12
	v_lshlrev_b32_e32 v12, 2, v13
	v_max_num_f32_e32 v10, v10, v14
	v_xor_b32_e32 v14, 4, v119
	ds_bpermute_b32 v13, v12, v10
	v_cmp_gt_i32_e32 vcc_lo, 32, v14
	s_wait_dscnt 0x0
	s_wait_alu 0xfffd
	v_dual_cndmask_b32 v14, v119, v14 :: v_dual_max_num_f32 v15, v13, v13
	s_delay_alu instid0(VALU_DEP_1)
	v_dual_max_num_f32 v10, v10, v15 :: v_dual_lshlrev_b32 v13, 2, v14
	v_xor_b32_e32 v15, 2, v119
	ds_bpermute_b32 v14, v13, v10
	v_cmp_gt_i32_e32 vcc_lo, 32, v15
	s_wait_dscnt 0x0
	s_wait_alu 0xfffd
	v_dual_cndmask_b32 v15, v119, v15 :: v_dual_max_num_f32 v16, v14, v14
	s_delay_alu instid0(VALU_DEP_1) | instskip(NEXT) | instid1(VALU_DEP_2)
	v_lshlrev_b32_e32 v14, 2, v15
	v_max_num_f32_e32 v10, v10, v16
	v_xor_b32_e32 v16, 1, v119
	ds_bpermute_b32 v15, v14, v10
	v_cmp_gt_i32_e32 vcc_lo, 32, v16
	s_wait_dscnt 0x0
	v_max_num_f32_e32 v15, v15, v15
	s_wait_alu 0xfffd
	v_cndmask_b32_e32 v16, v119, v16, vcc_lo
	s_and_not1_b32 vcc_lo, exec_lo, s33
	s_delay_alu instid0(VALU_DEP_2) | instskip(NEXT) | instid1(VALU_DEP_2)
	v_max_num_f32_e32 v15, v10, v15
	v_lshlrev_b32_e32 v17, 2, v16
	ds_bpermute_b32 v16, v17, v15
	s_wait_alu 0xfffe
	s_cbranch_vccnz .LBB56_28
; %bb.27:                               ;   in Loop: Header=BB56_16 Depth=1
	v_add_nc_u32_e32 v18, v9, v112
	s_delay_alu instid0(VALU_DEP_1) | instskip(NEXT) | instid1(VALU_DEP_1)
	v_ashrrev_i32_e32 v19, 31, v18
	v_lshlrev_b64_e32 v[18:19], 1, v[18:19]
	s_delay_alu instid0(VALU_DEP_1) | instskip(SKIP_1) | instid1(VALU_DEP_2)
	v_add_co_u32 v18, vcc_lo, s34, v18
	s_wait_alu 0xfffd
	v_add_co_ci_u32_e64 v19, null, s35, v19, vcc_lo
	global_load_u16 v8, v[18:19], off
	s_wait_loadcnt 0x0
	v_cvt_f32_f16_e32 v8, v8
	s_delay_alu instid0(VALU_DEP_1)
	v_mul_f32_e32 v8, v95, v8
.LBB56_28:                              ;   in Loop: Header=BB56_16 Depth=1
	s_delay_alu instid0(VALU_DEP_1) | instskip(SKIP_2) | instid1(VALU_DEP_2)
	v_dual_add_f32 v8, v2, v8 :: v_dual_mov_b32 v19, 0
	v_max_num_f32_e32 v10, v7, v7
	s_and_not1_b32 vcc_lo, exec_lo, s33
	v_add_f32_e32 v2, 0x40051340, v8
	s_delay_alu instid0(VALU_DEP_1) | instskip(SKIP_3) | instid1(VALU_DEP_1)
	v_max_num_f32_e32 v2, v10, v2
	ds_bpermute_b32 v10, v11, v2
	s_wait_dscnt 0x0
	v_max_num_f32_e32 v10, v10, v10
	v_max_num_f32_e32 v2, v2, v10
	ds_bpermute_b32 v10, v12, v2
	s_wait_dscnt 0x0
	v_max_num_f32_e32 v10, v10, v10
	s_delay_alu instid0(VALU_DEP_1) | instskip(SKIP_3) | instid1(VALU_DEP_1)
	v_max_num_f32_e32 v2, v2, v10
	ds_bpermute_b32 v10, v13, v2
	s_wait_dscnt 0x0
	v_max_num_f32_e32 v10, v10, v10
	v_max_num_f32_e32 v2, v2, v10
	ds_bpermute_b32 v10, v14, v2
	s_wait_dscnt 0x0
	v_max_num_f32_e32 v10, v10, v10
	s_delay_alu instid0(VALU_DEP_1)
	v_max_num_f32_e32 v2, v2, v10
	v_mov_b32_e32 v10, 0
	ds_bpermute_b32 v18, v17, v2
	s_wait_alu 0xfffe
	s_cbranch_vccnz .LBB56_30
; %bb.29:                               ;   in Loop: Header=BB56_16 Depth=1
	v_add_nc_u32_e32 v20, v9, v113
	s_delay_alu instid0(VALU_DEP_1) | instskip(NEXT) | instid1(VALU_DEP_1)
	v_ashrrev_i32_e32 v21, 31, v20
	v_lshlrev_b64_e32 v[20:21], 1, v[20:21]
	s_delay_alu instid0(VALU_DEP_1) | instskip(SKIP_1) | instid1(VALU_DEP_2)
	v_add_co_u32 v20, vcc_lo, s34, v20
	s_wait_alu 0xfffd
	v_add_co_ci_u32_e64 v21, null, s35, v21, vcc_lo
	global_load_u16 v10, v[20:21], off
	s_wait_loadcnt 0x0
	v_cvt_f32_f16_e32 v10, v10
	s_delay_alu instid0(VALU_DEP_1)
	v_mul_f32_e32 v10, v95, v10
.LBB56_30:                              ;   in Loop: Header=BB56_16 Depth=1
	v_max_num_f32_e32 v20, v6, v6
	s_delay_alu instid0(VALU_DEP_2) | instskip(SKIP_1) | instid1(VALU_DEP_1)
	v_add_f32_e32 v10, v1, v10
	s_and_not1_b32 vcc_lo, exec_lo, s33
	v_add_f32_e32 v1, 0x40051340, v10
	s_delay_alu instid0(VALU_DEP_1) | instskip(SKIP_3) | instid1(VALU_DEP_1)
	v_max_num_f32_e32 v1, v20, v1
	ds_bpermute_b32 v20, v11, v1
	s_wait_dscnt 0x0
	v_max_num_f32_e32 v20, v20, v20
	v_max_num_f32_e32 v1, v1, v20
	ds_bpermute_b32 v20, v12, v1
	s_wait_dscnt 0x0
	v_max_num_f32_e32 v20, v20, v20
	s_delay_alu instid0(VALU_DEP_1) | instskip(SKIP_3) | instid1(VALU_DEP_1)
	v_max_num_f32_e32 v1, v1, v20
	ds_bpermute_b32 v20, v13, v1
	s_wait_dscnt 0x0
	v_max_num_f32_e32 v20, v20, v20
	v_max_num_f32_e32 v1, v1, v20
	ds_bpermute_b32 v20, v14, v1
	s_wait_dscnt 0x0
	v_max_num_f32_e32 v20, v20, v20
	s_delay_alu instid0(VALU_DEP_1)
	v_max_num_f32_e32 v1, v1, v20
	ds_bpermute_b32 v20, v17, v1
	s_wait_alu 0xfffe
	s_cbranch_vccnz .LBB56_32
; %bb.31:                               ;   in Loop: Header=BB56_16 Depth=1
	v_add_nc_u32_e32 v21, v9, v114
	s_delay_alu instid0(VALU_DEP_1) | instskip(NEXT) | instid1(VALU_DEP_1)
	v_ashrrev_i32_e32 v22, 31, v21
	v_lshlrev_b64_e32 v[21:22], 1, v[21:22]
	s_delay_alu instid0(VALU_DEP_1) | instskip(SKIP_1) | instid1(VALU_DEP_2)
	v_add_co_u32 v21, vcc_lo, s34, v21
	s_wait_alu 0xfffd
	v_add_co_ci_u32_e64 v22, null, s35, v22, vcc_lo
	global_load_u16 v9, v[21:22], off
	s_wait_loadcnt 0x0
	v_cvt_f32_f16_e32 v9, v9
	s_delay_alu instid0(VALU_DEP_1)
	v_mul_f32_e32 v19, v95, v9
.LBB56_32:                              ;   in Loop: Header=BB56_16 Depth=1
	s_delay_alu instid0(VALU_DEP_1) | instskip(SKIP_3) | instid1(VALU_DEP_2)
	v_add_f32_e32 v9, v0, v19
	v_dual_max_num_f32 v0, v4, v4 :: v_dual_max_num_f32 v15, v15, v15
	s_mul_u64 s[50:51], s[40:41], s[36:37]
	s_wait_loadcnt_dscnt 0x0
	v_add_f32_e32 v19, 0x40051340, v9
	s_wait_alu 0xfffe
	s_lshl_b64 s[50:51], s[50:51], 2
	s_barrier_signal -1
	s_wait_alu 0xfffe
	s_add_nc_u64 s[50:51], s[38:39], s[50:51]
	s_barrier_wait -1
	v_max_num_f32_e32 v0, v0, v19
	global_inv scope:SCOPE_SE
	v_max_num_f32_e32 v2, v2, v2
	ds_bpermute_b32 v11, v11, v0
	s_wait_dscnt 0x0
	v_max_num_f32_e32 v11, v11, v11
	s_delay_alu instid0(VALU_DEP_1) | instskip(SKIP_3) | instid1(VALU_DEP_1)
	v_max_num_f32_e32 v0, v0, v11
	ds_bpermute_b32 v11, v12, v0
	s_wait_dscnt 0x0
	v_max_num_f32_e32 v11, v11, v11
	v_max_num_f32_e32 v0, v0, v11
	ds_bpermute_b32 v11, v13, v0
	v_max_num_f32_e32 v13, v20, v20
	s_wait_dscnt 0x0
	v_max_num_f32_e32 v11, v11, v11
	s_delay_alu instid0(VALU_DEP_1) | instskip(SKIP_2) | instid1(VALU_DEP_1)
	v_max_num_f32_e32 v0, v0, v11
	ds_bpermute_b32 v11, v14, v0
	v_dual_max_num_f32 v14, v1, v1 :: v_dual_max_num_f32 v1, v18, v18
	v_max_num_f32_e32 v1, v2, v1
	s_delay_alu instid0(VALU_DEP_2) | instskip(NEXT) | instid1(VALU_DEP_2)
	v_max_num_f32_e32 v2, v14, v13
	v_sub_f32_e32 v129, v7, v1
	v_sub_f32_e32 v7, v8, v1
	s_delay_alu instid0(VALU_DEP_3) | instskip(SKIP_1) | instid1(VALU_DEP_4)
	v_sub_f32_e32 v127, v6, v2
	v_sub_f32_e32 v6, v10, v2
	v_cmp_ngt_f32_e64 s8, 0xc2ce8ed0, v129
	v_cmp_nlt_f32_e64 s9, 0x42b17218, v129
	v_mul_f32_e32 v10, 0x3fb8aa3b, v7
	s_wait_dscnt 0x0
	v_max_num_f32_e32 v11, v11, v11
	s_delay_alu instid0(VALU_DEP_2) | instskip(NEXT) | instid1(VALU_DEP_2)
	v_fma_f32 v14, 0x3fb8aa3b, v7, -v10
	v_max_num_f32_e32 v11, v0, v11
	v_max_num_f32_e32 v0, v16, v16
	v_rndne_f32_e32 v16, v10
	s_delay_alu instid0(VALU_DEP_2)
	v_max_num_f32_e32 v0, v15, v0
	ds_bpermute_b32 v12, v17, v11
	v_add_nc_u32_e32 v15, v86, v84
	v_sub_f32_e32 v10, v10, v16
	v_fmac_f32_e32 v14, 0x32a5705f, v7
	v_sub_f32_e32 v128, v5, v0
	s_delay_alu instid0(VALU_DEP_2) | instskip(SKIP_1) | instid1(VALU_DEP_2)
	v_dual_sub_f32 v5, v3, v0 :: v_dual_add_f32 v10, v10, v14
	v_cvt_i32_f32_e32 v14, v16
	v_mul_f32_e32 v8, 0x3fb8aa3b, v5
	v_cmp_ngt_f32_e64 s10, 0xc2ce8ed0, v5
	v_cmp_nlt_f32_e64 s7, 0x42b17218, v128
	v_cmp_ngt_f32_e32 vcc_lo, 0xc2ce8ed0, v128
	v_exp_f32_e32 v10, v10
	v_rndne_f32_e32 v13, v8
	s_wait_dscnt 0x0
	v_max_num_f32_e32 v3, v12, v12
	v_fma_f32 v12, 0x3fb8aa3b, v5, -v8
	s_delay_alu instid0(VALU_DEP_3) | instskip(SKIP_2) | instid1(TRANS32_DEP_1)
	v_sub_f32_e32 v8, v8, v13
	v_cvt_i32_f32_e32 v13, v13
	v_cmp_ngt_f32_e64 s11, 0xc2ce8ed0, v127
	v_ldexp_f32 v10, v10, v14
	v_dual_fmac_f32 v12, 0x32a5705f, v5 :: v_dual_max_num_f32 v3, v11, v3
	s_delay_alu instid0(VALU_DEP_1) | instskip(SKIP_1) | instid1(VALU_DEP_2)
	v_dual_add_f32 v8, v8, v12 :: v_dual_sub_f32 v9, v9, v3
	v_sub_f32_e32 v130, v4, v3
	v_exp_f32_e32 v8, v8
	s_delay_alu instid0(VALU_DEP_2) | instskip(NEXT) | instid1(VALU_DEP_2)
	v_mul_f32_e32 v19, 0x3fb8aa3b, v9
	v_cmp_ngt_f32_e64 s13, 0xc2ce8ed0, v130
	v_cmp_nlt_f32_e64 s12, 0x42b17218, v130
	s_delay_alu instid0(VALU_DEP_3) | instskip(SKIP_2) | instid1(TRANS32_DEP_1)
	v_rndne_f32_e32 v21, v19
	v_mul_f32_e32 v11, 0x3fb8aa3b, v6
	v_fma_f32 v20, 0x3fb8aa3b, v9, -v19
	v_ldexp_f32 v8, v8, v13
	s_delay_alu instid0(VALU_DEP_4) | instskip(NEXT) | instid1(VALU_DEP_4)
	v_sub_f32_e32 v12, v19, v21
	v_fma_f32 v17, 0x3fb8aa3b, v6, -v11
	v_rndne_f32_e32 v18, v11
	v_fmac_f32_e32 v20, 0x32a5705f, v9
	s_wait_alu 0xf1ff
	v_cndmask_b32_e64 v8, 0, v8, s10
	v_cmp_ngt_f32_e64 s10, 0xc2ce8ed0, v7
	v_fmac_f32_e32 v17, 0x32a5705f, v6
	v_dual_sub_f32 v11, v11, v18 :: v_dual_add_f32 v12, v12, v20
	v_cvt_i32_f32_e32 v16, v18
	v_cvt_i32_f32_e32 v13, v21
	s_wait_alu 0xf1ff
	v_cndmask_b32_e64 v10, 0, v10, s10
	v_add_f32_e32 v11, v11, v17
	v_exp_f32_e32 v12, v12
	v_cmp_ngt_f32_e64 s10, 0xc2ce8ed0, v6
	s_delay_alu instid0(VALU_DEP_2) | instskip(NEXT) | instid1(TRANS32_DEP_2)
	v_exp_f32_e32 v11, v11
	v_ldexp_f32 v12, v12, v13
	s_delay_alu instid0(TRANS32_DEP_1) | instskip(SKIP_1) | instid1(VALU_DEP_1)
	v_ldexp_f32 v11, v11, v16
	s_wait_alu 0xf1ff
	v_cndmask_b32_e64 v11, 0, v11, s10
	v_cmp_ngt_f32_e64 s10, 0xc2ce8ed0, v9
	s_wait_alu 0xf1ff
	s_delay_alu instid0(VALU_DEP_1) | instskip(SKIP_2) | instid1(VALU_DEP_1)
	v_cndmask_b32_e64 v12, 0, v12, s10
	v_cmp_nlt_f32_e64 s10, 0x42b17218, v5
	s_wait_alu 0xf1ff
	v_cndmask_b32_e64 v103, 0x7f800000, v8, s10
	v_cmp_nlt_f32_e64 s10, 0x42b17218, v6
	s_delay_alu instid0(VALU_DEP_2) | instskip(SKIP_1) | instid1(VALU_DEP_2)
	v_cvt_f16_f32_e32 v6, v103
	s_wait_alu 0xf1ff
	v_cndmask_b32_e64 v102, 0x7f800000, v11, s10
	v_cmp_nlt_f32_e64 s10, 0x42b17218, v9
	s_delay_alu instid0(VALU_DEP_2) | instskip(SKIP_1) | instid1(VALU_DEP_2)
	v_cvt_f16_f32_e32 v5, v102
	;; [unrolled: 5-line block ×3, first 2 shown]
	s_wait_alu 0xf1ff
	v_cndmask_b32_e64 v104, 0x7f800000, v10, s10
	v_cmp_nlt_f32_e64 s10, 0x42b17218, v127
	s_delay_alu instid0(VALU_DEP_3) | instskip(NEXT) | instid1(VALU_DEP_3)
	v_pack_b32_f16 v5, v5, v4
	v_cvt_f16_f32_e32 v7, v104
	s_delay_alu instid0(VALU_DEP_1)
	v_pack_b32_f16 v4, v6, v7
	ds_store_b64 v15, v[4:5]
	s_and_saveexec_b32 s41, s5
	s_cbranch_execz .LBB56_34
; %bb.33:                               ;   in Loop: Header=BB56_16 Depth=1
	s_wait_alu 0xfffe
	v_add_co_u32 v4, s14, s50, v73
	s_wait_alu 0xf1ff
	v_add_co_ci_u32_e64 v5, null, s51, v74, s14
	s_delay_alu instid0(VALU_DEP_2) | instskip(SKIP_1) | instid1(VALU_DEP_2)
	v_add_co_u32 v4, s14, v4, v118
	s_wait_alu 0xf1ff
	v_add_co_ci_u32_e64 v5, null, 0, v5, s14
	global_load_b128 v[4:7], v[4:5], off offset:128
	s_wait_loadcnt 0x0
	ds_store_b128 v115, v[4:7]
.LBB56_34:                              ;   in Loop: Header=BB56_16 Depth=1
	s_wait_alu 0xfffe
	s_or_b32 exec_lo, exec_lo, s41
	v_lshlrev_b32_e32 v131, 2, v96
	s_and_saveexec_b32 s41, s6
	s_cbranch_execz .LBB56_36
; %bb.35:                               ;   in Loop: Header=BB56_16 Depth=1
	v_add_co_u32 v4, s14, s50, v75
	s_wait_alu 0xf1ff
	v_add_co_ci_u32_e64 v5, null, s51, v76, s14
	s_delay_alu instid0(VALU_DEP_2) | instskip(SKIP_1) | instid1(VALU_DEP_2)
	v_add_co_u32 v4, s14, v4, v131
	s_wait_alu 0xf1ff
	v_add_co_ci_u32_e64 v5, null, 0, v5, s14
	global_load_b128 v[4:7], v[4:5], off
	s_wait_loadcnt 0x0
	ds_store_b128 v116, v[4:7]
.LBB56_36:                              ;   in Loop: Header=BB56_16 Depth=1
	s_wait_alu 0xfffe
	s_or_b32 exec_lo, exec_lo, s41
	v_add_nc_u32_e32 v126, 0x1800, v84
	v_add_nc_u32_e32 v125, 0x1c00, v84
	v_add_nc_u32_e32 v124, 0x2000, v84
	s_wait_loadcnt_dscnt 0x0
	s_barrier_signal -1
	s_barrier_wait -1
	global_inv scope:SCOPE_SE
	ds_load_2addr_b64 v[32:35], v126 offset1:24
	ds_load_b128 v[64:67], v86
	ds_load_b128 v[60:63], v86 offset:16
	ds_load_b128 v[56:59], v86 offset:32
	;; [unrolled: 1-line block ×3, first 2 shown]
	ds_load_2addr_b64 v[28:31], v126 offset0:48 offset1:72
	ds_load_2addr_b64 v[24:27], v126 offset0:96 offset1:120
	;; [unrolled: 1-line block ×5, first 2 shown]
	ds_load_b128 v[48:51], v86 offset:64
	ds_load_b128 v[44:47], v86 offset:80
	ds_load_2addr_b64 v[8:11], v124 offset0:32 offset1:56
	ds_load_2addr_b64 v[4:7], v124 offset0:80 offset1:104
	ds_load_b128 v[40:43], v86 offset:96
	ds_load_b128 v[36:39], v86 offset:112
	s_or_b32 s50, s40, 16
	s_wait_loadcnt_dscnt 0x0
	s_wait_alu 0xfffe
	s_ashr_i32 s51, s50, 31
	s_barrier_signal -1
	s_wait_alu 0xfffe
	s_mul_u64 s[50:51], s[50:51], s[36:37]
	s_barrier_wait -1
	s_wait_alu 0xfffe
	s_lshl_b64 s[50:51], s[50:51], 2
	global_inv scope:SCOPE_SE
	s_wait_alu 0xfffe
	s_add_nc_u64 s[50:51], s[38:39], s[50:51]
	s_and_saveexec_b32 s41, s5
	s_cbranch_execz .LBB56_38
; %bb.37:                               ;   in Loop: Header=BB56_16 Depth=1
	s_wait_alu 0xfffe
	v_add_co_u32 v132, s14, s50, v73
	s_wait_alu 0xf1ff
	v_add_co_ci_u32_e64 v133, null, s51, v74, s14
	s_delay_alu instid0(VALU_DEP_2) | instskip(SKIP_1) | instid1(VALU_DEP_2)
	v_add_co_u32 v132, s14, v132, v118
	s_wait_alu 0xf1ff
	v_add_co_ci_u32_e64 v133, null, 0, v133, s14
	global_load_b128 v[132:135], v[132:133], off offset:128
	s_wait_loadcnt 0x0
	ds_store_b128 v115, v[132:135]
.LBB56_38:                              ;   in Loop: Header=BB56_16 Depth=1
	s_wait_alu 0xfffe
	s_or_b32 exec_lo, exec_lo, s41
	s_and_saveexec_b32 s41, s6
	s_cbranch_execz .LBB56_40
; %bb.39:                               ;   in Loop: Header=BB56_16 Depth=1
	v_add_co_u32 v132, s14, s50, v75
	s_wait_alu 0xf1ff
	v_add_co_ci_u32_e64 v133, null, s51, v76, s14
	s_delay_alu instid0(VALU_DEP_2) | instskip(SKIP_1) | instid1(VALU_DEP_2)
	v_add_co_u32 v131, s14, v132, v131
	s_wait_alu 0xf1ff
	v_add_co_ci_u32_e64 v132, null, 0, v133, s14
	global_load_b128 v[131:134], v[131:132], off
	s_wait_loadcnt 0x0
	ds_store_b128 v116, v[131:134]
.LBB56_40:                              ;   in Loop: Header=BB56_16 Depth=1
	s_wait_alu 0xfffe
	s_or_b32 exec_lo, exec_lo, s41
	v_dual_mul_f32 v131, 0x3fb8aa3b, v128 :: v_dual_mul_f32 v132, 0x3fb8aa3b, v129
	v_and_b32_e32 v141, 0xffff, v54
	v_lshrrev_b32_e32 v54, 16, v54
	v_and_b32_e32 v142, 0xffff, v55
	s_delay_alu instid0(VALU_DEP_4)
	v_fma_f32 v134, 0x3fb8aa3b, v128, -v131
	v_rndne_f32_e32 v135, v131
	v_fma_f32 v136, 0x3fb8aa3b, v129, -v132
	v_mul_f32_e32 v137, 0x3fb8aa3b, v130
	v_rndne_f32_e32 v138, v132
	v_mul_f32_e32 v133, 0x3fb8aa3b, v127
	v_lshrrev_b32_e32 v55, 16, v55
	v_mul_u32_u24_e32 v141, 0x10001, v141
	v_mul_u32_u24_e32 v54, 0x10001, v54
	v_sub_f32_e32 v132, v132, v138
	v_fmac_f32_e32 v136, 0x32a5705f, v129
	v_fma_f32 v129, 0x3fb8aa3b, v127, -v133
	v_fmac_f32_e32 v134, 0x32a5705f, v128
	v_sub_f32_e32 v128, v131, v135
	v_rndne_f32_e32 v131, v133
	v_fma_f32 v139, 0x3fb8aa3b, v130, -v137
	v_rndne_f32_e32 v140, v137
	v_fmac_f32_e32 v129, 0x32a5705f, v127
	v_mul_u32_u24_e32 v142, 0x10001, v142
	v_sub_f32_e32 v127, v133, v131
	s_delay_alu instid0(VALU_DEP_4) | instskip(SKIP_1) | instid1(VALU_DEP_3)
	v_dual_fmac_f32 v139, 0x32a5705f, v130 :: v_dual_sub_f32 v130, v137, v140
	v_add_f32_e32 v128, v128, v134
	v_dual_add_f32 v132, v132, v136 :: v_dual_add_f32 v127, v127, v129
	v_cvt_i32_f32_e32 v133, v138
	s_delay_alu instid0(VALU_DEP_4) | instskip(NEXT) | instid1(VALU_DEP_4)
	v_add_f32_e32 v129, v130, v139
	v_exp_f32_e32 v128, v128
	s_delay_alu instid0(VALU_DEP_3)
	v_exp_f32_e32 v130, v132
	v_exp_f32_e32 v127, v127
	v_cvt_i32_f32_e32 v132, v135
	v_exp_f32_e32 v129, v129
	v_cvt_i32_f32_e32 v131, v131
	v_cvt_i32_f32_e32 v134, v140
	v_and_b32_e32 v135, 0xffff, v56
	v_lshrrev_b32_e32 v56, 16, v56
	v_and_b32_e32 v136, 0xffff, v57
	v_ldexp_f32 v128, v128, v132
	v_ldexp_f32 v130, v130, v133
	;; [unrolled: 1-line block ×3, first 2 shown]
	v_and_b32_e32 v131, 0xffff, v60
	v_ldexp_f32 v129, v129, v134
	s_wait_alu 0xfffd
	v_cndmask_b32_e32 v128, 0, v128, vcc_lo
	v_cndmask_b32_e64 v130, 0, v130, s8
	v_cndmask_b32_e64 v127, 0, v127, s11
	v_lshrrev_b32_e32 v60, 16, v60
	v_cndmask_b32_e64 v129, 0, v129, s13
	v_cndmask_b32_e64 v128, 0x7f800000, v128, s7
	;; [unrolled: 1-line block ×4, first 2 shown]
	v_and_b32_e32 v132, 0xffff, v61
	v_cndmask_b32_e64 v129, 0x7f800000, v129, s12
	s_delay_alu instid0(VALU_DEP_4)
	v_dual_fmac_f32 v103, v123, v128 :: v_dual_fmac_f32 v104, v122, v130
	v_cvt_f16_f32_e64 v123, v128
	v_cvt_f16_f32_e64 v128, v130
	v_cvt_f16_f32_e32 v122, v127
	v_fmac_f32_e32 v102, v121, v127
	v_cvt_f16_f32_e64 v127, v129
	v_and_b32_e32 v121, 0xffff, v123
	v_and_b32_e32 v123, 0xffff, v128
	v_dual_fmac_f32 v101, v120, v129 :: v_dual_and_b32 v122, 0xffff, v122
	v_and_b32_e32 v128, 0xffff, v65
	s_delay_alu instid0(VALU_DEP_4) | instskip(NEXT) | instid1(VALU_DEP_4)
	v_mul_u32_u24_e32 v120, 0x10001, v121
	v_mul_u32_u24_e32 v121, 0x10001, v123
	v_and_b32_e32 v123, 0xffff, v127
	v_and_b32_e32 v127, 0xffff, v64
	v_lshrrev_b32_e32 v64, 16, v64
	v_lshrrev_b32_e32 v65, 16, v65
	v_mul_u32_u24_e32 v128, 0x10001, v128
	v_mul_u32_u24_e32 v123, 0x10001, v123
	;; [unrolled: 1-line block ×5, first 2 shown]
	v_and_b32_e32 v129, 0xffff, v66
	v_lshrrev_b32_e32 v66, 16, v66
	v_and_b32_e32 v130, 0xffff, v67
	v_mul_u32_u24_e32 v65, 0x10001, v65
	v_lshrrev_b32_e32 v67, 16, v67
	v_pk_mul_f16 v94, v94, v120
	v_pk_mul_f16 v92, v92, v121
	;; [unrolled: 1-line block ×6, first 2 shown]
	v_mul_u32_u24_e32 v129, 0x10001, v129
	v_mul_u32_u24_e32 v66, 0x10001, v66
	;; [unrolled: 1-line block ×4, first 2 shown]
	v_lshrrev_b32_e32 v61, 16, v61
	v_pk_mul_f16 v90, v90, v122
	v_pk_mul_f16 v87, v87, v123
	v_pk_fma_f16 v93, v93, v120, v159
	v_pk_fma_f16 v91, v91, v121, v160
	;; [unrolled: 1-line block ×6, first 2 shown]
	v_mul_u32_u24_e32 v131, 0x10001, v131
	v_mul_u32_u24_e32 v60, 0x10001, v60
	;; [unrolled: 1-line block ×3, first 2 shown]
	v_and_b32_e32 v133, 0xffff, v62
	v_lshrrev_b32_e32 v62, 16, v62
	v_and_b32_e32 v134, 0xffff, v63
	v_mul_u32_u24_e32 v61, 0x10001, v61
	v_lshrrev_b32_e32 v63, 16, v63
	v_pk_fma_f16 v90, v33, v128, v90
	v_pk_fma_f16 v33, v33, v65, v87
	;; [unrolled: 1-line block ×8, first 2 shown]
	v_mul_u32_u24_e32 v133, 0x10001, v133
	v_mul_u32_u24_e32 v62, 0x10001, v62
	;; [unrolled: 1-line block ×4, first 2 shown]
	v_lshrrev_b32_e32 v57, 16, v57
	v_pk_fma_f16 v66, v35, v130, v90
	v_pk_fma_f16 v33, v35, v67, v33
	;; [unrolled: 1-line block ×8, first 2 shown]
	v_mul_u32_u24_e32 v135, 0x10001, v135
	v_mul_u32_u24_e32 v56, 0x10001, v56
	;; [unrolled: 1-line block ×3, first 2 shown]
	v_and_b32_e32 v137, 0xffff, v58
	v_lshrrev_b32_e32 v58, 16, v58
	v_and_b32_e32 v138, 0xffff, v59
	v_mul_u32_u24_e32 v57, 0x10001, v57
	v_lshrrev_b32_e32 v59, 16, v59
	v_pk_fma_f16 v60, v29, v132, v66
	v_pk_fma_f16 v29, v29, v61, v33
	;; [unrolled: 1-line block ×8, first 2 shown]
	v_mul_u32_u24_e32 v137, 0x10001, v137
	v_mul_u32_u24_e32 v58, 0x10001, v58
	;; [unrolled: 1-line block ×3, first 2 shown]
	v_and_b32_e32 v139, 0xffff, v52
	v_lshrrev_b32_e32 v52, 16, v52
	v_and_b32_e32 v140, 0xffff, v53
	v_mul_u32_u24_e32 v59, 0x10001, v59
	v_lshrrev_b32_e32 v53, 16, v53
	v_pk_fma_f16 v34, v31, v134, v60
	v_pk_fma_f16 v29, v31, v63, v29
	;; [unrolled: 1-line block ×8, first 2 shown]
	v_mul_u32_u24_e32 v139, 0x10001, v139
	v_mul_u32_u24_e32 v52, 0x10001, v52
	v_mul_u32_u24_e32 v140, 0x10001, v140
	v_mul_u32_u24_e32 v53, 0x10001, v53
	v_pk_fma_f16 v32, v25, v136, v34
	v_pk_fma_f16 v25, v25, v57, v29
	;; [unrolled: 1-line block ×8, first 2 shown]
	v_and_b32_e32 v143, 0xffff, v48
	v_lshrrev_b32_e32 v48, 16, v48
	v_and_b32_e32 v144, 0xffff, v49
	v_mul_u32_u24_e32 v55, 0x10001, v55
	v_lshrrev_b32_e32 v49, 16, v49
	v_pk_fma_f16 v30, v27, v138, v32
	v_pk_fma_f16 v25, v27, v59, v25
	v_pk_fma_f16 v27, v20, v139, v29
	v_pk_fma_f16 v29, v20, v52, v31
	v_pk_fma_f16 v31, v20, v140, v33
	v_pk_fma_f16 v20, v20, v53, v24
	v_pk_fma_f16 v24, v21, v139, v26
	v_pk_fma_f16 v26, v21, v52, v28
	v_mul_u32_u24_e32 v143, 0x10001, v143
	v_mul_u32_u24_e32 v48, 0x10001, v48
	v_mul_u32_u24_e32 v144, 0x10001, v144
	v_and_b32_e32 v145, 0xffff, v50
	v_lshrrev_b32_e32 v50, 16, v50
	v_and_b32_e32 v146, 0xffff, v51
	v_mul_u32_u24_e32 v49, 0x10001, v49
	v_lshrrev_b32_e32 v51, 16, v51
	v_pk_fma_f16 v28, v21, v140, v30
	v_pk_fma_f16 v21, v21, v53, v25
	v_pk_fma_f16 v25, v22, v141, v27
	v_pk_fma_f16 v27, v22, v54, v29
	v_pk_fma_f16 v29, v22, v142, v31
	v_pk_fma_f16 v20, v22, v55, v20
	v_pk_fma_f16 v22, v23, v141, v24
	v_pk_fma_f16 v24, v23, v54, v26
	v_mul_u32_u24_e32 v145, 0x10001, v145
	v_mul_u32_u24_e32 v50, 0x10001, v50
	v_mul_u32_u24_e32 v146, 0x10001, v146
	;; [unrolled: 16-line block ×6, first 2 shown]
	v_mul_u32_u24_e32 v43, 0x10001, v43
	v_pk_fma_f16 v18, v15, v150, v20
	v_pk_fma_f16 v13, v15, v47, v13
	v_pk_fma_f16 v15, v8, v151, v17
	v_pk_fma_f16 v17, v8, v40, v19
	v_pk_fma_f16 v19, v8, v152, v21
	v_pk_fma_f16 v8, v8, v41, v12
	v_pk_fma_f16 v12, v9, v151, v14
	v_pk_fma_f16 v14, v9, v40, v16
	v_and_b32_e32 v155, 0xffff, v36
	v_lshrrev_b32_e32 v36, 16, v36
	v_and_b32_e32 v156, 0xffff, v37
	v_lshrrev_b32_e32 v37, 16, v37
	v_pk_fma_f16 v16, v9, v152, v18
	v_pk_fma_f16 v9, v9, v41, v13
	;; [unrolled: 1-line block ×8, first 2 shown]
	s_wait_loadcnt_dscnt 0x0
	s_barrier_signal -1
	s_barrier_wait -1
	global_inv scope:SCOPE_SE
	ds_load_b128 v[12:15], v86 offset:128
	v_mul_u32_u24_e32 v155, 0x10001, v155
	v_mul_u32_u24_e32 v36, 0x10001, v36
	;; [unrolled: 1-line block ×4, first 2 shown]
	v_pk_fma_f16 v16, v11, v154, v16
	v_pk_fma_f16 v9, v11, v43, v9
	v_and_b32_e32 v157, 0xffff, v38
	v_lshrrev_b32_e32 v38, 16, v38
	v_and_b32_e32 v158, 0xffff, v39
	v_lshrrev_b32_e32 v39, 16, v39
	v_pk_fma_f16 v18, v4, v155, v18
	v_pk_fma_f16 v17, v4, v36, v17
	;; [unrolled: 1-line block ×8, first 2 shown]
	ds_load_2addr_b64 v[8:11], v126 offset1:24
	v_mul_u32_u24_e32 v157, 0x10001, v157
	v_mul_u32_u24_e32 v38, 0x10001, v38
	;; [unrolled: 1-line block ×4, first 2 shown]
	s_delay_alu instid0(VALU_DEP_4) | instskip(NEXT) | instid1(VALU_DEP_4)
	v_pk_fma_f16 v24, v6, v157, v18
	v_pk_fma_f16 v25, v6, v38, v17
	s_delay_alu instid0(VALU_DEP_4) | instskip(NEXT) | instid1(VALU_DEP_4)
	v_pk_fma_f16 v26, v6, v158, v19
	v_pk_fma_f16 v27, v6, v39, v4
	;; [unrolled: 1-line block ×3, first 2 shown]
	ds_load_b128 v[16:19], v86 offset:144
	s_wait_dscnt 0x2
	v_and_b32_e32 v4, 0xffff, v12
	v_lshrrev_b32_e32 v6, 16, v12
	v_and_b32_e32 v12, 0xffff, v13
	v_lshrrev_b32_e32 v13, 16, v13
	v_pk_fma_f16 v28, v7, v157, v21
	v_pk_fma_f16 v29, v7, v38, v20
	v_mul_u32_u24_e32 v32, 0x10001, v4
	v_mul_u32_u24_e32 v33, 0x10001, v6
	;; [unrolled: 1-line block ×4, first 2 shown]
	v_and_b32_e32 v13, 0xffff, v14
	v_lshrrev_b32_e32 v14, 16, v14
	v_pk_fma_f16 v31, v7, v39, v5
	ds_load_b128 v[4:7], v86 offset:160
	ds_load_b128 v[20:23], v86 offset:176
	s_wait_dscnt 0x3
	v_pk_fma_f16 v24, v8, v32, v24
	v_pk_fma_f16 v25, v8, v33, v25
	;; [unrolled: 1-line block ×7, first 2 shown]
	v_and_b32_e32 v30, 0xffff, v15
	v_lshrrev_b32_e32 v32, 16, v15
	v_mul_u32_u24_e32 v33, 0x10001, v13
	v_mul_u32_u24_e32 v35, 0x10001, v14
	ds_load_2addr_b64 v[12:15], v126 offset0:48 offset1:72
	v_mul_u32_u24_e32 v30, 0x10001, v30
	v_mul_u32_u24_e32 v32, 0x10001, v32
	v_pk_fma_f16 v9, v9, v34, v31
	v_pk_fma_f16 v24, v10, v33, v24
	;; [unrolled: 1-line block ×7, first 2 shown]
	s_wait_dscnt 0x3
	v_and_b32_e32 v28, 0xffff, v16
	v_lshrrev_b32_e32 v16, 16, v16
	v_and_b32_e32 v31, 0xffff, v17
	v_lshrrev_b32_e32 v17, 16, v17
	v_pk_fma_f16 v29, v11, v30, v29
	v_mul_u32_u24_e32 v28, 0x10001, v28
	v_mul_u32_u24_e32 v16, 0x10001, v16
	;; [unrolled: 1-line block ×4, first 2 shown]
	v_pk_fma_f16 v31, v11, v32, v9
	s_wait_dscnt 0x0
	v_pk_fma_f16 v24, v12, v28, v24
	v_pk_fma_f16 v25, v12, v16, v25
	;; [unrolled: 1-line block ×4, first 2 shown]
	v_and_b32_e32 v8, 0xffff, v18
	v_lshrrev_b32_e32 v9, 16, v18
	v_pk_fma_f16 v28, v13, v28, v10
	v_pk_fma_f16 v16, v13, v16, v27
	;; [unrolled: 1-line block ×3, first 2 shown]
	v_and_b32_e32 v27, 0xffff, v19
	v_lshrrev_b32_e32 v19, 16, v19
	v_mul_u32_u24_e32 v29, 0x10001, v8
	v_mul_u32_u24_e32 v30, 0x10001, v9
	ds_load_2addr_b64 v[8:11], v126 offset0:96 offset1:120
	v_mul_u32_u24_e32 v27, 0x10001, v27
	v_mul_u32_u24_e32 v19, 0x10001, v19
	v_pk_fma_f16 v13, v13, v17, v31
	v_pk_fma_f16 v17, v14, v29, v24
	;; [unrolled: 1-line block ×6, first 2 shown]
	v_and_b32_e32 v26, 0xffff, v4
	v_lshrrev_b32_e32 v4, 16, v4
	v_and_b32_e32 v28, 0xffff, v5
	v_lshrrev_b32_e32 v5, 16, v5
	v_pk_fma_f16 v16, v15, v30, v16
	v_pk_fma_f16 v18, v15, v27, v18
	v_mul_u32_u24_e32 v26, 0x10001, v26
	v_mul_u32_u24_e32 v4, 0x10001, v4
	;; [unrolled: 1-line block ×4, first 2 shown]
	v_pk_fma_f16 v13, v15, v19, v13
	s_wait_dscnt 0x0
	v_pk_fma_f16 v15, v8, v26, v17
	v_pk_fma_f16 v17, v8, v4, v24
	;; [unrolled: 1-line block ×6, first 2 shown]
	v_and_b32_e32 v4, 0xffff, v6
	v_lshrrev_b32_e32 v5, 16, v6
	v_pk_fma_f16 v16, v9, v27, v18
	v_and_b32_e32 v18, 0xffff, v7
	v_lshrrev_b32_e32 v24, 16, v7
	v_mul_u32_u24_e32 v25, 0x10001, v4
	v_mul_u32_u24_e32 v26, 0x10001, v5
	ds_load_2addr_b64 v[4:7], v126 offset0:144 offset1:168
	v_mul_u32_u24_e32 v18, 0x10001, v18
	v_mul_u32_u24_e32 v24, 0x10001, v24
	v_pk_fma_f16 v9, v9, v28, v13
	v_pk_fma_f16 v13, v10, v25, v15
	;; [unrolled: 1-line block ×7, first 2 shown]
	v_and_b32_e32 v14, 0xffff, v20
	v_lshrrev_b32_e32 v19, 16, v20
	v_and_b32_e32 v20, 0xffff, v21
	v_lshrrev_b32_e32 v21, 16, v21
	v_pk_fma_f16 v16, v11, v18, v16
	v_mul_u32_u24_e32 v14, 0x10001, v14
	v_mul_u32_u24_e32 v18, 0x10001, v19
	;; [unrolled: 1-line block ×4, first 2 shown]
	v_pk_fma_f16 v21, v11, v24, v9
	s_wait_dscnt 0x0
	v_pk_fma_f16 v24, v4, v14, v13
	v_pk_fma_f16 v25, v4, v18, v15
	;; [unrolled: 1-line block ×5, first 2 shown]
	ds_load_b128 v[8:11], v86 offset:192
	v_pk_fma_f16 v18, v5, v18, v12
	v_and_b32_e32 v12, 0xffff, v22
	v_lshrrev_b32_e32 v13, 16, v22
	v_and_b32_e32 v14, 0xffff, v23
	v_pk_fma_f16 v22, v5, v19, v16
	v_lshrrev_b32_e32 v16, 16, v23
	v_mul_u32_u24_e32 v19, 0x10001, v12
	v_mul_u32_u24_e32 v23, 0x10001, v13
	;; [unrolled: 1-line block ×3, first 2 shown]
	ds_load_2addr_b64 v[12:15], v126 offset0:192 offset1:216
	v_mul_u32_u24_e32 v28, 0x10001, v16
	v_pk_fma_f16 v5, v5, v20, v21
	v_pk_fma_f16 v20, v6, v19, v24
	;; [unrolled: 1-line block ×7, first 2 shown]
	ds_load_b128 v[16:19], v86 offset:208
	s_wait_dscnt 0x2
	v_and_b32_e32 v25, 0xffff, v8
	v_lshrrev_b32_e32 v8, 16, v8
	v_and_b32_e32 v26, 0xffff, v9
	v_lshrrev_b32_e32 v9, 16, v9
	v_pk_fma_f16 v22, v7, v27, v22
	v_mul_u32_u24_e32 v25, 0x10001, v25
	v_mul_u32_u24_e32 v8, 0x10001, v8
	;; [unrolled: 1-line block ×4, first 2 shown]
	v_pk_fma_f16 v27, v7, v28, v5
	s_wait_dscnt 0x1
	v_pk_fma_f16 v20, v12, v25, v20
	v_pk_fma_f16 v21, v12, v8, v21
	;; [unrolled: 1-line block ×4, first 2 shown]
	v_and_b32_e32 v4, 0xffff, v10
	v_lshrrev_b32_e32 v5, 16, v10
	v_pk_fma_f16 v25, v13, v25, v6
	v_pk_fma_f16 v8, v13, v8, v23
	;; [unrolled: 1-line block ×3, first 2 shown]
	v_and_b32_e32 v22, 0xffff, v11
	v_lshrrev_b32_e32 v11, 16, v11
	v_mul_u32_u24_e32 v23, 0x10001, v4
	v_mul_u32_u24_e32 v26, 0x10001, v5
	ds_load_2addr_b64 v[4:7], v125 offset0:112 offset1:136
	v_mul_u32_u24_e32 v22, 0x10001, v22
	v_mul_u32_u24_e32 v11, 0x10001, v11
	v_pk_fma_f16 v9, v13, v9, v27
	v_pk_fma_f16 v13, v14, v23, v20
	;; [unrolled: 1-line block ×7, first 2 shown]
	s_wait_dscnt 0x1
	v_and_b32_e32 v8, 0xffff, v16
	v_lshrrev_b32_e32 v16, 16, v16
	v_and_b32_e32 v24, 0xffff, v17
	v_lshrrev_b32_e32 v17, 16, v17
	v_pk_fma_f16 v22, v15, v22, v10
	v_mul_u32_u24_e32 v8, 0x10001, v8
	v_mul_u32_u24_e32 v16, 0x10001, v16
	;; [unrolled: 1-line block ×4, first 2 shown]
	v_pk_fma_f16 v25, v15, v11, v9
	s_wait_dscnt 0x0
	v_pk_fma_f16 v26, v4, v8, v13
	v_pk_fma_f16 v27, v5, v8, v14
	ds_load_b128 v[8:11], v86 offset:224
	v_pk_fma_f16 v20, v4, v16, v20
	v_pk_fma_f16 v21, v4, v24, v21
	;; [unrolled: 1-line block ×3, first 2 shown]
	v_and_b32_e32 v12, 0xffff, v18
	v_lshrrev_b32_e32 v13, 16, v18
	v_and_b32_e32 v14, 0xffff, v19
	v_pk_fma_f16 v16, v5, v16, v23
	v_pk_fma_f16 v22, v5, v24, v22
	v_lshrrev_b32_e32 v18, 16, v19
	v_mul_u32_u24_e32 v19, 0x10001, v12
	v_mul_u32_u24_e32 v23, 0x10001, v13
	;; [unrolled: 1-line block ×3, first 2 shown]
	ds_load_2addr_b64 v[12:15], v124 offset0:32 offset1:56
	v_mul_u32_u24_e32 v28, 0x10001, v18
	v_pk_fma_f16 v5, v5, v17, v25
	v_pk_fma_f16 v25, v6, v19, v26
	;; [unrolled: 1-line block ×7, first 2 shown]
	ds_load_b128 v[16:19], v86 offset:240
	s_wait_dscnt 0x2
	v_and_b32_e32 v26, 0xffff, v8
	v_lshrrev_b32_e32 v8, 16, v8
	v_and_b32_e32 v27, 0xffff, v9
	v_lshrrev_b32_e32 v9, 16, v9
	v_pk_fma_f16 v22, v7, v24, v22
	v_mul_u32_u24_e32 v24, 0x10001, v26
	v_mul_u32_u24_e32 v8, 0x10001, v8
	;; [unrolled: 1-line block ×4, first 2 shown]
	v_pk_fma_f16 v27, v7, v28, v5
	s_wait_dscnt 0x1
	v_pk_fma_f16 v25, v12, v24, v25
	v_pk_fma_f16 v20, v12, v8, v20
	;; [unrolled: 1-line block ×4, first 2 shown]
	v_and_b32_e32 v4, 0xffff, v10
	v_lshrrev_b32_e32 v5, 16, v10
	v_pk_fma_f16 v24, v13, v24, v6
	v_pk_fma_f16 v8, v13, v8, v23
	;; [unrolled: 1-line block ×3, first 2 shown]
	v_and_b32_e32 v22, 0xffff, v11
	v_lshrrev_b32_e32 v11, 16, v11
	v_mul_u32_u24_e32 v23, 0x10001, v4
	v_mul_u32_u24_e32 v26, 0x10001, v5
	ds_load_2addr_b64 v[4:7], v124 offset0:80 offset1:104
	v_mul_u32_u24_e32 v22, 0x10001, v22
	v_mul_u32_u24_e32 v11, 0x10001, v11
	s_wait_loadcnt_dscnt 0x0
	s_barrier_signal -1
	s_barrier_wait -1
	global_inv scope:SCOPE_SE
	s_load_b32 s7, s[48:49], 0x4
	v_pk_fma_f16 v9, v13, v9, v27
	v_pk_fma_f16 v13, v14, v23, v25
	;; [unrolled: 1-line block ×6, first 2 shown]
	v_and_b32_e32 v23, 0xffff, v16
	v_lshrrev_b32_e32 v16, 16, v16
	v_and_b32_e32 v24, 0xffff, v17
	v_lshrrev_b32_e32 v17, 16, v17
	v_pk_fma_f16 v8, v15, v26, v8
	v_pk_fma_f16 v10, v15, v22, v10
	v_mul_u32_u24_e32 v22, 0x10001, v23
	v_mul_u32_u24_e32 v16, 0x10001, v16
	;; [unrolled: 1-line block ×4, first 2 shown]
	v_pk_fma_f16 v9, v15, v11, v9
	v_pk_fma_f16 v11, v4, v22, v13
	;; [unrolled: 1-line block ×7, first 2 shown]
	v_and_b32_e32 v14, 0xffff, v18
	v_lshrrev_b32_e32 v16, 16, v18
	v_and_b32_e32 v18, 0xffff, v19
	v_lshrrev_b32_e32 v19, 16, v19
	v_pk_fma_f16 v10, v5, v23, v10
	v_mul_u32_u24_e32 v14, 0x10001, v14
	v_mul_u32_u24_e32 v16, 0x10001, v16
	v_mul_u32_u24_e32 v18, 0x10001, v18
	v_mul_u32_u24_e32 v19, 0x10001, v19
	v_pk_fma_f16 v5, v5, v17, v9
	s_wait_kmcnt 0x0
	s_lshl_b32 s7, s7, 5
	v_pk_fma_f16 v93, v6, v14, v11
	v_pk_fma_f16 v91, v6, v16, v13
	v_pk_fma_f16 v89, v6, v18, v15
	v_pk_fma_f16 v88, v6, v19, v4
	v_pk_fma_f16 v94, v7, v14, v12
	v_pk_fma_f16 v92, v7, v16, v8
	v_pk_fma_f16 v90, v7, v18, v10
	v_pk_fma_f16 v87, v7, v19, v5
	s_wait_alu 0xfffe
	s_add_co_i32 s40, s7, s40
	s_wait_alu 0xfffe
	s_cmp_lt_i32 s40, s31
	s_cbranch_scc0 .LBB56_43
; %bb.41:                               ;   in Loop: Header=BB56_16 Depth=1
	v_dual_mov_b32 v5, v0 :: v_dual_mov_b32 v6, v2
	v_dual_mov_b32 v7, v1 :: v_dual_mov_b32 v4, v3
	;; [unrolled: 1-line block ×4, first 2 shown]
	s_branch .LBB56_16
.LBB56_42:
	v_dual_mov_b32 v0, 0xfeffffff :: v_dual_mov_b32 v93, 0
	v_mov_b32_e32 v101, 0
	v_dual_mov_b32 v103, 0 :: v_dual_mov_b32 v94, 0
	s_delay_alu instid0(VALU_DEP_3)
	v_dual_mov_b32 v1, v0 :: v_dual_mov_b32 v102, 0
	v_dual_mov_b32 v2, v0 :: v_dual_mov_b32 v3, v0
	;; [unrolled: 1-line block ×4, first 2 shown]
	v_mov_b32_e32 v90, 0
	v_dual_mov_b32 v88, 0 :: v_dual_mov_b32 v87, 0
.LBB56_43:
	s_cmp_gt_i32 s42, s40
	s_cbranch_scc1 .LBB56_46
; %bb.44:
	v_mbcnt_lo_u32_b32 v4, -1, 0
	v_mov_b32_e32 v42, 32
	s_delay_alu instid0(VALU_DEP_2)
	v_xor_b32_e32 v47, 16, v4
	v_xor_b32_e32 v46, 8, v4
	;; [unrolled: 1-line block ×5, first 2 shown]
	s_cbranch_execz .LBB56_47
; %bb.45:
	v_mov_b32_e32 v85, v4
	s_branch .LBB56_84
.LBB56_46:
                                        ; implicit-def: $vgpr4
                                        ; implicit-def: $vgpr42
                                        ; implicit-def: $vgpr47
                                        ; implicit-def: $vgpr46
                                        ; implicit-def: $vgpr45
                                        ; implicit-def: $vgpr44
                                        ; implicit-def: $vgpr43
.LBB56_47:
	v_lshl_add_u32 v6, v105, 4, v108
	v_lshlrev_b32_e32 v15, 2, v107
	s_ashr_i32 s41, s40, 31
	s_ashr_i32 s45, s44, 31
	s_mov_b64 s[6:7], src_private_base
	v_mul_lo_u32 v4, s44, v6
	v_mul_u32_u24_e32 v7, 0x70, v6
	s_wait_alu 0xfffe
	s_mul_u64 s[8:9], s[40:41], s[44:45]
	v_cmp_gt_u32_e64 s4, 32, v6
	s_wait_alu 0xfffe
	s_lshl_b64 s[8:9], s[8:9], 2
	s_sub_co_i32 s12, s42, s40
	v_add3_u32 v14, v7, v15, 0x1840
	s_wait_alu 0xfffe
	s_add_nc_u64 s[8:9], s[46:47], s[8:9]
	v_ashrrev_i32_e32 v5, 31, v4
	v_cmp_gt_i32_e32 vcc_lo, s12, v6
	s_delay_alu instid0(VALU_DEP_2)
	v_lshlrev_b64_e32 v[4:5], 2, v[4:5]
	s_and_saveexec_b32 s5, s4
	s_cbranch_execz .LBB56_49
; %bb.48:
	s_wait_alu 0xfffe
	s_delay_alu instid0(VALU_DEP_1) | instskip(SKIP_2) | instid1(VALU_DEP_2)
	v_add_co_u32 v6, s3, s8, v4
	s_wait_alu 0xf1ff
	v_add_co_ci_u32_e64 v7, null, s9, v5, s3
	v_add_co_u32 v8, s3, v6, v15
	s_wait_alu 0xf1ff
	s_delay_alu instid0(VALU_DEP_2) | instskip(NEXT) | instid1(VALU_DEP_2)
	v_add_co_ci_u32_e64 v7, null, 0, v7, s3
	v_add_co_u32 v9, s3, v8, 64
	v_mov_b32_e32 v6, 0
	s_wait_alu 0xf1ff
	s_delay_alu instid0(VALU_DEP_3) | instskip(SKIP_3) | instid1(VALU_DEP_3)
	v_add_co_ci_u32_e64 v10, null, 0, v7, s3
	s_wait_alu 0xfffd
	v_cndmask_b32_e32 v9, 0, v9, vcc_lo
	v_dual_mov_b32 v7, v6 :: v_dual_mov_b32 v8, v6
	v_cndmask_b32_e32 v10, s7, v10, vcc_lo
	s_clause 0x1
	scratch_store_b32 off, v6, off
	scratch_store_b96 off, v[6:8], off offset:4
	flat_load_b128 v[6:9], v[9:10]
	s_wait_loadcnt_dscnt 0x0
	ds_store_b128 v14, v[6:9]
.LBB56_49:
	s_wait_alu 0xfffe
	s_or_b32 exec_lo, exec_lo, s5
	v_lshl_add_u32 v40, v105, 3, v106
	v_dual_mov_b32 v8, 0 :: v_dual_lshlrev_b32 v41, 2, v98
	s_mov_b64 s[10:11], src_private_base
	s_delay_alu instid0(VALU_DEP_2) | instskip(SKIP_3) | instid1(VALU_DEP_3)
	v_mul_lo_u32 v6, s44, v40
	v_mul_u32_u24_e32 v9, 0x70, v40
	v_cmp_gt_u32_e64 s5, 32, v40
	v_cmp_gt_i32_e64 s3, s12, v40
	v_add3_u32 v16, v9, v41, 0x1800
	v_ashrrev_i32_e32 v7, 31, v6
	s_delay_alu instid0(VALU_DEP_1)
	v_lshlrev_b64_e32 v[9:10], 2, v[6:7]
	s_and_saveexec_b32 s10, s5
	s_cbranch_execz .LBB56_51
; %bb.50:
	s_delay_alu instid0(VALU_DEP_1) | instskip(SKIP_1) | instid1(VALU_DEP_2)
	v_add_co_u32 v6, s6, s8, v9
	s_wait_alu 0xf1ff
	v_add_co_ci_u32_e64 v7, null, s9, v10, s6
	s_delay_alu instid0(VALU_DEP_2) | instskip(SKIP_1) | instid1(VALU_DEP_2)
	v_add_co_u32 v11, s6, v6, v41
	s_wait_alu 0xf1ff
	v_add_co_ci_u32_e64 v12, null, 0, v7, s6
	v_dual_mov_b32 v6, v8 :: v_dual_mov_b32 v7, v8
	s_delay_alu instid0(VALU_DEP_3) | instskip(SKIP_1) | instid1(VALU_DEP_3)
	v_cndmask_b32_e64 v11, 0, v11, s3
	s_wait_alu 0xfffe
	v_cndmask_b32_e64 v12, s11, v12, s3
	s_clause 0x1
	scratch_store_b32 off, v8, off
	scratch_store_b96 off, v[6:8], off offset:4
	flat_load_b128 v[17:20], v[11:12]
	s_wait_loadcnt_dscnt 0x0
	ds_store_b128 v16, v[17:20]
.LBB56_51:
	s_wait_alu 0xfffe
	s_or_b32 exec_lo, exec_lo, s10
	s_wait_storecnt 0x0
	s_wait_loadcnt_dscnt 0x0
	s_barrier_signal -1
	s_barrier_wait -1
	global_inv scope:SCOPE_SE
	ds_load_b128 v[17:20], v100 offset:6144
	ds_load_b128 v[21:24], v99
	ds_load_b128 v[25:28], v99 offset:192
	ds_load_b128 v[29:32], v99 offset:384
	;; [unrolled: 1-line block ×3, first 2 shown]
	v_dual_mov_b32 v13, 0 :: v_dual_mov_b32 v12, 0
	v_mov_b32_e32 v11, 0
	s_wait_dscnt 0x3
	;;#ASMSTART
	v_dot2_f32_f16 v13, v17, v21, v13
	;;#ASMEND
	;;#ASMSTART
	v_dot2_f32_f16 v13, v18, v22, v13
	;;#ASMEND
	;;#ASMSTART
	v_dot2_f32_f16 v13, v19, v23, v13
	;;#ASMEND
	;;#ASMSTART
	v_dot2_f32_f16 v13, v20, v24, v13
	;;#ASMEND
	s_wait_dscnt 0x2
	;;#ASMSTART
	v_dot2_f32_f16 v12, v17, v25, v12
	;;#ASMEND
	;;#ASMSTART
	v_dot2_f32_f16 v12, v18, v26, v12
	;;#ASMEND
	;;#ASMSTART
	v_dot2_f32_f16 v12, v19, v27, v12
	;;#ASMEND
	;;#ASMSTART
	v_dot2_f32_f16 v12, v20, v28, v12
	;;#ASMEND
	s_wait_dscnt 0x1
	;;#ASMSTART
	v_dot2_f32_f16 v11, v17, v29, v11
	;;#ASMEND
	;;#ASMSTART
	v_dot2_f32_f16 v11, v18, v30, v11
	;;#ASMEND
	;;#ASMSTART
	v_dot2_f32_f16 v11, v19, v31, v11
	;;#ASMEND
	;;#ASMSTART
	v_dot2_f32_f16 v11, v20, v32, v11
	;;#ASMEND
	s_wait_dscnt 0x0
	;;#ASMSTART
	v_dot2_f32_f16 v8, v17, v33, v8
	;;#ASMEND
	;;#ASMSTART
	v_dot2_f32_f16 v8, v18, v34, v8
	;;#ASMEND
	;;#ASMSTART
	v_dot2_f32_f16 v8, v19, v35, v8
	;;#ASMEND
	;;#ASMSTART
	v_dot2_f32_f16 v8, v20, v36, v8
	;;#ASMEND
	ds_load_b128 v[17:20], v100 offset:6160
	ds_load_b128 v[21:24], v99 offset:16
	ds_load_b128 v[25:28], v99 offset:208
	ds_load_b128 v[29:32], v99 offset:400
	ds_load_b128 v[33:36], v99 offset:592
	s_wait_dscnt 0x3
	;;#ASMSTART
	v_dot2_f32_f16 v13, v17, v21, v13
	;;#ASMEND
	;;#ASMSTART
	v_dot2_f32_f16 v13, v18, v22, v13
	;;#ASMEND
	;;#ASMSTART
	v_dot2_f32_f16 v13, v19, v23, v13
	;;#ASMEND
	;;#ASMSTART
	v_dot2_f32_f16 v13, v20, v24, v13
	;;#ASMEND
	s_wait_dscnt 0x2
	;;#ASMSTART
	v_dot2_f32_f16 v12, v17, v25, v12
	;;#ASMEND
	;;#ASMSTART
	v_dot2_f32_f16 v12, v18, v26, v12
	;;#ASMEND
	;;#ASMSTART
	v_dot2_f32_f16 v12, v19, v27, v12
	;;#ASMEND
	;;#ASMSTART
	v_dot2_f32_f16 v12, v20, v28, v12
	;;#ASMEND
	s_wait_dscnt 0x1
	;;#ASMSTART
	v_dot2_f32_f16 v11, v17, v29, v11
	;;#ASMEND
	;;#ASMSTART
	v_dot2_f32_f16 v11, v18, v30, v11
	;;#ASMEND
	;;#ASMSTART
	v_dot2_f32_f16 v11, v19, v31, v11
	;;#ASMEND
	;;#ASMSTART
	v_dot2_f32_f16 v11, v20, v32, v11
	;;#ASMEND
	s_wait_dscnt 0x0
	;;#ASMSTART
	v_dot2_f32_f16 v8, v17, v33, v8
	;;#ASMEND
	;;#ASMSTART
	v_dot2_f32_f16 v8, v18, v34, v8
	;;#ASMEND
	;;#ASMSTART
	v_dot2_f32_f16 v8, v19, v35, v8
	;;#ASMEND
	;;#ASMSTART
	v_dot2_f32_f16 v8, v20, v36, v8
	;;#ASMEND
	ds_load_b128 v[17:20], v100 offset:6176
	ds_load_b128 v[21:24], v99 offset:32
	ds_load_b128 v[25:28], v99 offset:224
	ds_load_b128 v[29:32], v99 offset:416
	ds_load_b128 v[33:36], v99 offset:608
	;; [unrolled: 57-line block ×5, first 2 shown]
	s_wait_dscnt 0x3
	;;#ASMSTART
	v_dot2_f32_f16 v13, v17, v21, v13
	;;#ASMEND
	;;#ASMSTART
	v_dot2_f32_f16 v13, v18, v22, v13
	;;#ASMEND
	;;#ASMSTART
	v_dot2_f32_f16 v13, v19, v23, v13
	;;#ASMEND
	;;#ASMSTART
	v_dot2_f32_f16 v13, v20, v24, v13
	;;#ASMEND
	s_wait_dscnt 0x2
	;;#ASMSTART
	v_dot2_f32_f16 v12, v17, v25, v12
	;;#ASMEND
	;;#ASMSTART
	v_dot2_f32_f16 v12, v18, v26, v12
	;;#ASMEND
	;;#ASMSTART
	v_dot2_f32_f16 v12, v19, v27, v12
	;;#ASMEND
	;;#ASMSTART
	v_dot2_f32_f16 v12, v20, v28, v12
	;;#ASMEND
	;; [unrolled: 13-line block ×4, first 2 shown]
	s_wait_loadcnt 0x0
	s_barrier_signal -1
	s_barrier_wait -1
	global_inv scope:SCOPE_SE
	s_and_saveexec_b32 s6, s4
	s_cbranch_execz .LBB56_53
; %bb.52:
	v_add_co_u32 v4, s4, s8, v4
	s_wait_alu 0xf1ff
	v_add_co_ci_u32_e64 v5, null, s9, v5, s4
	s_delay_alu instid0(VALU_DEP_2) | instskip(SKIP_1) | instid1(VALU_DEP_2)
	v_add_co_u32 v6, s4, v4, v15
	s_wait_alu 0xf1ff
	v_add_co_ci_u32_e64 v5, null, 0, v5, s4
	s_delay_alu instid0(VALU_DEP_2) | instskip(SKIP_2) | instid1(VALU_DEP_3)
	v_add_co_u32 v7, s4, 0xa0, v6
	v_mov_b32_e32 v4, 0
	s_wait_alu 0xf1ff
	v_add_co_ci_u32_e64 v15, null, 0, v5, s4
	s_wait_alu 0xfffd
	v_cndmask_b32_e32 v17, 0, v7, vcc_lo
	v_dual_mov_b32 v5, v4 :: v_dual_mov_b32 v6, v4
	s_delay_alu instid0(VALU_DEP_3)
	v_cndmask_b32_e32 v18, s7, v15, vcc_lo
	s_clause 0x1
	scratch_store_b32 off, v4, off
	scratch_store_b96 off, v[4:6], off offset:4
	flat_load_b128 v[4:7], v[17:18]
	s_wait_loadcnt_dscnt 0x0
	ds_store_b128 v14, v[4:7]
.LBB56_53:
	s_wait_alu 0xfffe
	s_or_b32 exec_lo, exec_lo, s6
	s_and_saveexec_b32 s4, s5
	s_cbranch_execz .LBB56_55
; %bb.54:
	v_add_co_u32 v4, vcc_lo, s8, v9
	s_wait_alu 0xfffd
	v_add_co_ci_u32_e64 v5, null, s9, v10, vcc_lo
	s_delay_alu instid0(VALU_DEP_2) | instskip(SKIP_1) | instid1(VALU_DEP_2)
	v_add_co_u32 v6, vcc_lo, v4, v41
	s_wait_alu 0xfffd
	v_add_co_ci_u32_e64 v5, null, 0, v5, vcc_lo
	v_mov_b32_e32 v4, 0
	s_delay_alu instid0(VALU_DEP_3) | instskip(SKIP_1) | instid1(VALU_DEP_3)
	v_add_co_u32 v7, vcc_lo, 0x60, v6
	s_wait_alu 0xfffd
	v_add_co_ci_u32_e64 v9, null, 0, v5, vcc_lo
	s_delay_alu instid0(VALU_DEP_3)
	v_dual_mov_b32 v5, v4 :: v_dual_mov_b32 v6, v4
	s_clause 0x1
	scratch_store_b32 off, v4, off
	scratch_store_b96 off, v[4:6], off offset:4
	v_cndmask_b32_e64 v10, s11, v9, s3
	v_cndmask_b32_e64 v9, 0, v7, s3
	flat_load_b128 v[4:7], v[9:10]
	s_wait_loadcnt_dscnt 0x0
	ds_store_b128 v16, v[4:7]
.LBB56_55:
	s_wait_alu 0xfffe
	s_or_b32 exec_lo, exec_lo, s4
	s_wait_storecnt 0x0
	s_wait_loadcnt_dscnt 0x0
	s_barrier_signal -1
	s_barrier_wait -1
	global_inv scope:SCOPE_SE
	ds_load_b128 v[4:7], v100 offset:6144
	ds_load_b128 v[14:17], v99 offset:96
	;; [unrolled: 1-line block ×5, first 2 shown]
	s_cmp_lg_u64 s[34:35], 0
	v_cmp_gt_i32_e64 s4, s12, v79
	s_cselect_b32 s6, -1, 0
	v_add_nc_u32_e32 v9, s40, v79
	s_wait_alu 0xfffe
	v_cndmask_b32_e64 v10, 0, 1, s6
	s_wait_dscnt 0x3
	;;#ASMSTART
	v_dot2_f32_f16 v13, v4, v14, v13
	;;#ASMEND
	;;#ASMSTART
	v_dot2_f32_f16 v13, v5, v15, v13
	;;#ASMEND
	;;#ASMSTART
	v_dot2_f32_f16 v13, v6, v16, v13
	;;#ASMEND
	;;#ASMSTART
	v_dot2_f32_f16 v13, v7, v17, v13
	;;#ASMEND
	s_wait_dscnt 0x2
	;;#ASMSTART
	v_dot2_f32_f16 v12, v4, v18, v12
	;;#ASMEND
	;;#ASMSTART
	v_dot2_f32_f16 v12, v5, v19, v12
	;;#ASMEND
	;;#ASMSTART
	v_dot2_f32_f16 v12, v6, v20, v12
	;;#ASMEND
	;;#ASMSTART
	v_dot2_f32_f16 v12, v7, v21, v12
	;;#ASMEND
	s_wait_dscnt 0x1
	;;#ASMSTART
	v_dot2_f32_f16 v11, v4, v22, v11
	;;#ASMEND
	;;#ASMSTART
	v_dot2_f32_f16 v11, v5, v23, v11
	;;#ASMEND
	;;#ASMSTART
	v_dot2_f32_f16 v11, v6, v24, v11
	;;#ASMEND
	;;#ASMSTART
	v_dot2_f32_f16 v11, v7, v25, v11
	;;#ASMEND
	s_wait_dscnt 0x0
	;;#ASMSTART
	v_dot2_f32_f16 v8, v4, v26, v8
	;;#ASMEND
	;;#ASMSTART
	v_dot2_f32_f16 v8, v5, v27, v8
	;;#ASMEND
	;;#ASMSTART
	v_dot2_f32_f16 v8, v6, v28, v8
	;;#ASMEND
	;;#ASMSTART
	v_dot2_f32_f16 v8, v7, v29, v8
	;;#ASMEND
	ds_load_b128 v[4:7], v100 offset:6160
	ds_load_b128 v[14:17], v99 offset:112
	ds_load_b128 v[18:21], v99 offset:304
	ds_load_b128 v[22:25], v99 offset:496
	ds_load_b128 v[26:29], v99 offset:688
	s_wait_dscnt 0x3
	;;#ASMSTART
	v_dot2_f32_f16 v13, v4, v14, v13
	;;#ASMEND
	;;#ASMSTART
	v_dot2_f32_f16 v13, v5, v15, v13
	;;#ASMEND
	;;#ASMSTART
	v_dot2_f32_f16 v13, v6, v16, v13
	;;#ASMEND
	;;#ASMSTART
	v_dot2_f32_f16 v13, v7, v17, v13
	;;#ASMEND
	s_wait_dscnt 0x2
	;;#ASMSTART
	v_dot2_f32_f16 v12, v4, v18, v12
	;;#ASMEND
	;;#ASMSTART
	v_dot2_f32_f16 v12, v5, v19, v12
	;;#ASMEND
	;;#ASMSTART
	v_dot2_f32_f16 v12, v6, v20, v12
	;;#ASMEND
	;;#ASMSTART
	v_dot2_f32_f16 v12, v7, v21, v12
	;;#ASMEND
	s_wait_dscnt 0x1
	;;#ASMSTART
	v_dot2_f32_f16 v11, v4, v22, v11
	;;#ASMEND
	;;#ASMSTART
	v_dot2_f32_f16 v11, v5, v23, v11
	;;#ASMEND
	;;#ASMSTART
	v_dot2_f32_f16 v11, v6, v24, v11
	;;#ASMEND
	;;#ASMSTART
	v_dot2_f32_f16 v11, v7, v25, v11
	;;#ASMEND
	s_wait_dscnt 0x0
	;;#ASMSTART
	v_dot2_f32_f16 v8, v4, v26, v8
	;;#ASMEND
	;;#ASMSTART
	v_dot2_f32_f16 v8, v5, v27, v8
	;;#ASMEND
	;;#ASMSTART
	v_dot2_f32_f16 v8, v6, v28, v8
	;;#ASMEND
	;;#ASMSTART
	v_dot2_f32_f16 v8, v7, v29, v8
	;;#ASMEND
	ds_load_b128 v[4:7], v100 offset:6176
	ds_load_b128 v[14:17], v99 offset:128
	ds_load_b128 v[18:21], v99 offset:320
	ds_load_b128 v[22:25], v99 offset:512
	ds_load_b128 v[26:29], v99 offset:704
	;; [unrolled: 57-line block ×5, first 2 shown]
	s_wait_dscnt 0x3
	;;#ASMSTART
	v_dot2_f32_f16 v13, v14, v18, v13
	;;#ASMEND
	;;#ASMSTART
	v_dot2_f32_f16 v13, v15, v19, v13
	;;#ASMEND
	;; [unrolled: 3-line block ×4, first 2 shown]
	s_wait_dscnt 0x2
	;;#ASMSTART
	v_dot2_f32_f16 v12, v14, v22, v12
	;;#ASMEND
	;;#ASMSTART
	v_dot2_f32_f16 v12, v15, v23, v12
	;;#ASMEND
	;; [unrolled: 3-line block ×3, first 2 shown]
	v_dual_mov_b32 v7, v3 :: v_dual_mov_b32 v4, v0
	;;#ASMSTART
	v_dot2_f32_f16 v12, v17, v25, v12
	;;#ASMEND
	s_wait_dscnt 0x1
	;;#ASMSTART
	v_dot2_f32_f16 v11, v14, v26, v11
	;;#ASMEND
	v_dual_mov_b32 v6, v2 :: v_dual_mov_b32 v5, v1
	;;#ASMSTART
	v_dot2_f32_f16 v11, v15, v27, v11
	;;#ASMEND
	;;#ASMSTART
	v_dot2_f32_f16 v11, v16, v28, v11
	;;#ASMEND
	;; [unrolled: 3-line block ×3, first 2 shown]
	s_wait_dscnt 0x0
	;;#ASMSTART
	v_dot2_f32_f16 v8, v14, v30, v8
	;;#ASMEND
	;;#ASMSTART
	v_dot2_f32_f16 v8, v15, v31, v8
	;;#ASMEND
	;; [unrolled: 3-line block ×4, first 2 shown]
	s_and_saveexec_b32 s5, s4
	s_cbranch_execz .LBB56_60
; %bb.56:
	s_and_not1_b32 vcc_lo, exec_lo, s6
	s_wait_alu 0xfffe
	s_cbranch_vccnz .LBB56_58
; %bb.57:
	v_mul_hi_u32 v4, s24, v83
	s_delay_alu instid0(VALU_DEP_1) | instskip(NEXT) | instid1(VALU_DEP_1)
	v_add_nc_u32_e32 v4, v83, v4
	v_lshrrev_b32_e32 v4, s25, v4
	s_delay_alu instid0(VALU_DEP_1) | instskip(NEXT) | instid1(VALU_DEP_1)
	v_mul_lo_u32 v4, v4, s26
	v_sub_nc_u32_e32 v4, v83, v4
	s_delay_alu instid0(VALU_DEP_1) | instskip(NEXT) | instid1(VALU_DEP_1)
	v_mad_co_u64_u32 v[4:5], null, v4, s19, v[9:10]
	v_ashrrev_i32_e32 v5, 31, v4
	s_delay_alu instid0(VALU_DEP_1) | instskip(NEXT) | instid1(VALU_DEP_1)
	v_lshlrev_b64_e32 v[4:5], 1, v[4:5]
	v_add_co_u32 v4, vcc_lo, s34, v4
	s_wait_alu 0xfffd
	s_delay_alu instid0(VALU_DEP_2) | instskip(SKIP_3) | instid1(VALU_DEP_1)
	v_add_co_ci_u32_e64 v5, null, s35, v5, vcc_lo
	global_load_u16 v4, v[4:5], off
	s_wait_loadcnt 0x0
	v_cvt_f32_f16_e32 v4, v4
	v_mul_f32_e32 v4, v95, v4
	s_branch .LBB56_59
.LBB56_58:
	v_mov_b32_e32 v4, 0
.LBB56_59:
	s_delay_alu instid0(VALU_DEP_1) | instskip(SKIP_2) | instid1(VALU_DEP_3)
	v_add_f32_e32 v13, v13, v4
	v_dual_mov_b32 v7, v3 :: v_dual_mov_b32 v4, v0
	v_mov_b32_e32 v6, v2
	v_dual_max_num_f32 v14, v0, v0 :: v_dual_add_f32 v15, 0x40051340, v13
	s_delay_alu instid0(VALU_DEP_1)
	v_dual_mov_b32 v5, v1 :: v_dual_max_num_f32 v4, v14, v15
.LBB56_60:
	s_wait_alu 0xfffe
	s_or_b32 exec_lo, exec_lo, s5
	v_xor_b32_e32 v47, 16, v85
	v_xor_b32_e32 v46, 8, v85
	;; [unrolled: 1-line block ×5, first 2 shown]
	v_cmp_gt_i32_e32 vcc_lo, 32, v47
	v_mov_b32_e32 v42, 32
	s_wait_alu 0xfffd
	v_cndmask_b32_e32 v14, v85, v47, vcc_lo
	v_cmp_gt_i32_e32 vcc_lo, 32, v46
	s_delay_alu instid0(VALU_DEP_2)
	v_lshlrev_b32_e32 v14, 2, v14
	s_wait_alu 0xfffd
	v_cndmask_b32_e32 v16, v85, v46, vcc_lo
	v_cmp_gt_i32_e32 vcc_lo, 32, v45
	ds_bpermute_b32 v15, v14, v4
	s_wait_dscnt 0x0
	v_dual_max_num_f32 v4, v4, v4 :: v_dual_max_num_f32 v17, v15, v15
	s_delay_alu instid0(VALU_DEP_1)
	v_dual_max_num_f32 v4, v4, v17 :: v_dual_lshlrev_b32 v15, 2, v16
	s_wait_alu 0xfffd
	v_cndmask_b32_e32 v17, v85, v45, vcc_lo
	v_cmp_gt_i32_e32 vcc_lo, 32, v44
	ds_bpermute_b32 v16, v15, v4
	s_wait_dscnt 0x0
	v_max_num_f32_e32 v18, v16, v16
	s_delay_alu instid0(VALU_DEP_1)
	v_max_num_f32_e32 v4, v4, v18
	s_wait_alu 0xfffd
	v_cndmask_b32_e32 v18, v85, v44, vcc_lo
	v_cmp_gt_i32_e32 vcc_lo, 32, v43
	v_lshlrev_b32_e32 v16, 2, v17
	ds_bpermute_b32 v17, v16, v4
	s_wait_dscnt 0x0
	v_max_num_f32_e32 v19, v17, v17
	s_delay_alu instid0(VALU_DEP_1)
	v_dual_max_num_f32 v4, v4, v19 :: v_dual_lshlrev_b32 v17, 2, v18
	s_wait_alu 0xfffd
	v_cndmask_b32_e32 v19, v85, v43, vcc_lo
	ds_bpermute_b32 v18, v17, v4
	s_wait_dscnt 0x0
	v_max_num_f32_e32 v20, v18, v18
	v_lshlrev_b32_e32 v18, 2, v19
	s_delay_alu instid0(VALU_DEP_2) | instskip(SKIP_3) | instid1(VALU_DEP_1)
	v_max_num_f32_e32 v4, v4, v20
	ds_bpermute_b32 v19, v18, v4
	s_wait_dscnt 0x0
	v_max_num_f32_e32 v19, v19, v19
	v_max_num_f32_e32 v4, v4, v19
	s_and_saveexec_b32 s5, s4
	s_cbranch_execz .LBB56_65
; %bb.61:
	v_cmp_ne_u32_e32 vcc_lo, 1, v10
	s_cbranch_vccnz .LBB56_63
; %bb.62:
	v_or_b32_e32 v19, 1, v83
	s_delay_alu instid0(VALU_DEP_1) | instskip(NEXT) | instid1(VALU_DEP_1)
	v_mul_hi_u32 v20, s24, v19
	v_add_nc_u32_e32 v20, v19, v20
	s_delay_alu instid0(VALU_DEP_1) | instskip(NEXT) | instid1(VALU_DEP_1)
	v_lshrrev_b32_e32 v20, s25, v20
	v_mul_lo_u32 v20, v20, s26
	s_delay_alu instid0(VALU_DEP_1) | instskip(NEXT) | instid1(VALU_DEP_1)
	v_sub_nc_u32_e32 v19, v19, v20
	v_mad_co_u64_u32 v[19:20], null, v19, s19, v[9:10]
	s_delay_alu instid0(VALU_DEP_1) | instskip(NEXT) | instid1(VALU_DEP_1)
	v_ashrrev_i32_e32 v20, 31, v19
	v_lshlrev_b64_e32 v[19:20], 1, v[19:20]
	s_delay_alu instid0(VALU_DEP_1) | instskip(SKIP_1) | instid1(VALU_DEP_2)
	v_add_co_u32 v19, vcc_lo, s34, v19
	s_wait_alu 0xfffd
	v_add_co_ci_u32_e64 v20, null, s35, v20, vcc_lo
	global_load_u16 v19, v[19:20], off
	s_wait_loadcnt 0x0
	v_cvt_f32_f16_e32 v19, v19
	s_delay_alu instid0(VALU_DEP_1)
	v_mul_f32_e32 v19, v95, v19
	s_branch .LBB56_64
.LBB56_63:
	v_mov_b32_e32 v19, 0
.LBB56_64:
	s_delay_alu instid0(VALU_DEP_1) | instskip(NEXT) | instid1(VALU_DEP_1)
	v_dual_add_f32 v12, v12, v19 :: v_dual_max_num_f32 v5, v5, v5
	v_add_f32_e32 v19, 0x40051340, v12
	s_delay_alu instid0(VALU_DEP_1)
	v_max_num_f32_e32 v5, v5, v19
.LBB56_65:
	s_wait_alu 0xfffe
	s_or_b32 exec_lo, exec_lo, s5
	ds_bpermute_b32 v19, v14, v5
	v_max_num_f32_e32 v5, v5, v5
	s_wait_dscnt 0x0
	v_max_num_f32_e32 v19, v19, v19
	s_delay_alu instid0(VALU_DEP_1) | instskip(SKIP_3) | instid1(VALU_DEP_1)
	v_max_num_f32_e32 v5, v5, v19
	ds_bpermute_b32 v19, v15, v5
	s_wait_dscnt 0x0
	v_max_num_f32_e32 v19, v19, v19
	v_max_num_f32_e32 v5, v5, v19
	ds_bpermute_b32 v19, v16, v5
	s_wait_dscnt 0x0
	v_max_num_f32_e32 v19, v19, v19
	s_delay_alu instid0(VALU_DEP_1) | instskip(SKIP_3) | instid1(VALU_DEP_1)
	v_max_num_f32_e32 v5, v5, v19
	ds_bpermute_b32 v19, v17, v5
	s_wait_dscnt 0x0
	v_max_num_f32_e32 v19, v19, v19
	v_max_num_f32_e32 v5, v5, v19
	ds_bpermute_b32 v19, v18, v5
	s_wait_dscnt 0x0
	v_max_num_f32_e32 v19, v19, v19
	s_delay_alu instid0(VALU_DEP_1)
	v_max_num_f32_e32 v5, v5, v19
	s_and_saveexec_b32 s5, s4
	s_cbranch_execz .LBB56_70
; %bb.66:
	v_cmp_ne_u32_e32 vcc_lo, 1, v10
	s_cbranch_vccnz .LBB56_68
; %bb.67:
	v_or_b32_e32 v19, 2, v83
	s_delay_alu instid0(VALU_DEP_1) | instskip(NEXT) | instid1(VALU_DEP_1)
	v_mul_hi_u32 v20, s24, v19
	v_add_nc_u32_e32 v20, v19, v20
	s_delay_alu instid0(VALU_DEP_1) | instskip(NEXT) | instid1(VALU_DEP_1)
	v_lshrrev_b32_e32 v20, s25, v20
	v_mul_lo_u32 v20, v20, s26
	s_delay_alu instid0(VALU_DEP_1) | instskip(NEXT) | instid1(VALU_DEP_1)
	v_sub_nc_u32_e32 v19, v19, v20
	v_mad_co_u64_u32 v[19:20], null, v19, s19, v[9:10]
	s_delay_alu instid0(VALU_DEP_1) | instskip(NEXT) | instid1(VALU_DEP_1)
	v_ashrrev_i32_e32 v20, 31, v19
	v_lshlrev_b64_e32 v[19:20], 1, v[19:20]
	s_delay_alu instid0(VALU_DEP_1) | instskip(SKIP_1) | instid1(VALU_DEP_2)
	v_add_co_u32 v19, vcc_lo, s34, v19
	s_wait_alu 0xfffd
	v_add_co_ci_u32_e64 v20, null, s35, v20, vcc_lo
	global_load_u16 v19, v[19:20], off
	s_wait_loadcnt 0x0
	v_cvt_f32_f16_e32 v19, v19
	s_delay_alu instid0(VALU_DEP_1)
	v_mul_f32_e32 v19, v95, v19
	s_branch .LBB56_69
.LBB56_68:
	v_mov_b32_e32 v19, 0
.LBB56_69:
	s_delay_alu instid0(VALU_DEP_1) | instskip(NEXT) | instid1(VALU_DEP_1)
	v_dual_add_f32 v11, v11, v19 :: v_dual_max_num_f32 v6, v6, v6
	v_add_f32_e32 v19, 0x40051340, v11
	s_delay_alu instid0(VALU_DEP_1)
	v_max_num_f32_e32 v6, v6, v19
.LBB56_70:
	s_wait_alu 0xfffe
	s_or_b32 exec_lo, exec_lo, s5
	ds_bpermute_b32 v19, v14, v6
	s_wait_dscnt 0x0
	v_dual_max_num_f32 v6, v6, v6 :: v_dual_max_num_f32 v19, v19, v19
	s_delay_alu instid0(VALU_DEP_1) | instskip(SKIP_3) | instid1(VALU_DEP_1)
	v_max_num_f32_e32 v6, v6, v19
	ds_bpermute_b32 v19, v15, v6
	s_wait_dscnt 0x0
	v_max_num_f32_e32 v19, v19, v19
	v_max_num_f32_e32 v6, v6, v19
	ds_bpermute_b32 v19, v16, v6
	s_wait_dscnt 0x0
	v_max_num_f32_e32 v19, v19, v19
	s_delay_alu instid0(VALU_DEP_1) | instskip(SKIP_3) | instid1(VALU_DEP_1)
	v_max_num_f32_e32 v6, v6, v19
	ds_bpermute_b32 v19, v17, v6
	s_wait_dscnt 0x0
	v_max_num_f32_e32 v19, v19, v19
	v_max_num_f32_e32 v6, v6, v19
	ds_bpermute_b32 v19, v18, v6
	s_wait_dscnt 0x0
	v_max_num_f32_e32 v19, v19, v19
	s_delay_alu instid0(VALU_DEP_1)
	v_max_num_f32_e32 v6, v6, v19
	s_and_saveexec_b32 s5, s4
	s_cbranch_execz .LBB56_75
; %bb.71:
	v_cmp_ne_u32_e32 vcc_lo, 1, v10
	s_cbranch_vccnz .LBB56_73
; %bb.72:
	v_or_b32_e32 v10, 3, v83
	s_delay_alu instid0(VALU_DEP_1) | instskip(NEXT) | instid1(VALU_DEP_1)
	v_mul_hi_u32 v19, s24, v10
	v_add_nc_u32_e32 v19, v10, v19
	s_delay_alu instid0(VALU_DEP_1) | instskip(NEXT) | instid1(VALU_DEP_1)
	v_lshrrev_b32_e32 v19, s25, v19
	v_mul_lo_u32 v19, v19, s26
	s_delay_alu instid0(VALU_DEP_1) | instskip(NEXT) | instid1(VALU_DEP_1)
	v_sub_nc_u32_e32 v10, v10, v19
	v_mad_co_u64_u32 v[9:10], null, v10, s19, v[9:10]
	s_delay_alu instid0(VALU_DEP_1) | instskip(NEXT) | instid1(VALU_DEP_1)
	v_ashrrev_i32_e32 v10, 31, v9
	v_lshlrev_b64_e32 v[9:10], 1, v[9:10]
	s_delay_alu instid0(VALU_DEP_1) | instskip(SKIP_1) | instid1(VALU_DEP_2)
	v_add_co_u32 v9, vcc_lo, s34, v9
	s_wait_alu 0xfffd
	v_add_co_ci_u32_e64 v10, null, s35, v10, vcc_lo
	global_load_u16 v9, v[9:10], off
	s_wait_loadcnt 0x0
	v_cvt_f32_f16_e32 v9, v9
	s_delay_alu instid0(VALU_DEP_1)
	v_mul_f32_e32 v9, v95, v9
	s_branch .LBB56_74
.LBB56_73:
	v_mov_b32_e32 v9, 0
.LBB56_74:
	s_delay_alu instid0(VALU_DEP_1) | instskip(NEXT) | instid1(VALU_DEP_1)
	v_dual_add_f32 v8, v8, v9 :: v_dual_max_num_f32 v7, v7, v7
	v_add_f32_e32 v9, 0x40051340, v8
	s_delay_alu instid0(VALU_DEP_1)
	v_max_num_f32_e32 v7, v7, v9
.LBB56_75:
	s_wait_alu 0xfffe
	s_or_b32 exec_lo, exec_lo, s5
	ds_bpermute_b32 v9, v14, v7
	v_dual_max_num_f32 v7, v7, v7 :: v_dual_sub_f32 v10, v13, v4
	v_dual_sub_f32 v12, v12, v5 :: v_dual_sub_f32 v11, v11, v6
	s_ashr_i32 s37, s36, 31
	v_cmp_gt_u32_e64 s4, 16, v40
	s_delay_alu instid0(VALU_DEP_3)
	v_cmp_ngt_f32_e32 vcc_lo, 0xc2ce8ed0, v10
	s_wait_alu 0xfffe
	s_mul_u64 s[8:9], s[40:41], s[36:37]
	s_mov_b64 s[6:7], src_private_base
	s_wait_alu 0xfffe
	s_lshl_b64 s[8:9], s[8:9], 2
	s_wait_loadcnt_dscnt 0x0
	s_wait_alu 0xfffe
	s_add_nc_u64 s[10:11], s[38:39], s[8:9]
	s_barrier_signal -1
	s_barrier_wait -1
	global_inv scope:SCOPE_SE
	v_dual_max_num_f32 v9, v9, v9 :: v_dual_add_nc_u32 v14, v86, v84
	s_delay_alu instid0(VALU_DEP_1) | instskip(SKIP_2) | instid1(VALU_DEP_1)
	v_max_num_f32_e32 v7, v7, v9
	ds_bpermute_b32 v9, v15, v7
	v_mul_f32_e32 v15, 0x3fb8aa3b, v12
	v_rndne_f32_e32 v19, v15
	s_wait_dscnt 0x0
	v_max_num_f32_e32 v9, v9, v9
	s_delay_alu instid0(VALU_DEP_1) | instskip(SKIP_2) | instid1(VALU_DEP_1)
	v_max_num_f32_e32 v7, v7, v9
	ds_bpermute_b32 v9, v16, v7
	v_mul_f32_e32 v16, 0x3fb8aa3b, v11
	v_fma_f32 v20, 0x3fb8aa3b, v11, -v16
	v_rndne_f32_e32 v21, v16
	v_mul_f32_e32 v13, 0x3fb8aa3b, v10
	s_delay_alu instid0(VALU_DEP_3) | instskip(NEXT) | instid1(VALU_DEP_3)
	v_fmac_f32_e32 v20, 0x32a5705f, v11
	v_sub_f32_e32 v16, v16, v21
	s_wait_dscnt 0x0
	s_delay_alu instid0(VALU_DEP_1) | instskip(NEXT) | instid1(VALU_DEP_1)
	v_dual_add_f32 v16, v16, v20 :: v_dual_max_num_f32 v9, v9, v9
	v_exp_f32_e32 v16, v16
	s_delay_alu instid0(VALU_DEP_1) | instskip(SKIP_2) | instid1(VALU_DEP_1)
	v_max_num_f32_e32 v7, v7, v9
	ds_bpermute_b32 v9, v17, v7
	v_fma_f32 v17, 0x3fb8aa3b, v10, -v13
	v_fmac_f32_e32 v17, 0x32a5705f, v10
	s_wait_dscnt 0x0
	v_max_num_f32_e32 v9, v9, v9
	s_delay_alu instid0(VALU_DEP_1) | instskip(SKIP_2) | instid1(VALU_DEP_1)
	v_max_num_f32_e32 v7, v7, v9
	ds_bpermute_b32 v9, v18, v7
	v_fma_f32 v18, 0x3fb8aa3b, v12, -v15
	v_dual_sub_f32 v15, v15, v19 :: v_dual_fmac_f32 v18, 0x32a5705f, v12
	s_delay_alu instid0(VALU_DEP_1) | instskip(NEXT) | instid1(VALU_DEP_1)
	v_add_f32_e32 v15, v15, v18
	v_exp_f32_e32 v15, v15
	s_wait_dscnt 0x0
	v_max_num_f32_e32 v9, v9, v9
	s_delay_alu instid0(VALU_DEP_1) | instskip(SKIP_1) | instid1(VALU_DEP_1)
	v_max_num_f32_e32 v7, v7, v9
	v_rndne_f32_e32 v9, v13
	v_dual_sub_f32 v8, v8, v7 :: v_dual_sub_f32 v13, v13, v9
	v_cvt_i32_f32_e32 v9, v9
	s_delay_alu instid0(VALU_DEP_2) | instskip(SKIP_1) | instid1(VALU_DEP_2)
	v_dual_mul_f32 v22, 0x3fb8aa3b, v8 :: v_dual_add_f32 v13, v13, v17
	v_cmp_ngt_f32_e64 s5, 0xc2ce8ed0, v8
	v_fma_f32 v17, 0x3fb8aa3b, v8, -v22
	v_rndne_f32_e32 v23, v22
	s_delay_alu instid0(VALU_DEP_4) | instskip(NEXT) | instid1(VALU_DEP_1)
	v_exp_f32_e32 v13, v13
	v_dual_fmac_f32 v17, 0x32a5705f, v8 :: v_dual_sub_f32 v18, v22, v23
	s_delay_alu instid0(VALU_DEP_1) | instskip(SKIP_1) | instid1(TRANS32_DEP_1)
	v_add_f32_e32 v17, v18, v17
	v_cvt_i32_f32_e32 v18, v19
	v_ldexp_f32 v9, v13, v9
	v_cvt_i32_f32_e32 v19, v21
	s_delay_alu instid0(VALU_DEP_4) | instskip(NEXT) | instid1(VALU_DEP_3)
	v_exp_f32_e32 v13, v17
	v_ldexp_f32 v15, v15, v18
	s_wait_alu 0xfffd
	v_cndmask_b32_e32 v9, 0, v9, vcc_lo
	v_cvt_i32_f32_e32 v17, v23
	v_cmp_ngt_f32_e32 vcc_lo, 0xc2ce8ed0, v12
	v_ldexp_f32 v16, v16, v19
	s_wait_alu 0xfffd
	v_cndmask_b32_e32 v15, 0, v15, vcc_lo
	v_cmp_ngt_f32_e32 vcc_lo, 0xc2ce8ed0, v11
	v_ldexp_f32 v13, v13, v17
	s_wait_alu 0xfffd
	v_cndmask_b32_e32 v16, 0, v16, vcc_lo
	v_cmp_nlt_f32_e32 vcc_lo, 0x42b17218, v10
	s_wait_alu 0xf1ff
	v_cndmask_b32_e64 v10, 0, v13, s5
	v_cmp_nlt_f32_e64 s5, 0x42b17218, v12
	s_wait_alu 0xfffd
	v_cndmask_b32_e32 v9, 0x7f800000, v9, vcc_lo
	v_cmp_gt_u32_e32 vcc_lo, s12, v79
	s_wait_alu 0xf1ff
	v_cndmask_b32_e64 v12, 0x7f800000, v15, s5
	v_cmp_nlt_f32_e64 s5, 0x42b17218, v11
	s_wait_alu 0xfffd
	s_delay_alu instid0(VALU_DEP_2) | instskip(SKIP_1) | instid1(VALU_DEP_2)
	v_dual_cndmask_b32 v48, 0, v9 :: v_dual_cndmask_b32 v49, 0, v12
	s_wait_alu 0xf1ff
	v_cndmask_b32_e64 v11, 0x7f800000, v16, s5
	v_cmp_nlt_f32_e64 s5, 0x42b17218, v8
	v_mul_lo_u32 v8, s36, v40
	v_cvt_f16_f32_e32 v12, v49
	s_delay_alu instid0(VALU_DEP_4) | instskip(SKIP_4) | instid1(VALU_DEP_3)
	v_cndmask_b32_e32 v50, 0, v11, vcc_lo
	s_wait_alu 0xf1ff
	v_cndmask_b32_e64 v10, 0x7f800000, v10, s5
	v_cvt_f16_f32_e32 v11, v48
	v_ashrrev_i32_e32 v9, 31, v8
	v_cndmask_b32_e32 v51, 0, v10, vcc_lo
	v_mul_u32_u24_e32 v10, 0xc0, v40
	v_cvt_f16_f32_e32 v13, v50
	s_delay_alu instid0(VALU_DEP_4) | instskip(NEXT) | instid1(VALU_DEP_4)
	v_lshlrev_b64_e32 v[38:39], 2, v[8:9]
	v_cvt_f16_f32_e32 v15, v51
	s_delay_alu instid0(VALU_DEP_4) | instskip(SKIP_1) | instid1(VALU_DEP_3)
	v_lshl_or_b32 v16, v98, 2, v10
	v_pack_b32_f16 v10, v11, v12
	v_pack_b32_f16 v11, v13, v15
	s_delay_alu instid0(VALU_DEP_3)
	v_add_nc_u32_e32 v59, 0x1880, v16
	ds_store_b64 v14, v[10:11]
	s_and_saveexec_b32 s5, s4
	s_cbranch_execz .LBB56_77
; %bb.76:
	s_wait_alu 0xfffe
	v_add_co_u32 v8, vcc_lo, s10, v38
	s_wait_alu 0xfffd
	v_add_co_ci_u32_e64 v9, null, s11, v39, vcc_lo
	s_delay_alu instid0(VALU_DEP_2) | instskip(SKIP_1) | instid1(VALU_DEP_2)
	v_add_co_u32 v10, vcc_lo, v8, v41
	s_wait_alu 0xfffd
	v_add_co_ci_u32_e64 v9, null, 0, v9, vcc_lo
	v_mov_b32_e32 v8, 0
	s_delay_alu instid0(VALU_DEP_3) | instskip(SKIP_1) | instid1(VALU_DEP_3)
	v_add_co_u32 v11, vcc_lo, 0x80, v10
	s_wait_alu 0xfffd
	v_add_co_ci_u32_e64 v12, null, 0, v9, vcc_lo
	s_delay_alu instid0(VALU_DEP_3) | instskip(NEXT) | instid1(VALU_DEP_3)
	v_dual_mov_b32 v9, v8 :: v_dual_mov_b32 v10, v8
	v_cndmask_b32_e64 v11, 0, v11, s3
	s_delay_alu instid0(VALU_DEP_3)
	v_cndmask_b32_e64 v12, s7, v12, s3
	s_clause 0x1
	scratch_store_b32 off, v8, off
	scratch_store_b96 off, v[8:10], off offset:4
	flat_load_b128 v[8:11], v[11:12]
	s_wait_loadcnt_dscnt 0x0
	ds_store_b128 v59, v[8:11]
.LBB56_77:
	s_wait_alu 0xfffe
	s_or_b32 exec_lo, exec_lo, s5
	v_add_nc_u32_e32 v56, v97, v82
	v_lshlrev_b32_e32 v58, 2, v96
	s_mov_b64 s[8:9], src_private_base
	s_delay_alu instid0(VALU_DEP_2) | instskip(SKIP_2) | instid1(VALU_DEP_2)
	v_mul_lo_u32 v8, s36, v56
	v_mul_u32_u24_e32 v10, 0xc0, v56
	v_cmp_gt_u32_e32 vcc_lo, 16, v56
	v_add3_u32 v57, v10, v58, 0x1800
	s_delay_alu instid0(VALU_DEP_4) | instskip(NEXT) | instid1(VALU_DEP_1)
	v_ashrrev_i32_e32 v9, 31, v8
	v_lshlrev_b64_e32 v[36:37], 2, v[8:9]
	s_and_saveexec_b32 s5, vcc_lo
	s_cbranch_execz .LBB56_79
; %bb.78:
	s_delay_alu instid0(VALU_DEP_1) | instskip(SKIP_1) | instid1(VALU_DEP_2)
	v_add_co_u32 v9, s3, s10, v36
	s_wait_alu 0xf1ff
	v_add_co_ci_u32_e64 v10, null, s11, v37, s3
	v_mov_b32_e32 v8, 0
	s_delay_alu instid0(VALU_DEP_3) | instskip(SKIP_1) | instid1(VALU_DEP_3)
	v_add_co_u32 v11, s3, v9, v58
	s_wait_alu 0xf1ff
	v_add_co_ci_u32_e64 v12, null, 0, v10, s3
	v_cmp_gt_i32_e64 s3, s12, v56
	v_dual_mov_b32 v9, v8 :: v_dual_mov_b32 v10, v8
	s_clause 0x1
	scratch_store_b32 off, v8, off
	scratch_store_b96 off, v[8:10], off offset:4
	s_wait_alu 0xf1fe
	v_cndmask_b32_e64 v12, s9, v12, s3
	v_cndmask_b32_e64 v11, 0, v11, s3
	flat_load_b128 v[8:11], v[11:12]
	s_wait_loadcnt_dscnt 0x0
	ds_store_b128 v57, v[8:11]
.LBB56_79:
	s_wait_alu 0xfffe
	s_or_b32 exec_lo, exec_lo, s5
	v_dual_sub_f32 v0, v0, v4 :: v_dual_sub_f32 v9, v2, v6
	v_sub_f32_e32 v8, v1, v5
	v_sub_f32_e32 v10, v3, v7
	s_wait_storecnt 0x0
	s_wait_loadcnt_dscnt 0x0
	v_mul_f32_e32 v1, 0x3fb8aa3b, v0
	v_dual_mul_f32 v3, 0x3fb8aa3b, v9 :: v_dual_mul_f32 v2, 0x3fb8aa3b, v8
	v_mul_f32_e32 v11, 0x3fb8aa3b, v10
	v_cmp_ngt_f32_e64 s3, 0xc2ce8ed0, v0
	s_delay_alu instid0(VALU_DEP_4) | instskip(SKIP_4) | instid1(VALU_DEP_4)
	v_fma_f32 v12, 0x3fb8aa3b, v0, -v1
	v_rndne_f32_e32 v13, v1
	v_fma_f32 v14, 0x3fb8aa3b, v8, -v2
	v_rndne_f32_e32 v15, v2
	v_fma_f32 v16, 0x3fb8aa3b, v9, -v3
	v_dual_fmac_f32 v12, 0x32a5705f, v0 :: v_dual_sub_f32 v1, v1, v13
	v_rndne_f32_e32 v17, v3
	v_fmac_f32_e32 v14, 0x32a5705f, v8
	v_sub_f32_e32 v2, v2, v15
	v_fma_f32 v18, 0x3fb8aa3b, v10, -v11
	v_rndne_f32_e32 v19, v11
	v_dual_add_f32 v1, v1, v12 :: v_dual_fmac_f32 v16, 0x32a5705f, v9
	s_delay_alu instid0(VALU_DEP_4) | instskip(NEXT) | instid1(VALU_DEP_3)
	v_dual_sub_f32 v3, v3, v17 :: v_dual_add_f32 v2, v2, v14
	v_dual_sub_f32 v11, v11, v19 :: v_dual_fmac_f32 v18, 0x32a5705f, v10
	s_delay_alu instid0(VALU_DEP_3) | instskip(NEXT) | instid1(VALU_DEP_2)
	v_exp_f32_e32 v1, v1
	v_add_f32_e32 v3, v3, v16
	s_delay_alu instid0(VALU_DEP_3)
	v_exp_f32_e32 v2, v2
	v_cvt_i32_f32_e32 v12, v13
	v_dual_add_f32 v11, v11, v18 :: v_dual_add_nc_u32 v28, 0x1800, v84
	v_cvt_i32_f32_e32 v13, v15
	v_exp_f32_e32 v3, v3
	v_cvt_i32_f32_e32 v14, v17
	s_delay_alu instid0(VALU_DEP_3) | instskip(SKIP_2) | instid1(TRANS32_DEP_3)
	v_exp_f32_e32 v11, v11
	v_ldexp_f32 v1, v1, v12
	v_cvt_i32_f32_e32 v12, v19
	v_ldexp_f32 v2, v2, v13
	s_barrier_signal -1
	s_barrier_wait -1
	s_wait_alu 0xf1ff
	v_cndmask_b32_e64 v1, 0, v1, s3
	v_cmp_ngt_f32_e64 s3, 0xc2ce8ed0, v8
	v_ldexp_f32 v3, v3, v14
	global_inv scope:SCOPE_SE
	v_ldexp_f32 v11, v11, v12
	s_or_b32 s10, s40, 16
	v_cndmask_b32_e64 v12, 0, v2, s3
	v_cmp_nlt_f32_e64 s3, 0x42b17218, v0
	s_wait_alu 0xfffe
	s_ashr_i32 s11, s10, 31
	s_add_co_i32 s12, s12, -16
	s_wait_alu 0xfffe
	s_mul_u64 s[10:11], s[10:11], s[36:37]
	v_cndmask_b32_e64 v52, 0x7f800000, v1, s3
	v_cmp_ngt_f32_e64 s3, 0xc2ce8ed0, v9
	s_wait_alu 0xfffe
	s_lshl_b64 s[10:11], s[10:11], 2
	s_wait_alu 0xfffe
	s_add_nc_u64 s[10:11], s[38:39], s[10:11]
	v_cndmask_b32_e64 v13, 0, v3, s3
	v_cmp_ngt_f32_e64 s3, 0xc2ce8ed0, v10
	ds_load_b128 v[0:3], v86
	s_wait_alu 0xf1ff
	v_cndmask_b32_e64 v11, 0, v11, s3
	v_cmp_nlt_f32_e64 s3, 0x42b17218, v8
	s_wait_alu 0xf1ff
	s_delay_alu instid0(VALU_DEP_1) | instskip(SKIP_3) | instid1(VALU_DEP_2)
	v_cndmask_b32_e64 v54, 0x7f800000, v12, s3
	v_cmp_nlt_f32_e64 s3, 0x42b17218, v9
	v_cvt_f16_f32_e32 v12, v52
	s_wait_alu 0xf1ff
	v_cndmask_b32_e64 v55, 0x7f800000, v13, s3
	v_cmp_nlt_f32_e64 s3, 0x42b17218, v10
	v_cvt_f16_f32_e32 v13, v54
	v_and_b32_e32 v60, 0xffff, v12
	s_delay_alu instid0(VALU_DEP_4)
	v_cvt_f16_f32_e32 v14, v55
	s_wait_alu 0xf1ff
	v_cndmask_b32_e64 v53, 0x7f800000, v11, s3
	ds_load_b128 v[8:11], v86 offset:16
	v_and_b32_e32 v61, 0xffff, v13
	ds_load_2addr_b64 v[16:19], v28 offset1:24
	ds_load_b128 v[20:23], v86 offset:32
	ds_load_b128 v[24:27], v86 offset:48
	v_and_b32_e32 v62, 0xffff, v14
	v_cvt_f16_f32_e32 v15, v53
	s_wait_dscnt 0x4
	v_lshrrev_b32_e32 v66, 16, v0
	v_lshrrev_b32_e32 v64, 16, v1
	v_and_b32_e32 v73, 0xffff, v0
	v_and_b32_e32 v69, 0xffff, v1
	;; [unrolled: 1-line block ×3, first 2 shown]
	v_lshrrev_b32_e32 v67, 16, v2
	v_lshrrev_b32_e32 v65, 16, v3
	v_and_b32_e32 v74, 0xffff, v2
	v_and_b32_e32 v70, 0xffff, v3
	ds_load_2addr_b64 v[12:15], v28 offset0:48 offset1:72
	s_wait_dscnt 0x4
	v_lshrrev_b32_e32 v75, 16, v8
	v_lshrrev_b32_e32 v71, 16, v9
	v_and_b32_e32 v97, 0xffff, v8
	v_and_b32_e32 v95, 0xffff, v9
	v_lshrrev_b32_e32 v76, 16, v10
	v_lshrrev_b32_e32 v72, 16, v11
	v_and_b32_e32 v98, 0xffff, v10
	v_and_b32_e32 v96, 0xffff, v11
	ds_load_2addr_b64 v[8:11], v28 offset0:96 offset1:120
	ds_load_b128 v[0:3], v86 offset:64
	ds_load_b128 v[32:35], v86 offset:80
	;; [unrolled: 1-line block ×3, first 2 shown]
	s_wait_dscnt 0x6
	v_lshrrev_b32_e32 v105, 16, v20
	v_lshrrev_b32_e32 v99, 16, v21
	v_and_b32_e32 v111, 0xffff, v20
	v_and_b32_e32 v109, 0xffff, v21
	v_lshrrev_b32_e32 v106, 16, v22
	v_lshrrev_b32_e32 v100, 16, v23
	v_and_b32_e32 v112, 0xffff, v22
	v_and_b32_e32 v110, 0xffff, v23
	ds_load_2addr_b64 v[20:23], v28 offset0:144 offset1:168
	s_wait_dscnt 0x6
	v_lshrrev_b32_e32 v108, 16, v24
	v_lshrrev_b32_e32 v107, 16, v25
	v_and_b32_e32 v119, 0xffff, v24
	v_and_b32_e32 v117, 0xffff, v25
	v_lshrrev_b32_e32 v114, 16, v26
	v_lshrrev_b32_e32 v113, 16, v27
	v_and_b32_e32 v120, 0xffff, v26
	v_and_b32_e32 v118, 0xffff, v27
	s_wait_dscnt 0x3
	v_lshrrev_b32_e32 v116, 16, v0
	v_and_b32_e32 v124, 0xffff, v0
	v_add_nc_u32_e32 v0, 0x1c00, v84
	ds_load_2addr_b64 v[24:27], v28 offset0:192 offset1:216
	ds_load_2addr_b64 v[28:31], v0 offset0:112 offset1:136
	ds_load_b128 v[133:136], v86 offset:112
	v_add_nc_u32_e32 v0, 0x2000, v84
	v_lshrrev_b32_e32 v115, 16, v1
	v_and_b32_e32 v123, 0xffff, v1
	v_lshrrev_b32_e32 v122, 16, v2
	v_lshrrev_b32_e32 v121, 16, v3
	v_and_b32_e32 v128, 0xffff, v2
	v_and_b32_e32 v125, 0xffff, v3
	s_wait_dscnt 0x5
	v_lshrrev_b32_e32 v138, 16, v32
	v_lshrrev_b32_e32 v137, 16, v33
	v_and_b32_e32 v151, 0xffff, v32
	v_and_b32_e32 v147, 0xffff, v33
	v_lshrrev_b32_e32 v140, 16, v34
	v_lshrrev_b32_e32 v139, 16, v35
	v_and_b32_e32 v154, 0xffff, v34
	v_and_b32_e32 v152, 0xffff, v35
	ds_load_2addr_b64 v[32:35], v0 offset0:32 offset1:56
	ds_load_2addr_b64 v[0:3], v0 offset0:80 offset1:104
	s_wait_dscnt 0x6
	v_lshrrev_b32_e32 v148, 16, v129
	v_lshrrev_b32_e32 v141, 16, v130
	v_and_b32_e32 v156, 0xffff, v129
	v_and_b32_e32 v155, 0xffff, v130
	v_lshrrev_b32_e32 v149, 16, v131
	v_lshrrev_b32_e32 v142, 16, v132
	v_and_b32_e32 v157, 0xffff, v131
	v_and_b32_e32 v158, 0xffff, v132
	s_wait_dscnt 0x2
	v_lshrrev_b32_e32 v153, 16, v133
	v_lshrrev_b32_e32 v150, 16, v134
	v_and_b32_e32 v164, 0xffff, v133
	v_and_b32_e32 v159, 0xffff, v134
	v_lshrrev_b32_e32 v169, 16, v135
	v_lshrrev_b32_e32 v170, 16, v136
	v_and_b32_e32 v180, 0xffff, v135
	v_and_b32_e32 v179, 0xffff, v136
	s_wait_loadcnt_dscnt 0x0
	s_barrier_signal -1
	s_barrier_wait -1
	global_inv scope:SCOPE_SE
	s_and_saveexec_b32 s5, s4
	s_cbranch_execz .LBB56_81
; %bb.80:
	s_wait_alu 0xfffe
	v_add_co_u32 v38, s3, s10, v38
	s_wait_alu 0xf1ff
	v_add_co_ci_u32_e64 v39, null, s11, v39, s3
	s_delay_alu instid0(VALU_DEP_2) | instskip(SKIP_1) | instid1(VALU_DEP_2)
	v_add_co_u32 v41, s3, v38, v41
	s_wait_alu 0xf1ff
	v_add_co_ci_u32_e64 v39, null, 0, v39, s3
	v_mov_b32_e32 v38, 0
	s_delay_alu instid0(VALU_DEP_3) | instskip(SKIP_1) | instid1(VALU_DEP_3)
	v_add_co_u32 v41, s3, 0x80, v41
	s_wait_alu 0xf1ff
	v_add_co_ci_u32_e64 v126, null, 0, v39, s3
	v_cmp_gt_i32_e64 s3, s12, v40
	v_dual_mov_b32 v39, v38 :: v_dual_mov_b32 v40, v38
	s_clause 0x1
	scratch_store_b32 off, v38, off
	scratch_store_b96 off, v[38:40], off offset:4
	s_wait_alu 0xf1ff
	v_cndmask_b32_e64 v127, s7, v126, s3
	v_cndmask_b32_e64 v126, 0, v41, s3
	flat_load_b128 v[38:41], v[126:127]
	s_wait_loadcnt_dscnt 0x0
	ds_store_b128 v59, v[38:41]
.LBB56_81:
	s_wait_alu 0xfffe
	s_or_b32 exec_lo, exec_lo, s5
	v_mul_u32_u24_e32 v171, 0x10001, v60
	v_mul_u32_u24_e32 v172, 0x10001, v61
	;; [unrolled: 1-line block ×68, first 2 shown]
	s_and_saveexec_b32 s3, vcc_lo
	s_cbranch_execz .LBB56_83
; %bb.82:
	v_add_co_u32 v36, vcc_lo, s10, v36
	s_wait_alu 0xfffd
	v_add_co_ci_u32_e64 v37, null, s11, v37, vcc_lo
	s_delay_alu instid0(VALU_DEP_2) | instskip(SKIP_1) | instid1(VALU_DEP_2)
	v_add_co_u32 v36, vcc_lo, v36, v58
	s_wait_alu 0xfffd
	v_add_co_ci_u32_e64 v37, null, 0, v37, vcc_lo
	v_cmp_gt_i32_e32 vcc_lo, s12, v56
	s_wait_alu 0xfffd
	s_delay_alu instid0(VALU_DEP_2) | instskip(NEXT) | instid1(VALU_DEP_1)
	v_dual_mov_b32 v114, 0 :: v_dual_cndmask_b32 v37, s9, v37
	v_dual_mov_b32 v115, v114 :: v_dual_mov_b32 v116, v114
	v_cndmask_b32_e32 v36, 0, v36, vcc_lo
	s_clause 0x1
	scratch_store_b32 off, v114, off
	scratch_store_b96 off, v[114:116], off offset:4
	flat_load_b128 v[120:123], v[36:37]
	s_wait_loadcnt_dscnt 0x0
	ds_store_b128 v57, v[120:123]
.LBB56_83:
	s_wait_alu 0xfffe
	s_or_b32 exec_lo, exec_lo, s3
	v_pk_mul_f16 v57, v16, v174
	v_pk_mul_f16 v36, v94, v171
	;; [unrolled: 1-line block ×8, first 2 shown]
	v_pk_fma_f16 v57, v93, v171, v57
	v_pk_fma_f16 v58, v91, v172, v58
	;; [unrolled: 1-line block ×111, first 2 shown]
	s_wait_storecnt 0x0
	s_wait_loadcnt_dscnt 0x0
	s_barrier_signal -1
	s_barrier_wait -1
	global_inv scope:SCOPE_SE
	ds_load_b128 v[8:11], v86 offset:128
	v_pk_fma_f16 v12, v35, v64, v12
	v_pk_fma_f16 v14, v35, v65, v14
	;; [unrolled: 1-line block ×4, first 2 shown]
	v_dual_fmac_f32 v49, v104, v54 :: v_dual_add_nc_u32 v24, 0x1800, v84
	v_pk_fma_f16 v0, v0, v62, v16
	v_pk_fma_f16 v16, v1, v59, v17
	;; [unrolled: 1-line block ×6, first 2 shown]
	ds_load_2addr_b64 v[12:15], v24 offset1:24
	v_pk_fma_f16 v1, v1, v62, v18
	v_pk_fma_f16 v25, v2, v38, v19
	;; [unrolled: 1-line block ×7, first 2 shown]
	v_dual_fmac_f32 v50, v102, v55 :: v_dual_fmac_f32 v51, v101, v53
	ds_load_b128 v[0:3], v86 offset:144
	s_wait_dscnt 0x2
	v_dual_fmac_f32 v48, v103, v52 :: v_dual_and_b32 v17, 0xffff, v9
	v_dual_mov_b32 v101, v51 :: v_dual_and_b32 v16, 0xffff, v8
	v_lshrrev_b32_e32 v8, 16, v8
	v_lshrrev_b32_e32 v9, 16, v9
	s_delay_alu instid0(VALU_DEP_4) | instskip(NEXT) | instid1(VALU_DEP_4)
	v_mul_u32_u24_e32 v34, 0x10001, v17
	v_mul_u32_u24_e32 v33, 0x10001, v16
	ds_load_b128 v[16:19], v86 offset:160
	ds_load_b128 v[20:23], v86 offset:176
	v_mul_u32_u24_e32 v8, 0x10001, v8
	v_mul_u32_u24_e32 v35, 0x10001, v9
	s_wait_dscnt 0x3
	v_pk_fma_f16 v27, v12, v34, v27
	v_pk_fma_f16 v25, v12, v33, v25
	v_lshrrev_b32_e32 v9, 16, v10
	v_pk_fma_f16 v26, v12, v8, v26
	v_pk_fma_f16 v12, v12, v35, v28
	;; [unrolled: 1-line block ×4, first 2 shown]
	v_dual_mov_b32 v103, v48 :: v_dual_and_b32 v8, 0xffff, v10
	v_pk_fma_f16 v30, v13, v34, v31
	v_dual_mov_b32 v102, v50 :: v_dual_and_b32 v31, 0xffff, v11
	v_lshrrev_b32_e32 v33, 16, v11
	s_delay_alu instid0(VALU_DEP_4)
	v_mul_u32_u24_e32 v34, 0x10001, v8
	v_mul_u32_u24_e32 v36, 0x10001, v9
	ds_load_2addr_b64 v[8:11], v24 offset0:48 offset1:72
	v_mul_u32_u24_e32 v31, 0x10001, v31
	v_mul_u32_u24_e32 v33, 0x10001, v33
	v_pk_fma_f16 v13, v13, v35, v32
	v_pk_fma_f16 v25, v14, v34, v25
	;; [unrolled: 1-line block ×7, first 2 shown]
	s_wait_dscnt 0x3
	v_dual_mov_b32 v104, v49 :: v_dual_and_b32 v29, 0xffff, v0
	v_lshrrev_b32_e32 v0, 16, v0
	v_and_b32_e32 v32, 0xffff, v1
	v_lshrrev_b32_e32 v1, 16, v1
	v_pk_fma_f16 v30, v15, v31, v30
	v_mul_u32_u24_e32 v29, 0x10001, v29
	v_mul_u32_u24_e32 v0, 0x10001, v0
	;; [unrolled: 1-line block ×4, first 2 shown]
	v_pk_fma_f16 v13, v15, v33, v13
	s_wait_dscnt 0x0
	v_pk_fma_f16 v15, v8, v29, v25
	v_pk_fma_f16 v25, v8, v0, v26
	;; [unrolled: 1-line block ×6, first 2 shown]
	v_and_b32_e32 v0, 0xffff, v2
	v_lshrrev_b32_e32 v1, 16, v2
	v_pk_fma_f16 v27, v9, v31, v30
	v_and_b32_e32 v28, 0xffff, v3
	v_lshrrev_b32_e32 v29, 16, v3
	v_mul_u32_u24_e32 v30, 0x10001, v0
	v_mul_u32_u24_e32 v31, 0x10001, v1
	ds_load_2addr_b64 v[0:3], v24 offset0:96 offset1:120
	v_mul_u32_u24_e32 v28, 0x10001, v28
	v_mul_u32_u24_e32 v29, 0x10001, v29
	v_pk_fma_f16 v9, v9, v32, v13
	v_pk_fma_f16 v13, v10, v30, v15
	;; [unrolled: 1-line block ×7, first 2 shown]
	v_and_b32_e32 v14, 0xffff, v16
	v_lshrrev_b32_e32 v16, 16, v16
	v_and_b32_e32 v26, 0xffff, v17
	v_lshrrev_b32_e32 v17, 16, v17
	v_pk_fma_f16 v27, v11, v28, v27
	v_mul_u32_u24_e32 v14, 0x10001, v14
	v_mul_u32_u24_e32 v16, 0x10001, v16
	;; [unrolled: 1-line block ×4, first 2 shown]
	v_pk_fma_f16 v28, v11, v29, v9
	s_wait_dscnt 0x0
	v_pk_fma_f16 v13, v0, v14, v13
	v_pk_fma_f16 v15, v0, v16, v15
	;; [unrolled: 1-line block ×4, first 2 shown]
	v_and_b32_e32 v8, 0xffff, v18
	v_lshrrev_b32_e32 v9, 16, v18
	v_pk_fma_f16 v14, v1, v14, v10
	v_pk_fma_f16 v12, v1, v16, v12
	;; [unrolled: 1-line block ×3, first 2 shown]
	v_and_b32_e32 v18, 0xffff, v19
	v_lshrrev_b32_e32 v19, 16, v19
	v_mul_u32_u24_e32 v26, 0x10001, v8
	v_mul_u32_u24_e32 v27, 0x10001, v9
	ds_load_2addr_b64 v[8:11], v24 offset0:144 offset1:168
	v_mul_u32_u24_e32 v18, 0x10001, v18
	v_mul_u32_u24_e32 v19, 0x10001, v19
	v_pk_fma_f16 v1, v1, v17, v28
	v_pk_fma_f16 v13, v2, v26, v13
	;; [unrolled: 1-line block ×6, first 2 shown]
	v_and_b32_e32 v14, 0xffff, v20
	v_lshrrev_b32_e32 v20, 16, v20
	v_and_b32_e32 v25, 0xffff, v21
	v_lshrrev_b32_e32 v21, 16, v21
	v_pk_fma_f16 v16, v3, v18, v16
	v_mul_u32_u24_e32 v14, 0x10001, v14
	v_mul_u32_u24_e32 v18, 0x10001, v20
	;; [unrolled: 1-line block ×4, first 2 shown]
	v_pk_fma_f16 v12, v3, v27, v12
	v_pk_fma_f16 v19, v3, v19, v1
	s_wait_dscnt 0x0
	v_pk_fma_f16 v25, v8, v14, v13
	v_pk_fma_f16 v26, v8, v18, v15
	;; [unrolled: 1-line block ×5, first 2 shown]
	ds_load_b128 v[0:3], v86 offset:192
	v_pk_fma_f16 v18, v9, v18, v12
	v_and_b32_e32 v12, 0xffff, v22
	v_lshrrev_b32_e32 v13, 16, v22
	v_and_b32_e32 v14, 0xffff, v23
	v_pk_fma_f16 v20, v9, v20, v16
	v_lshrrev_b32_e32 v16, 16, v23
	v_mul_u32_u24_e32 v22, 0x10001, v12
	v_mul_u32_u24_e32 v23, 0x10001, v13
	;; [unrolled: 1-line block ×3, first 2 shown]
	ds_load_2addr_b64 v[12:15], v24 offset0:192 offset1:216
	v_mul_u32_u24_e32 v24, 0x10001, v16
	v_pk_fma_f16 v9, v9, v21, v19
	v_pk_fma_f16 v21, v10, v22, v25
	;; [unrolled: 1-line block ×7, first 2 shown]
	ds_load_b128 v[16:19], v86 offset:208
	s_wait_dscnt 0x2
	v_and_b32_e32 v23, 0xffff, v0
	v_lshrrev_b32_e32 v0, 16, v0
	v_and_b32_e32 v27, 0xffff, v1
	v_lshrrev_b32_e32 v1, 16, v1
	v_pk_fma_f16 v20, v11, v28, v20
	v_mul_u32_u24_e32 v23, 0x10001, v23
	v_mul_u32_u24_e32 v0, 0x10001, v0
	;; [unrolled: 1-line block ×4, first 2 shown]
	v_pk_fma_f16 v9, v11, v24, v9
	s_wait_dscnt 0x1
	v_pk_fma_f16 v11, v12, v23, v21
	v_pk_fma_f16 v21, v12, v0, v25
	;; [unrolled: 1-line block ×5, first 2 shown]
	v_and_b32_e32 v0, 0xffff, v2
	v_lshrrev_b32_e32 v1, 16, v2
	v_add_nc_u32_e32 v2, 0x1c00, v84
	v_pk_fma_f16 v10, v13, v23, v10
	v_and_b32_e32 v22, 0xffff, v3
	v_lshrrev_b32_e32 v23, 16, v3
	v_mul_u32_u24_e32 v25, 0x10001, v0
	v_mul_u32_u24_e32 v26, 0x10001, v1
	ds_load_2addr_b64 v[0:3], v2 offset0:112 offset1:136
	v_mul_u32_u24_e32 v22, 0x10001, v22
	v_mul_u32_u24_e32 v23, 0x10001, v23
	v_pk_fma_f16 v20, v13, v27, v20
	v_pk_fma_f16 v9, v13, v28, v9
	;; [unrolled: 1-line block ×6, first 2 shown]
	s_wait_dscnt 0x1
	v_and_b32_e32 v14, 0xffff, v16
	v_lshrrev_b32_e32 v16, 16, v16
	v_and_b32_e32 v24, 0xffff, v17
	v_lshrrev_b32_e32 v17, 16, v17
	v_pk_fma_f16 v10, v15, v25, v10
	v_pk_fma_f16 v20, v15, v22, v20
	v_mul_u32_u24_e32 v14, 0x10001, v14
	v_mul_u32_u24_e32 v16, 0x10001, v16
	;; [unrolled: 1-line block ×4, first 2 shown]
	v_pk_fma_f16 v12, v15, v26, v12
	v_pk_fma_f16 v23, v15, v23, v9
	s_wait_dscnt 0x0
	v_pk_fma_f16 v24, v0, v14, v11
	v_pk_fma_f16 v25, v0, v16, v13
	;; [unrolled: 1-line block ×5, first 2 shown]
	ds_load_b128 v[8:11], v86 offset:224
	v_pk_fma_f16 v16, v1, v16, v12
	v_pk_fma_f16 v20, v1, v22, v20
	v_and_b32_e32 v12, 0xffff, v18
	v_lshrrev_b32_e32 v13, 16, v18
	v_and_b32_e32 v14, 0xffff, v19
	v_add_nc_u32_e32 v22, 0x2000, v84
	v_lshrrev_b32_e32 v18, 16, v19
	v_mul_u32_u24_e32 v19, 0x10001, v12
	v_mul_u32_u24_e32 v27, 0x10001, v13
	;; [unrolled: 1-line block ×3, first 2 shown]
	ds_load_2addr_b64 v[12:15], v22 offset0:32 offset1:56
	v_mul_u32_u24_e32 v29, 0x10001, v18
	v_pk_fma_f16 v1, v1, v17, v23
	v_pk_fma_f16 v23, v2, v19, v24
	;; [unrolled: 1-line block ×7, first 2 shown]
	ds_load_b128 v[16:19], v86 offset:240
	s_wait_dscnt 0x2
	v_and_b32_e32 v26, 0xffff, v8
	v_lshrrev_b32_e32 v8, 16, v8
	v_and_b32_e32 v27, 0xffff, v9
	v_lshrrev_b32_e32 v9, 16, v9
	v_pk_fma_f16 v20, v3, v28, v20
	v_mul_u32_u24_e32 v26, 0x10001, v26
	v_mul_u32_u24_e32 v8, 0x10001, v8
	;; [unrolled: 1-line block ×4, first 2 shown]
	v_pk_fma_f16 v28, v3, v29, v1
	s_wait_dscnt 0x1
	v_pk_fma_f16 v23, v12, v26, v23
	v_pk_fma_f16 v24, v12, v8, v24
	;; [unrolled: 1-line block ×4, first 2 shown]
	v_and_b32_e32 v0, 0xffff, v10
	v_lshrrev_b32_e32 v1, 16, v10
	v_pk_fma_f16 v26, v13, v26, v2
	v_pk_fma_f16 v8, v13, v8, v25
	;; [unrolled: 1-line block ×3, first 2 shown]
	v_mul_u32_u24_e32 v25, 0x10001, v0
	v_mul_u32_u24_e32 v27, 0x10001, v1
	ds_load_2addr_b64 v[0:3], v22 offset0:80 offset1:104
	v_and_b32_e32 v20, 0xffff, v11
	v_lshrrev_b32_e32 v11, 16, v11
	v_pk_fma_f16 v9, v13, v9, v28
	v_pk_fma_f16 v13, v14, v25, v23
	;; [unrolled: 1-line block ×3, first 2 shown]
	v_mul_u32_u24_e32 v20, 0x10001, v20
	v_mul_u32_u24_e32 v11, 0x10001, v11
	s_wait_dscnt 0x1
	v_and_b32_e32 v23, 0xffff, v16
	v_lshrrev_b32_e32 v16, 16, v16
	v_and_b32_e32 v24, 0xffff, v17
	v_lshrrev_b32_e32 v17, 16, v17
	v_pk_fma_f16 v21, v14, v20, v21
	v_pk_fma_f16 v12, v14, v11, v12
	;; [unrolled: 1-line block ×5, first 2 shown]
	v_mul_u32_u24_e32 v20, 0x10001, v23
	v_mul_u32_u24_e32 v16, 0x10001, v16
	;; [unrolled: 1-line block ×4, first 2 shown]
	v_pk_fma_f16 v9, v15, v11, v9
	s_wait_dscnt 0x0
	v_pk_fma_f16 v11, v0, v20, v13
	v_pk_fma_f16 v13, v0, v16, v22
	v_pk_fma_f16 v15, v0, v23, v21
	v_pk_fma_f16 v0, v0, v17, v12
	v_pk_fma_f16 v12, v1, v20, v14
	v_pk_fma_f16 v8, v1, v16, v8
	v_and_b32_e32 v14, 0xffff, v18
	v_lshrrev_b32_e32 v16, 16, v18
	v_and_b32_e32 v18, 0xffff, v19
	v_lshrrev_b32_e32 v19, 16, v19
	v_pk_fma_f16 v10, v1, v23, v10
	v_mul_u32_u24_e32 v14, 0x10001, v14
	v_mul_u32_u24_e32 v16, 0x10001, v16
	;; [unrolled: 1-line block ×4, first 2 shown]
	v_pk_fma_f16 v1, v1, v17, v9
	v_pk_fma_f16 v93, v2, v14, v11
	;; [unrolled: 1-line block ×9, first 2 shown]
	v_dual_mov_b32 v0, v4 :: v_dual_mov_b32 v1, v5
	v_dual_mov_b32 v2, v6 :: v_dual_mov_b32 v3, v7
	s_wait_loadcnt 0x0
	s_barrier_signal -1
	s_barrier_wait -1
	global_inv scope:SCOPE_SE
.LBB56_84:
	v_cmp_lt_i32_e32 vcc_lo, v47, v42
	s_cmp_eq_u64 s[16:17], 0
	s_cselect_b32 s3, -1, 0
	s_cmp_lg_u32 s18, 0
	s_wait_alu 0xfffd
	v_cndmask_b32_e32 v4, v85, v47, vcc_lo
	v_cmp_lt_i32_e32 vcc_lo, v46, v42
	s_cselect_b32 s4, -1, 0
	s_wait_alu 0xfffe
	s_or_b32 s3, s4, s3
	v_lshlrev_b32_e32 v4, 2, v4
	ds_bpermute_b32 v7, v4, v102
	s_wait_dscnt 0x0
	v_add_f32_e32 v7, v102, v7
	ds_bpermute_b32 v5, v4, v103
	s_wait_alu 0xfffd
	v_cndmask_b32_e32 v8, v85, v46, vcc_lo
	ds_bpermute_b32 v6, v4, v104
	ds_bpermute_b32 v4, v4, v101
	v_cmp_lt_i32_e32 vcc_lo, v45, v42
	s_wait_alu 0xfffd
	v_cndmask_b32_e32 v12, v85, v45, vcc_lo
	v_cmp_lt_i32_e32 vcc_lo, v44, v42
	s_wait_dscnt 0x2
	s_delay_alu instid0(VALU_DEP_2)
	v_dual_add_f32 v5, v103, v5 :: v_dual_lshlrev_b32 v12, 2, v12
	v_lshlrev_b32_e32 v8, 2, v8
	ds_bpermute_b32 v9, v8, v5
	s_wait_dscnt 0x0
	v_add_f32_e32 v5, v5, v9
	ds_bpermute_b32 v11, v8, v7
	v_add_f32_e32 v6, v104, v6
	ds_bpermute_b32 v10, v8, v6
	s_wait_dscnt 0x1
	v_dual_add_f32 v7, v7, v11 :: v_dual_add_f32 v4, v101, v4
	ds_bpermute_b32 v8, v8, v4
	s_wait_dscnt 0x0
	v_add_f32_e32 v4, v4, v8
	ds_bpermute_b32 v8, v12, v5
	ds_bpermute_b32 v11, v12, v4
	s_wait_dscnt 0x1
	v_dual_add_f32 v5, v5, v8 :: v_dual_add_f32 v6, v6, v10
	ds_bpermute_b32 v10, v12, v7
	s_wait_dscnt 0x1
	v_add_f32_e32 v4, v4, v11
	ds_bpermute_b32 v9, v12, v6
	s_wait_alu 0xfffd
	v_cndmask_b32_e32 v12, v85, v44, vcc_lo
	v_cmp_lt_i32_e32 vcc_lo, v43, v42
	s_delay_alu instid0(VALU_DEP_2)
	v_lshlrev_b32_e32 v12, 2, v12
	ds_bpermute_b32 v8, v12, v5
	ds_bpermute_b32 v11, v12, v4
	s_wait_dscnt 0x3
	v_add_f32_e32 v7, v7, v10
	ds_bpermute_b32 v10, v12, v7
	s_wait_dscnt 0x2
	v_dual_add_f32 v5, v5, v8 :: v_dual_add_f32 v6, v6, v9
	s_wait_dscnt 0x1
	v_add_f32_e32 v8, v4, v11
	ds_bpermute_b32 v9, v12, v6
	s_wait_alu 0xfffd
	v_cndmask_b32_e32 v12, v85, v43, vcc_lo
	s_wait_alu 0xfffe
	s_and_b32 vcc_lo, exec_lo, s3
	s_wait_dscnt 0x1
	s_delay_alu instid0(VALU_DEP_1)
	v_dual_add_f32 v7, v7, v10 :: v_dual_lshlrev_b32 v12, 2, v12
	ds_bpermute_b32 v4, v12, v5
	ds_bpermute_b32 v10, v12, v7
	;; [unrolled: 1-line block ×3, first 2 shown]
	s_wait_dscnt 0x3
	v_add_f32_e32 v6, v6, v9
	ds_bpermute_b32 v9, v12, v6
	s_wait_dscnt 0x0
	v_dual_add_f32 v4, v5, v4 :: v_dual_add_f32 v5, v6, v9
	v_dual_add_f32 v6, v7, v10 :: v_dual_add_f32 v7, v8, v11
	s_wait_alu 0xfffe
	s_cbranch_vccnz .LBB56_87
; %bb.85:
	v_dual_mov_b32 v8, 0 :: v_dual_max_num_f32 v9, v0, v0
	s_lshl_b64 s[4:5], s[28:29], 2
	v_dual_max_num_f32 v14, v2, v2 :: v_dual_max_num_f32 v15, v3, v3
	s_wait_alu 0xfffe
	s_add_nc_u64 s[4:5], s[16:17], s[4:5]
	v_max_num_f32_e32 v11, v1, v1
	global_load_b32 v8, v8, s[4:5]
	s_wait_loadcnt 0x0
	v_max_num_f32_e32 v10, v8, v8
	s_delay_alu instid0(VALU_DEP_1) | instskip(NEXT) | instid1(VALU_DEP_1)
	v_max_num_f32_e32 v15, v15, v10
	v_dual_max_num_f32 v12, v9, v10 :: v_dual_sub_f32 v3, v3, v15
	s_delay_alu instid0(VALU_DEP_1) | instskip(SKIP_1) | instid1(VALU_DEP_2)
	v_dual_max_num_f32 v13, v11, v10 :: v_dual_sub_f32 v0, v0, v12
	v_dual_max_num_f32 v14, v14, v10 :: v_dual_sub_f32 v9, v8, v12
	v_sub_f32_e32 v1, v1, v13
	v_sub_f32_e32 v10, v8, v13
	s_delay_alu instid0(VALU_DEP_3) | instskip(NEXT) | instid1(VALU_DEP_4)
	v_sub_f32_e32 v11, v8, v14
	v_dual_sub_f32 v16, v8, v15 :: v_dual_mul_f32 v17, 0x3fb8aa3b, v9
	v_mul_f32_e32 v8, 0x3fb8aa3b, v0
	v_sub_f32_e32 v2, v2, v14
	v_dual_mul_f32 v18, 0x3fb8aa3b, v1 :: v_dual_mul_f32 v19, 0x3fb8aa3b, v10
	v_mul_f32_e32 v21, 0x3fb8aa3b, v11
	s_delay_alu instid0(VALU_DEP_4)
	v_fma_f32 v24, 0x3fb8aa3b, v0, -v8
	v_rndne_f32_e32 v25, v8
	v_mul_f32_e32 v20, 0x3fb8aa3b, v2
	v_fma_f32 v26, 0x3fb8aa3b, v9, -v17
	v_rndne_f32_e32 v27, v17
	v_rndne_f32_e32 v31, v19
	v_fmac_f32_e32 v24, 0x32a5705f, v0
	v_sub_f32_e32 v8, v8, v25
	v_rndne_f32_e32 v29, v18
	v_fma_f32 v30, 0x3fb8aa3b, v10, -v19
	v_rndne_f32_e32 v35, v21
	v_dual_fmac_f32 v26, 0x32a5705f, v9 :: v_dual_sub_f32 v17, v17, v27
	v_dual_sub_f32 v19, v19, v31 :: v_dual_add_f32 v8, v8, v24
	v_fma_f32 v28, 0x3fb8aa3b, v1, -v18
	v_fma_f32 v34, 0x3fb8aa3b, v11, -v21
	v_dual_sub_f32 v21, v21, v35 :: v_dual_sub_f32 v18, v18, v29
	v_add_f32_e32 v17, v17, v26
	v_exp_f32_e32 v8, v8
	v_dual_mul_f32 v22, 0x3fb8aa3b, v3 :: v_dual_mul_f32 v23, 0x3fb8aa3b, v16
	v_cvt_i32_f32_e32 v25, v25
	s_delay_alu instid0(VALU_DEP_3)
	v_exp_f32_e32 v17, v17
	v_cvt_i32_f32_e32 v27, v27
	v_cmp_ngt_f32_e32 vcc_lo, 0xc2ce8ed0, v0
	v_rndne_f32_e32 v39, v23
	v_fmac_f32_e32 v28, 0x32a5705f, v1
	v_rndne_f32_e32 v33, v20
	s_delay_alu instid0(TRANS32_DEP_2) | instskip(SKIP_1) | instid1(VALU_DEP_4)
	v_ldexp_f32 v8, v8, v25
	v_fma_f32 v38, 0x3fb8aa3b, v16, -v23
	v_dual_sub_f32 v23, v23, v39 :: v_dual_add_f32 v18, v18, v28
	s_delay_alu instid0(TRANS32_DEP_1)
	v_ldexp_f32 v17, v17, v27
	s_wait_alu 0xfffd
	v_cndmask_b32_e32 v8, 0, v8, vcc_lo
	v_cmp_ngt_f32_e32 vcc_lo, 0xc2ce8ed0, v9
	v_fmac_f32_e32 v30, 0x32a5705f, v10
	v_fma_f32 v32, 0x3fb8aa3b, v2, -v20
	v_exp_f32_e32 v18, v18
	v_cvt_i32_f32_e32 v29, v29
	s_wait_alu 0xfffd
	v_cndmask_b32_e32 v17, 0, v17, vcc_lo
	v_dual_sub_f32 v20, v20, v33 :: v_dual_add_f32 v19, v19, v30
	v_cvt_i32_f32_e32 v31, v31
	v_cmp_ngt_f32_e32 vcc_lo, 0xc2ce8ed0, v1
	v_cvt_i32_f32_e32 v33, v33
	v_fma_f32 v36, 0x3fb8aa3b, v3, -v22
	v_exp_f32_e32 v19, v19
	v_ldexp_f32 v18, v18, v29
	v_rndne_f32_e32 v37, v22
	v_cvt_i32_f32_e32 v26, v39
	v_cvt_i32_f32_e32 v35, v35
	s_wait_alu 0xfffd
	v_cndmask_b32_e32 v18, 0, v18, vcc_lo
	v_cmp_ngt_f32_e32 vcc_lo, 0xc2ce8ed0, v10
	v_cvt_i32_f32_e32 v24, v37
	s_delay_alu instid0(TRANS32_DEP_1) | instskip(SKIP_1) | instid1(VALU_DEP_1)
	v_ldexp_f32 v19, v19, v31
	s_wait_alu 0xfffd
	v_dual_fmac_f32 v32, 0x32a5705f, v2 :: v_dual_cndmask_b32 v19, 0, v19
	s_delay_alu instid0(VALU_DEP_1) | instskip(SKIP_1) | instid1(VALU_DEP_2)
	v_add_f32_e32 v20, v20, v32
	v_cmp_ngt_f32_e32 vcc_lo, 0xc2ce8ed0, v2
	v_exp_f32_e32 v20, v20
	s_delay_alu instid0(TRANS32_DEP_1) | instskip(SKIP_1) | instid1(VALU_DEP_1)
	v_ldexp_f32 v20, v20, v33
	s_wait_alu 0xfffd
	v_cndmask_b32_e32 v20, 0, v20, vcc_lo
	v_cmp_ngt_f32_e32 vcc_lo, 0xc2ce8ed0, v11
	v_fmac_f32_e32 v38, 0x32a5705f, v16
	s_delay_alu instid0(VALU_DEP_1) | instskip(NEXT) | instid1(VALU_DEP_1)
	v_dual_fmac_f32 v34, 0x32a5705f, v11 :: v_dual_add_f32 v23, v23, v38
	v_dual_fmac_f32 v36, 0x32a5705f, v3 :: v_dual_add_f32 v21, v21, v34
	s_delay_alu instid0(VALU_DEP_2) | instskip(NEXT) | instid1(VALU_DEP_1)
	v_exp_f32_e32 v23, v23
	v_exp_f32_e32 v21, v21
	s_delay_alu instid0(TRANS32_DEP_2) | instskip(SKIP_1) | instid1(TRANS32_DEP_1)
	v_ldexp_f32 v23, v23, v26
	v_sub_f32_e32 v22, v22, v37
	v_ldexp_f32 v21, v21, v35
	s_wait_alu 0xfffd
	s_delay_alu instid0(VALU_DEP_1) | instskip(SKIP_1) | instid1(VALU_DEP_2)
	v_dual_add_f32 v22, v22, v36 :: v_dual_cndmask_b32 v21, 0, v21
	v_cmp_ngt_f32_e32 vcc_lo, 0xc2ce8ed0, v3
	v_exp_f32_e32 v22, v22
	s_delay_alu instid0(TRANS32_DEP_1) | instskip(SKIP_1) | instid1(VALU_DEP_1)
	v_ldexp_f32 v22, v22, v24
	s_wait_alu 0xfffd
	v_cndmask_b32_e32 v22, 0, v22, vcc_lo
	v_cmp_ngt_f32_e32 vcc_lo, 0xc2ce8ed0, v16
	s_wait_alu 0xfffd
	v_cndmask_b32_e32 v23, 0, v23, vcc_lo
	v_cmp_nlt_f32_e32 vcc_lo, 0x42b17218, v0
	s_wait_alu 0xfffd
	v_cndmask_b32_e32 v0, 0x7f800000, v8, vcc_lo
	v_cmp_nlt_f32_e32 vcc_lo, 0x42b17218, v9
	s_wait_alu 0xfffd
	v_cndmask_b32_e32 v8, 0x7f800000, v17, vcc_lo
	v_cmp_nlt_f32_e32 vcc_lo, 0x42b17218, v1
	s_wait_alu 0xfffd
	s_delay_alu instid0(VALU_DEP_2) | instskip(SKIP_4) | instid1(VALU_DEP_2)
	v_dual_fmac_f32 v8, v4, v0 :: v_dual_cndmask_b32 v1, 0x7f800000, v18
	v_cmp_nlt_f32_e32 vcc_lo, 0x42b17218, v10
	s_wait_alu 0xfffd
	v_cndmask_b32_e32 v9, 0x7f800000, v19, vcc_lo
	v_cmp_nlt_f32_e32 vcc_lo, 0x42b17218, v2
	v_fmac_f32_e32 v9, v5, v1
	v_cvt_f16_f32_e32 v1, v1
	s_delay_alu instid0(VALU_DEP_1) | instskip(SKIP_3) | instid1(VALU_DEP_3)
	v_and_b32_e32 v1, 0xffff, v1
	s_wait_alu 0xfffd
	v_cndmask_b32_e32 v2, 0x7f800000, v20, vcc_lo
	v_cmp_nlt_f32_e32 vcc_lo, 0x42b17218, v11
	v_mul_u32_u24_e32 v1, 0x10001, v1
	s_wait_alu 0xfffd
	v_cndmask_b32_e32 v10, 0x7f800000, v21, vcc_lo
	v_cmp_nlt_f32_e32 vcc_lo, 0x42b17218, v3
	s_delay_alu instid0(VALU_DEP_3) | instskip(SKIP_1) | instid1(VALU_DEP_4)
	v_pk_mul_f16 v91, v91, v1
	v_pk_mul_f16 v92, v92, v1
	v_fmac_f32_e32 v10, v6, v2
	s_wait_alu 0xfffd
	v_cndmask_b32_e32 v3, 0x7f800000, v22, vcc_lo
	v_cmp_nlt_f32_e32 vcc_lo, 0x42b17218, v16
	s_delay_alu instid0(VALU_DEP_2) | instskip(SKIP_2) | instid1(VALU_DEP_1)
	v_cvt_f16_f32_e32 v4, v3
	s_wait_alu 0xfffd
	v_cndmask_b32_e32 v11, 0x7f800000, v23, vcc_lo
	v_fmac_f32_e32 v11, v7, v3
	s_delay_alu instid0(VALU_DEP_3) | instskip(SKIP_2) | instid1(VALU_DEP_4)
	v_dual_mov_b32 v4, v8 :: v_dual_and_b32 v3, 0xffff, v4
	v_mov_b32_e32 v5, v9
	v_cvt_f16_f32_e32 v0, v0
	v_mov_b32_e32 v7, v11
	v_cvt_f16_f32_e32 v2, v2
	v_mul_u32_u24_e32 v3, 0x10001, v3
	v_mov_b32_e32 v6, v10
	v_and_b32_e32 v0, 0xffff, v0
	s_delay_alu instid0(VALU_DEP_4) | instskip(NEXT) | instid1(VALU_DEP_4)
	v_and_b32_e32 v2, 0xffff, v2
	v_pk_mul_f16 v88, v88, v3
	v_pk_mul_f16 v87, v87, v3
	s_delay_alu instid0(VALU_DEP_4) | instskip(NEXT) | instid1(VALU_DEP_4)
	v_mul_u32_u24_e32 v0, 0x10001, v0
	v_mul_u32_u24_e32 v2, 0x10001, v2
	s_delay_alu instid0(VALU_DEP_2) | instskip(SKIP_1) | instid1(VALU_DEP_3)
	v_pk_mul_f16 v93, v93, v0
	v_pk_mul_f16 v94, v94, v0
	;; [unrolled: 1-line block ×4, first 2 shown]
	v_dual_mov_b32 v0, v12 :: v_dual_mov_b32 v1, v13
	v_dual_mov_b32 v2, v14 :: v_dual_mov_b32 v3, v15
	s_mov_b32 s3, exec_lo
	v_cmpx_gt_i32_e64 s26, v83
	s_cbranch_execnz .LBB56_88
.LBB56_86:
	s_nop 0
	s_sendmsg sendmsg(MSG_DEALLOC_VGPRS)
	s_endpgm
.LBB56_87:
	s_delay_alu instid0(VALU_DEP_2) | instskip(NEXT) | instid1(VALU_DEP_2)
	v_dual_mov_b32 v8, v4 :: v_dual_mov_b32 v9, v5
	v_dual_mov_b32 v10, v6 :: v_dual_mov_b32 v11, v7
	s_mov_b32 s3, exec_lo
	v_cmpx_gt_i32_e64 s26, v83
	s_cbranch_execz .LBB56_86
.LBB56_88:
	s_load_b32 s0, s[0:1], 0xd4
	v_mov_b32_e32 v14, 1.0
	s_wait_kmcnt 0x0
	s_cmp_lg_u32 s0, 1
	s_cselect_b32 s3, -1, 0
	s_cmp_eq_u32 s0, 1
	s_cselect_b32 s4, -1, 0
	s_wait_alu 0xfffe
	s_and_b32 vcc_lo, exec_lo, s3
	s_wait_alu 0xfffe
	s_cbranch_vccnz .LBB56_90
; %bb.89:
	v_div_scale_f32 v12, null, v8, v8, 1.0
	s_delay_alu instid0(VALU_DEP_1) | instskip(NEXT) | instid1(TRANS32_DEP_1)
	v_rcp_f32_e32 v13, v12
	v_fma_f32 v14, -v12, v13, 1.0
	s_delay_alu instid0(VALU_DEP_1) | instskip(SKIP_1) | instid1(VALU_DEP_1)
	v_fmac_f32_e32 v13, v14, v13
	v_div_scale_f32 v14, vcc_lo, 1.0, v8, 1.0
	v_mul_f32_e32 v15, v14, v13
	s_delay_alu instid0(VALU_DEP_1) | instskip(NEXT) | instid1(VALU_DEP_1)
	v_fma_f32 v16, -v12, v15, v14
	v_fmac_f32_e32 v15, v16, v13
	s_delay_alu instid0(VALU_DEP_1) | instskip(SKIP_1) | instid1(VALU_DEP_1)
	v_fma_f32 v12, -v12, v15, v14
	s_wait_alu 0xfffd
	v_div_fmas_f32 v12, v12, v13, v15
	s_delay_alu instid0(VALU_DEP_1)
	v_div_fixup_f32 v14, v12, v8, 1.0
.LBB56_90:
	s_mul_i32 s1, s30, s26
	s_delay_alu instid0(SALU_CYCLE_1) | instskip(NEXT) | instid1(SALU_CYCLE_1)
	s_add_co_i32 s1, s1, s15
	v_add_nc_u32_e32 v8, s1, v82
	s_delay_alu instid0(VALU_DEP_1) | instskip(NEXT) | instid1(VALU_DEP_1)
	v_mad_co_u64_u32 v[12:13], null, v8, s27, s[28:29]
	v_mad_co_u64_u32 v[12:13], null, s0, v12, s[18:19]
	s_and_saveexec_b32 s5, s2
	s_cbranch_execz .LBB56_92
; %bb.91:
	v_lshrrev_b32_e32 v8, 16, v94
	v_mad_co_u64_u32 v[15:16], null, 0x60, v12, v[68:69]
	v_lshrrev_b32_e32 v13, 16, v93
	v_cvt_f32_f16_e32 v20, v94
	s_delay_alu instid0(VALU_DEP_4) | instskip(SKIP_3) | instid1(VALU_DEP_4)
	v_cvt_f32_f16_e32 v8, v8
	v_mov_b32_e32 v16, 0
	v_cvt_f32_f16_e32 v21, v93
	v_cvt_f32_f16_e32 v13, v13
	v_mul_f32_e32 v17, v14, v8
	s_delay_alu instid0(VALU_DEP_4) | instskip(NEXT) | instid1(VALU_DEP_1)
	v_lshlrev_b64_e32 v[15:16], 2, v[15:16]
	v_add_co_u32 v18, vcc_lo, s20, v15
	s_wait_alu 0xfffd
	s_delay_alu instid0(VALU_DEP_2)
	v_add_co_ci_u32_e64 v19, null, s21, v16, vcc_lo
	v_mul_f32_e32 v16, v14, v20
	v_mul_f32_e32 v15, v14, v13
	;; [unrolled: 1-line block ×3, first 2 shown]
	global_store_b128 v[18:19], v[14:17], off
.LBB56_92:
	s_wait_alu 0xfffe
	s_or_b32 exec_lo, exec_lo, s5
	v_cmp_eq_u32_e32 vcc_lo, 0, v79
	s_and_b32 s3, vcc_lo, s3
	s_wait_alu 0xfffe
	s_and_saveexec_b32 s5, s3
	s_cbranch_execz .LBB56_94
; %bb.93:
	v_ashrrev_i32_e32 v13, 31, v12
	v_dual_mov_b32 v14, v0 :: v_dual_mov_b32 v15, v4
	s_delay_alu instid0(VALU_DEP_2) | instskip(NEXT) | instid1(VALU_DEP_1)
	v_lshlrev_b64_e32 v[12:13], 3, v[12:13]
	v_add_co_u32 v12, vcc_lo, s22, v12
	s_wait_alu 0xfffd
	s_delay_alu instid0(VALU_DEP_2)
	v_add_co_ci_u32_e64 v13, null, s23, v13, vcc_lo
	global_store_b64 v[12:13], v[14:15], off
.LBB56_94:
	s_wait_alu 0xfffe
	s_or_b32 exec_lo, exec_lo, s5
	v_cmp_gt_i32_e32 vcc_lo, s26, v81
	s_and_b32 exec_lo, exec_lo, vcc_lo
	s_cbranch_execz .LBB56_86
; %bb.95:
	v_cndmask_b32_e64 v12, 0, 1, s4
	v_mov_b32_e32 v0, 1.0
	s_and_not1_b32 vcc_lo, exec_lo, s4
	s_wait_alu 0xfffe
	s_cbranch_vccnz .LBB56_97
; %bb.96:
	v_div_scale_f32 v0, null, v9, v9, 1.0
	s_delay_alu instid0(VALU_DEP_1) | instskip(NEXT) | instid1(TRANS32_DEP_1)
	v_rcp_f32_e32 v4, v0
	v_fma_f32 v8, -v0, v4, 1.0
	s_delay_alu instid0(VALU_DEP_1) | instskip(SKIP_1) | instid1(VALU_DEP_1)
	v_fmac_f32_e32 v4, v8, v4
	v_div_scale_f32 v8, vcc_lo, 1.0, v9, 1.0
	v_mul_f32_e32 v13, v8, v4
	s_delay_alu instid0(VALU_DEP_1) | instskip(NEXT) | instid1(VALU_DEP_1)
	v_fma_f32 v14, -v0, v13, v8
	v_fmac_f32_e32 v13, v14, v4
	s_delay_alu instid0(VALU_DEP_1) | instskip(SKIP_1) | instid1(VALU_DEP_1)
	v_fma_f32 v0, -v0, v13, v8
	s_wait_alu 0xfffd
	v_div_fmas_f32 v0, v0, v4, v13
	s_delay_alu instid0(VALU_DEP_1)
	v_div_fixup_f32 v0, v0, v9, 1.0
.LBB56_97:
	v_add_nc_u32_e32 v4, s1, v80
	s_delay_alu instid0(VALU_DEP_1) | instskip(NEXT) | instid1(VALU_DEP_1)
	v_mad_co_u64_u32 v[8:9], null, v4, s27, s[28:29]
	v_mad_co_u64_u32 v[8:9], null, s0, v8, s[18:19]
	s_and_saveexec_b32 s4, s2
	s_cbranch_execz .LBB56_99
; %bb.98:
	v_mad_co_u64_u32 v[13:14], null, 0x60, v8, v[68:69]
	v_cvt_f32_f16_e32 v15, v92
	v_mov_b32_e32 v14, 0
	v_lshrrev_b32_e32 v4, 16, v92
	v_lshrrev_b32_e32 v9, 16, v91
	v_cvt_f32_f16_e32 v19, v91
	v_mul_f32_e32 v15, v0, v15
	v_lshlrev_b64_e32 v[13:14], 2, v[13:14]
	v_cvt_f32_f16_e32 v4, v4
	v_cvt_f32_f16_e32 v9, v9
	s_delay_alu instid0(VALU_DEP_2) | instskip(NEXT) | instid1(VALU_DEP_4)
	v_mul_f32_e32 v16, v0, v4
	v_add_co_u32 v17, vcc_lo, s20, v13
	s_wait_alu 0xfffd
	v_add_co_ci_u32_e64 v18, null, s21, v14, vcc_lo
	v_mul_f32_e32 v14, v0, v9
	v_mul_f32_e32 v13, v0, v19
	global_store_b128 v[17:18], v[13:16], off
.LBB56_99:
	s_wait_alu 0xfffe
	s_or_b32 exec_lo, exec_lo, s4
	s_and_saveexec_b32 s4, s3
	s_cbranch_execz .LBB56_101
; %bb.100:
	v_ashrrev_i32_e32 v9, 31, v8
	v_mov_b32_e32 v4, v1
	s_delay_alu instid0(VALU_DEP_2) | instskip(NEXT) | instid1(VALU_DEP_1)
	v_lshlrev_b64_e32 v[8:9], 3, v[8:9]
	v_add_co_u32 v8, vcc_lo, s22, v8
	s_wait_alu 0xfffd
	s_delay_alu instid0(VALU_DEP_2)
	v_add_co_ci_u32_e64 v9, null, s23, v9, vcc_lo
	global_store_b64 v[8:9], v[4:5], off
.LBB56_101:
	s_wait_alu 0xfffe
	s_or_b32 exec_lo, exec_lo, s4
	v_add_nc_u32_e32 v0, s15, v78
	s_delay_alu instid0(VALU_DEP_1)
	v_cmp_gt_i32_e32 vcc_lo, s26, v0
	s_and_b32 exec_lo, exec_lo, vcc_lo
	s_cbranch_execz .LBB56_86
; %bb.102:
	v_cmp_ne_u32_e32 vcc_lo, 1, v12
	v_mov_b32_e32 v4, 1.0
	s_cbranch_vccnz .LBB56_104
; %bb.103:
	v_div_scale_f32 v0, null, v10, v10, 1.0
	s_delay_alu instid0(VALU_DEP_1) | instskip(NEXT) | instid1(TRANS32_DEP_1)
	v_rcp_f32_e32 v1, v0
	v_fma_f32 v4, -v0, v1, 1.0
	s_delay_alu instid0(VALU_DEP_1) | instskip(SKIP_1) | instid1(VALU_DEP_1)
	v_fmac_f32_e32 v1, v4, v1
	v_div_scale_f32 v4, vcc_lo, 1.0, v10, 1.0
	v_mul_f32_e32 v5, v4, v1
	s_delay_alu instid0(VALU_DEP_1) | instskip(NEXT) | instid1(VALU_DEP_1)
	v_fma_f32 v8, -v0, v5, v4
	v_fmac_f32_e32 v5, v8, v1
	s_delay_alu instid0(VALU_DEP_1) | instskip(SKIP_1) | instid1(VALU_DEP_1)
	v_fma_f32 v0, -v0, v5, v4
	s_wait_alu 0xfffd
	v_div_fmas_f32 v0, v0, v1, v5
	s_delay_alu instid0(VALU_DEP_1)
	v_div_fixup_f32 v4, v0, v10, 1.0
.LBB56_104:
	v_add_nc_u32_e32 v0, s1, v78
	s_delay_alu instid0(VALU_DEP_1) | instskip(NEXT) | instid1(VALU_DEP_1)
	v_mad_co_u64_u32 v[0:1], null, v0, s27, s[28:29]
	v_mad_co_u64_u32 v[0:1], null, s0, v0, s[18:19]
	s_and_saveexec_b32 s4, s2
	s_cbranch_execz .LBB56_106
; %bb.105:
	v_lshrrev_b32_e32 v1, 16, v90
	v_mad_co_u64_u32 v[8:9], null, 0x60, v0, v[68:69]
	v_lshrrev_b32_e32 v5, 16, v89
	v_cvt_f32_f16_e32 v10, v90
	s_delay_alu instid0(VALU_DEP_4)
	v_cvt_f32_f16_e32 v1, v1
	v_mov_b32_e32 v9, 0
	v_cvt_f32_f16_e32 v13, v89
	v_cvt_f32_f16_e32 v5, v5
	v_mul_f32_e32 v15, v4, v10
	v_mul_f32_e32 v16, v4, v1
	v_lshlrev_b64_e32 v[8:9], 2, v[8:9]
	v_mul_f32_e32 v13, v4, v13
	v_mul_f32_e32 v14, v4, v5
	s_delay_alu instid0(VALU_DEP_3) | instskip(SKIP_1) | instid1(VALU_DEP_4)
	v_add_co_u32 v8, vcc_lo, s20, v8
	s_wait_alu 0xfffd
	v_add_co_ci_u32_e64 v9, null, s21, v9, vcc_lo
	global_store_b128 v[8:9], v[13:16], off
.LBB56_106:
	s_wait_alu 0xfffe
	s_or_b32 exec_lo, exec_lo, s4
	s_and_saveexec_b32 s4, s3
	s_cbranch_execz .LBB56_108
; %bb.107:
	v_ashrrev_i32_e32 v1, 31, v0
	v_mov_b32_e32 v5, v2
	s_delay_alu instid0(VALU_DEP_2) | instskip(NEXT) | instid1(VALU_DEP_1)
	v_lshlrev_b64_e32 v[0:1], 3, v[0:1]
	v_add_co_u32 v0, vcc_lo, s22, v0
	s_wait_alu 0xfffd
	s_delay_alu instid0(VALU_DEP_2)
	v_add_co_ci_u32_e64 v1, null, s23, v1, vcc_lo
	global_store_b64 v[0:1], v[5:6], off
.LBB56_108:
	s_wait_alu 0xfffe
	s_or_b32 exec_lo, exec_lo, s4
	v_add_nc_u32_e32 v0, s15, v77
	s_delay_alu instid0(VALU_DEP_1)
	v_cmp_gt_i32_e32 vcc_lo, s26, v0
	s_and_b32 exec_lo, exec_lo, vcc_lo
	s_cbranch_execz .LBB56_86
; %bb.109:
	v_cmp_ne_u32_e32 vcc_lo, 1, v12
	v_mov_b32_e32 v2, 1.0
	s_cbranch_vccnz .LBB56_111
; %bb.110:
	v_div_scale_f32 v0, null, v11, v11, 1.0
	s_delay_alu instid0(VALU_DEP_1) | instskip(NEXT) | instid1(TRANS32_DEP_1)
	v_rcp_f32_e32 v1, v0
	v_fma_f32 v2, -v0, v1, 1.0
	s_delay_alu instid0(VALU_DEP_1) | instskip(SKIP_1) | instid1(VALU_DEP_1)
	v_fmac_f32_e32 v1, v2, v1
	v_div_scale_f32 v2, vcc_lo, 1.0, v11, 1.0
	v_mul_f32_e32 v4, v2, v1
	s_delay_alu instid0(VALU_DEP_1) | instskip(NEXT) | instid1(VALU_DEP_1)
	v_fma_f32 v5, -v0, v4, v2
	v_fmac_f32_e32 v4, v5, v1
	s_delay_alu instid0(VALU_DEP_1) | instskip(SKIP_1) | instid1(VALU_DEP_1)
	v_fma_f32 v0, -v0, v4, v2
	s_wait_alu 0xfffd
	v_div_fmas_f32 v0, v0, v1, v4
	s_delay_alu instid0(VALU_DEP_1)
	v_div_fixup_f32 v2, v0, v11, 1.0
.LBB56_111:
	v_add_nc_u32_e32 v0, s1, v77
	s_delay_alu instid0(VALU_DEP_1) | instskip(NEXT) | instid1(VALU_DEP_1)
	v_mad_co_u64_u32 v[0:1], null, v0, s27, s[28:29]
	v_mad_co_u64_u32 v[0:1], null, s0, v0, s[18:19]
	s_and_saveexec_b32 s0, s2
	s_cbranch_execz .LBB56_113
; %bb.112:
	v_mad_co_u64_u32 v[4:5], null, 0x60, v0, v[68:69]
	v_cvt_f32_f16_e32 v8, v87
	v_mov_b32_e32 v5, 0
	v_lshrrev_b32_e32 v1, 16, v87
	v_lshrrev_b32_e32 v6, 16, v88
	v_cvt_f32_f16_e32 v12, v88
	v_mul_f32_e32 v10, v2, v8
	v_lshlrev_b64_e32 v[4:5], 2, v[4:5]
	v_cvt_f32_f16_e32 v1, v1
	v_cvt_f32_f16_e32 v6, v6
	v_mul_f32_e32 v8, v2, v12
	s_delay_alu instid0(VALU_DEP_3)
	v_mul_f32_e32 v11, v2, v1
	v_add_co_u32 v4, vcc_lo, s20, v4
	s_wait_alu 0xfffd
	v_add_co_ci_u32_e64 v5, null, s21, v5, vcc_lo
	v_mul_f32_e32 v9, v2, v6
	global_store_b128 v[4:5], v[8:11], off
.LBB56_113:
	s_wait_alu 0xfffe
	s_or_b32 exec_lo, exec_lo, s0
	s_delay_alu instid0(SALU_CYCLE_1)
	s_and_b32 exec_lo, exec_lo, s3
	s_cbranch_execz .LBB56_86
; %bb.114:
	v_ashrrev_i32_e32 v1, 31, v0
	v_mov_b32_e32 v6, v3
	s_delay_alu instid0(VALU_DEP_2) | instskip(NEXT) | instid1(VALU_DEP_1)
	v_lshlrev_b64_e32 v[0:1], 3, v[0:1]
	v_add_co_u32 v0, vcc_lo, s22, v0
	s_wait_alu 0xfffd
	s_delay_alu instid0(VALU_DEP_2)
	v_add_co_ci_u32_e64 v1, null, s23, v1, vcc_lo
	global_store_b64 v[0:1], v[6:7], off
	s_nop 0
	s_sendmsg sendmsg(MSG_DEALLOC_VGPRS)
	s_endpgm
	.section	.rodata,"a",@progbits
	.p2align	6, 0x0
	.amdhsa_kernel _ZL15flash_attn_tileILi96ELi96ELi32ELi1ELb0EEvPKcS1_S1_S1_S1_PKiPfP15HIP_vector_typeIfLj2EEffffjfiS5_IjLj3EEiiiiiiiiiiiliiliiiiil
		.amdhsa_group_segment_fixed_size 11904
		.amdhsa_private_segment_fixed_size 32
		.amdhsa_kernarg_size 464
		.amdhsa_user_sgpr_count 2
		.amdhsa_user_sgpr_dispatch_ptr 0
		.amdhsa_user_sgpr_queue_ptr 0
		.amdhsa_user_sgpr_kernarg_segment_ptr 1
		.amdhsa_user_sgpr_dispatch_id 0
		.amdhsa_user_sgpr_private_segment_size 0
		.amdhsa_wavefront_size32 1
		.amdhsa_uses_dynamic_stack 0
		.amdhsa_enable_private_segment 1
		.amdhsa_system_sgpr_workgroup_id_x 1
		.amdhsa_system_sgpr_workgroup_id_y 1
		.amdhsa_system_sgpr_workgroup_id_z 1
		.amdhsa_system_sgpr_workgroup_info 0
		.amdhsa_system_vgpr_workitem_id 1
		.amdhsa_next_free_vgpr 181
		.amdhsa_next_free_sgpr 52
		.amdhsa_reserve_vcc 1
		.amdhsa_float_round_mode_32 0
		.amdhsa_float_round_mode_16_64 0
		.amdhsa_float_denorm_mode_32 3
		.amdhsa_float_denorm_mode_16_64 3
		.amdhsa_fp16_overflow 0
		.amdhsa_workgroup_processor_mode 1
		.amdhsa_memory_ordered 1
		.amdhsa_forward_progress 1
		.amdhsa_inst_pref_size 191
		.amdhsa_round_robin_scheduling 0
		.amdhsa_exception_fp_ieee_invalid_op 0
		.amdhsa_exception_fp_denorm_src 0
		.amdhsa_exception_fp_ieee_div_zero 0
		.amdhsa_exception_fp_ieee_overflow 0
		.amdhsa_exception_fp_ieee_underflow 0
		.amdhsa_exception_fp_ieee_inexact 0
		.amdhsa_exception_int_div_zero 0
	.end_amdhsa_kernel
	.section	.text._ZL15flash_attn_tileILi96ELi96ELi32ELi1ELb0EEvPKcS1_S1_S1_S1_PKiPfP15HIP_vector_typeIfLj2EEffffjfiS5_IjLj3EEiiiiiiiiiiiliiliiiiil,"axG",@progbits,_ZL15flash_attn_tileILi96ELi96ELi32ELi1ELb0EEvPKcS1_S1_S1_S1_PKiPfP15HIP_vector_typeIfLj2EEffffjfiS5_IjLj3EEiiiiiiiiiiiliiliiiiil,comdat
.Lfunc_end56:
	.size	_ZL15flash_attn_tileILi96ELi96ELi32ELi1ELb0EEvPKcS1_S1_S1_S1_PKiPfP15HIP_vector_typeIfLj2EEffffjfiS5_IjLj3EEiiiiiiiiiiiliiliiiiil, .Lfunc_end56-_ZL15flash_attn_tileILi96ELi96ELi32ELi1ELb0EEvPKcS1_S1_S1_S1_PKiPfP15HIP_vector_typeIfLj2EEffffjfiS5_IjLj3EEiiiiiiiiiiiliiliiiiil
                                        ; -- End function
	.set _ZL15flash_attn_tileILi96ELi96ELi32ELi1ELb0EEvPKcS1_S1_S1_S1_PKiPfP15HIP_vector_typeIfLj2EEffffjfiS5_IjLj3EEiiiiiiiiiiiliiliiiiil.num_vgpr, 181
	.set _ZL15flash_attn_tileILi96ELi96ELi32ELi1ELb0EEvPKcS1_S1_S1_S1_PKiPfP15HIP_vector_typeIfLj2EEffffjfiS5_IjLj3EEiiiiiiiiiiiliiliiiiil.num_agpr, 0
	.set _ZL15flash_attn_tileILi96ELi96ELi32ELi1ELb0EEvPKcS1_S1_S1_S1_PKiPfP15HIP_vector_typeIfLj2EEffffjfiS5_IjLj3EEiiiiiiiiiiiliiliiiiil.numbered_sgpr, 52
	.set _ZL15flash_attn_tileILi96ELi96ELi32ELi1ELb0EEvPKcS1_S1_S1_S1_PKiPfP15HIP_vector_typeIfLj2EEffffjfiS5_IjLj3EEiiiiiiiiiiiliiliiiiil.num_named_barrier, 0
	.set _ZL15flash_attn_tileILi96ELi96ELi32ELi1ELb0EEvPKcS1_S1_S1_S1_PKiPfP15HIP_vector_typeIfLj2EEffffjfiS5_IjLj3EEiiiiiiiiiiiliiliiiiil.private_seg_size, 32
	.set _ZL15flash_attn_tileILi96ELi96ELi32ELi1ELb0EEvPKcS1_S1_S1_S1_PKiPfP15HIP_vector_typeIfLj2EEffffjfiS5_IjLj3EEiiiiiiiiiiiliiliiiiil.uses_vcc, 1
	.set _ZL15flash_attn_tileILi96ELi96ELi32ELi1ELb0EEvPKcS1_S1_S1_S1_PKiPfP15HIP_vector_typeIfLj2EEffffjfiS5_IjLj3EEiiiiiiiiiiiliiliiiiil.uses_flat_scratch, 1
	.set _ZL15flash_attn_tileILi96ELi96ELi32ELi1ELb0EEvPKcS1_S1_S1_S1_PKiPfP15HIP_vector_typeIfLj2EEffffjfiS5_IjLj3EEiiiiiiiiiiiliiliiiiil.has_dyn_sized_stack, 0
	.set _ZL15flash_attn_tileILi96ELi96ELi32ELi1ELb0EEvPKcS1_S1_S1_S1_PKiPfP15HIP_vector_typeIfLj2EEffffjfiS5_IjLj3EEiiiiiiiiiiiliiliiiiil.has_recursion, 0
	.set _ZL15flash_attn_tileILi96ELi96ELi32ELi1ELb0EEvPKcS1_S1_S1_S1_PKiPfP15HIP_vector_typeIfLj2EEffffjfiS5_IjLj3EEiiiiiiiiiiiliiliiiiil.has_indirect_call, 0
	.section	.AMDGPU.csdata,"",@progbits
; Kernel info:
; codeLenInByte = 24416
; TotalNumSgprs: 54
; NumVgprs: 181
; ScratchSize: 32
; MemoryBound: 0
; FloatMode: 240
; IeeeMode: 1
; LDSByteSize: 11904 bytes/workgroup (compile time only)
; SGPRBlocks: 0
; VGPRBlocks: 22
; NumSGPRsForWavesPerEU: 54
; NumVGPRsForWavesPerEU: 181
; Occupancy: 8
; WaveLimiterHint : 1
; COMPUTE_PGM_RSRC2:SCRATCH_EN: 1
; COMPUTE_PGM_RSRC2:USER_SGPR: 2
; COMPUTE_PGM_RSRC2:TRAP_HANDLER: 0
; COMPUTE_PGM_RSRC2:TGID_X_EN: 1
; COMPUTE_PGM_RSRC2:TGID_Y_EN: 1
; COMPUTE_PGM_RSRC2:TGID_Z_EN: 1
; COMPUTE_PGM_RSRC2:TIDIG_COMP_CNT: 1
	.section	.text._ZL33flash_attn_stream_k_fixup_uniformILi96ELi32ELi1EEvPfPK15HIP_vector_typeIfLj2EEiiiiiiS1_IjLj3EES5_S5_,"axG",@progbits,_ZL33flash_attn_stream_k_fixup_uniformILi96ELi32ELi1EEvPfPK15HIP_vector_typeIfLj2EEiiiiiiS1_IjLj3EES5_S5_,comdat
	.globl	_ZL33flash_attn_stream_k_fixup_uniformILi96ELi32ELi1EEvPfPK15HIP_vector_typeIfLj2EEiiiiiiS1_IjLj3EES5_S5_ ; -- Begin function _ZL33flash_attn_stream_k_fixup_uniformILi96ELi32ELi1EEvPfPK15HIP_vector_typeIfLj2EEiiiiiiS1_IjLj3EES5_S5_
	.p2align	8
	.type	_ZL33flash_attn_stream_k_fixup_uniformILi96ELi32ELi1EEvPfPK15HIP_vector_typeIfLj2EEiiiiiiS1_IjLj3EES5_S5_,@function
_ZL33flash_attn_stream_k_fixup_uniformILi96ELi32ELi1EEvPfPK15HIP_vector_typeIfLj2EEiiiiiiS1_IjLj3EES5_S5_: ; @_ZL33flash_attn_stream_k_fixup_uniformILi96ELi32ELi1EEvPfPK15HIP_vector_typeIfLj2EEiiiiiiS1_IjLj3EES5_S5_
; %bb.0:
	s_clause 0x1
	s_load_b256 s[4:11], s[0:1], 0x1c
	s_load_b128 s[12:15], s[0:1], 0x3c
	s_wait_kmcnt 0x0
	s_mul_hi_u32 s2, s7, ttmp9
	s_delay_alu instid0(SALU_CYCLE_1) | instskip(NEXT) | instid1(SALU_CYCLE_1)
	s_add_co_i32 s2, ttmp9, s2
	s_lshr_b32 s7, s2, s8
	s_delay_alu instid0(SALU_CYCLE_1) | instskip(NEXT) | instid1(SALU_CYCLE_1)
	s_mul_i32 s2, s7, s9
	s_sub_co_i32 s8, ttmp9, s2
	s_delay_alu instid0(SALU_CYCLE_1) | instskip(NEXT) | instid1(SALU_CYCLE_1)
	s_mul_hi_u32 s2, s8, s10
	s_add_co_i32 s9, s8, s2
	s_load_b64 s[2:3], s[0:1], 0x10
	s_lshr_b32 s10, s9, s11
	s_delay_alu instid0(SALU_CYCLE_1) | instskip(NEXT) | instid1(SALU_CYCLE_1)
	s_mul_i32 s9, s10, s12
	s_sub_co_i32 s8, s8, s9
	s_delay_alu instid0(SALU_CYCLE_1) | instskip(NEXT) | instid1(SALU_CYCLE_1)
	s_mul_hi_u32 s9, s8, s13
	s_add_co_i32 s9, s8, s9
	s_delay_alu instid0(SALU_CYCLE_1) | instskip(NEXT) | instid1(SALU_CYCLE_1)
	s_lshr_b32 s11, s9, s14
	s_mul_i32 s9, s11, s15
	s_delay_alu instid0(SALU_CYCLE_1) | instskip(SKIP_2) | instid1(SALU_CYCLE_1)
	s_sub_co_i32 s12, s8, s9
	s_and_b32 s8, ttmp7, 0xffff
	s_lshl_b32 s9, s12, 5
	s_add_co_i32 s13, s9, s8
	s_lshr_b32 s9, ttmp7, 16
	s_wait_kmcnt 0x0
	s_cmp_lt_i32 s13, s2
	s_cselect_b32 s13, -1, 0
	s_add_co_i32 s11, s11, s9
	s_delay_alu instid0(SALU_CYCLE_1) | instskip(SKIP_1) | instid1(SALU_CYCLE_1)
	s_cmp_lt_i32 s11, s5
	s_cselect_b32 s14, -1, 0
	s_and_b32 s13, s13, s14
	s_delay_alu instid0(SALU_CYCLE_1)
	s_and_not1_b32 vcc_lo, exec_lo, s13
	s_cbranch_vccnz .LBB57_6
; %bb.1:
	s_mul_i32 s10, s10, s5
	s_mul_i32 s5, s3, s12
	;; [unrolled: 1-line block ×3, first 2 shown]
	s_mulk_i32 s5, 0xc00
	s_add_co_i32 s2, s2, s8
	v_or_b32_e32 v1, s5, v0
	s_mul_i32 s7, s2, s3
	s_add_co_i32 s5, s11, s10
	s_load_b128 s[0:3], s[0:1], 0x0
	s_add_co_i32 s5, s5, s7
	s_mul_i32 s7, s6, ttmp9
	s_wait_alu 0xfffe
	v_mad_co_u64_u32 v[1:2], null, 0x60, s5, v[1:2]
	s_add_co_i32 s5, s7, s6
	s_add_co_i32 s10, s8, s9
	s_wait_alu 0xfffe
	s_add_co_i32 s8, s5, -2
	v_ashrrev_i32_e32 v2, 31, v1
	s_delay_alu instid0(VALU_DEP_1) | instskip(SKIP_1) | instid1(VALU_DEP_1)
	v_lshlrev_b64_e32 v[1:2], 2, v[1:2]
	s_wait_kmcnt 0x0
	v_add_co_u32 v1, vcc_lo, s0, v1
	s_delay_alu instid0(VALU_DEP_1)
	v_add_co_ci_u32_e64 v2, null, s1, v2, vcc_lo
	s_lshl_b32 s0, s5, 5
	s_wait_alu 0xfffe
	s_add_co_i32 s0, s10, s0
	global_load_b32 v5, v[1:2], off
	s_wait_alu 0xfffe
	s_sub_co_i32 s0, s0, 32
	s_wait_alu 0xfffe
	s_ashr_i32 s1, s0, 31
	s_wait_alu 0xfffe
	s_lshl_b64 s[0:1], s[0:1], 3
	s_cmp_lt_i32 s8, s7
	s_wait_alu 0xfffe
	s_add_nc_u64 s[0:1], s[2:3], s[0:1]
	s_load_b32 s11, s[0:1], 0x4
	s_cbranch_scc1 .LBB57_4
; %bb.2:
	s_load_b32 s0, s[0:1], 0x0
	s_add_co_i32 s1, ttmp9, 1
	s_lshl_b32 s8, s4, 7
	s_wait_alu 0xfffe
	s_mul_i32 s1, s6, s1
	s_mul_i32 s6, s10, 0x60
	s_wait_alu 0xfffe
	s_lshl_b32 s12, s1, 5
	s_mulk_i32 s1, 0xc00
	s_ashr_i32 s9, s8, 31
	s_wait_alu 0xfffe
	s_add_co_i32 s6, s6, s1
	s_add_co_i32 s10, s10, s12
	s_lshl_b32 s1, s4, 5
	v_add3_u32 v3, s6, v0, 0xffffe800
	s_wait_kmcnt 0x0
	v_mov_b32_e32 v6, s11
	s_lshl_b64 s[8:9], s[8:9], 2
	s_wait_alu 0xfffe
	s_add_co_i32 s10, s10, s1
	s_add_nc_u64 s[8:9], s[2:3], s[8:9]
	s_add_co_i32 s1, s5, -1
	s_wait_alu 0xfffe
	s_sub_co_i32 s4, s10, 64
.LBB57_3:                               ; =>This Inner Loop Header: Depth=1
	v_ashrrev_i32_e32 v4, 31, v3
	s_wait_alu 0xfffe
	s_ashr_i32 s5, s4, 31
	v_mov_b32_e32 v10, v6
	s_wait_alu 0xfffe
	s_lshl_b64 s[10:11], s[4:5], 3
	s_wait_loadcnt 0x0
	v_mov_b32_e32 v9, v5
	v_lshlrev_b64_e32 v[7:8], 2, v[3:4]
	s_wait_alu 0xfffe
	s_add_nc_u64 s[10:11], s[2:3], s[10:11]
	v_max_num_f32_e64 v4, s0, s0
	s_load_b64 s[10:11], s[10:11], 0x0
	v_add_nc_u32_e32 v3, 0xfffff400, v3
	v_add_co_u32 v7, vcc_lo, s8, v7
	s_wait_alu 0xfffd
	v_add_co_ci_u32_e64 v8, null, s9, v8, vcc_lo
	v_readfirstlane_b32 s5, v4
	global_load_b32 v0, v[7:8], off
	s_wait_kmcnt 0x0
	v_max_num_f32_e64 v4, s10, s10
	s_delay_alu instid0(VALU_DEP_1) | instskip(SKIP_2) | instid1(SALU_CYCLE_2)
	v_readfirstlane_b32 s6, v4
	s_max_num_f32 s5, s5, s6
	s_wait_alu 0xfffe
	s_sub_f32 s0, s0, s5
	s_sub_f32 s6, s10, s5
	s_wait_alu 0xfffe
	s_delay_alu instid0(SALU_CYCLE_1) | instskip(NEXT) | instid1(SALU_CYCLE_1)
	s_mul_f32 s10, s0, 0x3fb8aa3b
	s_mul_f32 s12, s6, 0x3fb8aa3b
	s_wait_alu 0xfffe
	s_delay_alu instid0(SALU_CYCLE_1)
	s_xor_b32 s13, s10, 0x80000000
	s_rndne_f32 s14, s10
	s_fmamk_f32 s13, s0, 0x3fb8aa3b, s13
	s_cmp_nlt_f32 s0, 0xc2ce8ed0
	s_rndne_f32 s15, s12
	s_wait_alu 0xfffe
	s_sub_f32 s10, s10, s14
	s_fmamk_f32 s13, s0, 0x32a5705f, s13
	s_cvt_i32_f32 s14, s14
	s_cselect_b32 vcc_lo, -1, 0
	s_cmp_ngt_f32 s0, 0x42b17218
	s_wait_alu 0xfffe
	s_add_f32 s10, s10, s13
	s_sub_f32 s13, s12, s15
	s_wait_alu 0xfffe
	s_delay_alu instid0(SALU_CYCLE_1) | instskip(SKIP_1) | instid1(TRANS32_DEP_1)
	v_s_exp_f32 s10, s10
	s_wait_alu 0xf1ff
	v_ldexp_f32 v4, s10, s14
	s_cvt_i32_f32 s10, s15
	s_delay_alu instid0(VALU_DEP_1) | instskip(SKIP_3) | instid1(VALU_DEP_1)
	v_cndmask_b32_e32 v4, 0, v4, vcc_lo
	s_cselect_b32 vcc_lo, -1, 0
	s_cmp_ge_f32 s0, 0xc1a00000
	s_wait_alu 0xfffe
	v_cndmask_b32_e32 v4, 0x7f800000, v4, vcc_lo
	s_cselect_b32 vcc_lo, -1, 0
	s_xor_b32 s0, s12, 0x80000000
	s_cmp_nlt_f32 s6, 0xc2ce8ed0
	s_wait_alu 0xfffe
	s_fmamk_f32 s0, s6, 0x3fb8aa3b, s0
	s_wait_alu 0xfffe
	s_delay_alu instid0(SALU_CYCLE_2) | instskip(SKIP_1) | instid1(SALU_CYCLE_2)
	s_fmamk_f32 s0, s6, 0x32a5705f, s0
	s_wait_alu 0xfffe
	s_add_f32 s0, s13, s0
	s_wait_alu 0xfffe
	s_delay_alu instid0(SALU_CYCLE_2) | instskip(SKIP_1) | instid1(TRANS32_DEP_1)
	v_s_exp_f32 s0, s0
	s_wait_alu 0xf1ff
	v_ldexp_f32 v7, s0, s10
	s_cselect_b32 s0, -1, 0
	s_cmp_ngt_f32 s6, 0x42b17218
	s_wait_alu 0xfffe
	s_delay_alu instid0(VALU_DEP_1) | instskip(SKIP_3) | instid1(VALU_DEP_1)
	v_cndmask_b32_e64 v7, 0, v7, s0
	s_cselect_b32 s0, -1, 0
	s_cmp_ge_f32 s6, 0xc1a00000
	s_wait_alu 0xfffe
	v_cndmask_b32_e64 v7, 0x7f800000, v7, s0
	s_cselect_b32 s0, -1, 0
	s_add_co_i32 s1, s1, -1
	s_sub_co_i32 s4, s4, 32
	s_wait_alu 0xfffe
	s_cmp_le_i32 s1, s7
	v_cndmask_b32_e64 v7, 0, v7, s0
	s_mov_b32 s0, s5
	s_wait_loadcnt 0x0
	s_delay_alu instid0(VALU_DEP_1) | instskip(NEXT) | instid1(VALU_DEP_1)
	v_dual_mul_f32 v5, v0, v7 :: v_dual_cndmask_b32 v4, 0, v4
	v_dual_mul_f32 v8, s11, v7 :: v_dual_fmac_f32 v5, v9, v4
	s_delay_alu instid0(VALU_DEP_1) | instskip(NEXT) | instid1(VALU_DEP_1)
	v_mov_b32_e32 v6, v8
	v_fmac_f32_e32 v6, v10, v4
	s_cbranch_scc0 .LBB57_3
	s_branch .LBB57_5
.LBB57_4:
	s_wait_kmcnt 0x0
	v_mov_b32_e32 v6, s11
.LBB57_5:
	s_wait_loadcnt 0x0
	s_delay_alu instid0(VALU_DEP_1) | instskip(NEXT) | instid1(VALU_DEP_1)
	v_div_scale_f32 v0, null, v6, v6, v5
	v_rcp_f32_e32 v3, v0
	s_delay_alu instid0(TRANS32_DEP_1) | instskip(NEXT) | instid1(VALU_DEP_1)
	v_fma_f32 v4, -v0, v3, 1.0
	v_fmac_f32_e32 v3, v4, v3
	v_div_scale_f32 v4, vcc_lo, v5, v6, v5
	s_delay_alu instid0(VALU_DEP_1) | instskip(NEXT) | instid1(VALU_DEP_1)
	v_mul_f32_e32 v7, v4, v3
	v_fma_f32 v8, -v0, v7, v4
	s_delay_alu instid0(VALU_DEP_1) | instskip(NEXT) | instid1(VALU_DEP_1)
	v_fmac_f32_e32 v7, v8, v3
	v_fma_f32 v0, -v0, v7, v4
	s_wait_alu 0xfffd
	s_delay_alu instid0(VALU_DEP_1) | instskip(NEXT) | instid1(VALU_DEP_1)
	v_div_fmas_f32 v0, v0, v3, v7
	v_div_fixup_f32 v0, v0, v6, v5
	global_store_b32 v[1:2], v0, off
.LBB57_6:
	s_endpgm
	.section	.rodata,"a",@progbits
	.p2align	6, 0x0
	.amdhsa_kernel _ZL33flash_attn_stream_k_fixup_uniformILi96ELi32ELi1EEvPfPK15HIP_vector_typeIfLj2EEiiiiiiS1_IjLj3EES5_S5_
		.amdhsa_group_segment_fixed_size 0
		.amdhsa_private_segment_fixed_size 0
		.amdhsa_kernarg_size 76
		.amdhsa_user_sgpr_count 2
		.amdhsa_user_sgpr_dispatch_ptr 0
		.amdhsa_user_sgpr_queue_ptr 0
		.amdhsa_user_sgpr_kernarg_segment_ptr 1
		.amdhsa_user_sgpr_dispatch_id 0
		.amdhsa_user_sgpr_private_segment_size 0
		.amdhsa_wavefront_size32 1
		.amdhsa_uses_dynamic_stack 0
		.amdhsa_enable_private_segment 0
		.amdhsa_system_sgpr_workgroup_id_x 1
		.amdhsa_system_sgpr_workgroup_id_y 1
		.amdhsa_system_sgpr_workgroup_id_z 1
		.amdhsa_system_sgpr_workgroup_info 0
		.amdhsa_system_vgpr_workitem_id 0
		.amdhsa_next_free_vgpr 11
		.amdhsa_next_free_sgpr 16
		.amdhsa_reserve_vcc 1
		.amdhsa_float_round_mode_32 0
		.amdhsa_float_round_mode_16_64 0
		.amdhsa_float_denorm_mode_32 3
		.amdhsa_float_denorm_mode_16_64 3
		.amdhsa_fp16_overflow 0
		.amdhsa_workgroup_processor_mode 1
		.amdhsa_memory_ordered 1
		.amdhsa_forward_progress 1
		.amdhsa_inst_pref_size 9
		.amdhsa_round_robin_scheduling 0
		.amdhsa_exception_fp_ieee_invalid_op 0
		.amdhsa_exception_fp_denorm_src 0
		.amdhsa_exception_fp_ieee_div_zero 0
		.amdhsa_exception_fp_ieee_overflow 0
		.amdhsa_exception_fp_ieee_underflow 0
		.amdhsa_exception_fp_ieee_inexact 0
		.amdhsa_exception_int_div_zero 0
	.end_amdhsa_kernel
	.section	.text._ZL33flash_attn_stream_k_fixup_uniformILi96ELi32ELi1EEvPfPK15HIP_vector_typeIfLj2EEiiiiiiS1_IjLj3EES5_S5_,"axG",@progbits,_ZL33flash_attn_stream_k_fixup_uniformILi96ELi32ELi1EEvPfPK15HIP_vector_typeIfLj2EEiiiiiiS1_IjLj3EES5_S5_,comdat
.Lfunc_end57:
	.size	_ZL33flash_attn_stream_k_fixup_uniformILi96ELi32ELi1EEvPfPK15HIP_vector_typeIfLj2EEiiiiiiS1_IjLj3EES5_S5_, .Lfunc_end57-_ZL33flash_attn_stream_k_fixup_uniformILi96ELi32ELi1EEvPfPK15HIP_vector_typeIfLj2EEiiiiiiS1_IjLj3EES5_S5_
                                        ; -- End function
	.set _ZL33flash_attn_stream_k_fixup_uniformILi96ELi32ELi1EEvPfPK15HIP_vector_typeIfLj2EEiiiiiiS1_IjLj3EES5_S5_.num_vgpr, 11
	.set _ZL33flash_attn_stream_k_fixup_uniformILi96ELi32ELi1EEvPfPK15HIP_vector_typeIfLj2EEiiiiiiS1_IjLj3EES5_S5_.num_agpr, 0
	.set _ZL33flash_attn_stream_k_fixup_uniformILi96ELi32ELi1EEvPfPK15HIP_vector_typeIfLj2EEiiiiiiS1_IjLj3EES5_S5_.numbered_sgpr, 16
	.set _ZL33flash_attn_stream_k_fixup_uniformILi96ELi32ELi1EEvPfPK15HIP_vector_typeIfLj2EEiiiiiiS1_IjLj3EES5_S5_.num_named_barrier, 0
	.set _ZL33flash_attn_stream_k_fixup_uniformILi96ELi32ELi1EEvPfPK15HIP_vector_typeIfLj2EEiiiiiiS1_IjLj3EES5_S5_.private_seg_size, 0
	.set _ZL33flash_attn_stream_k_fixup_uniformILi96ELi32ELi1EEvPfPK15HIP_vector_typeIfLj2EEiiiiiiS1_IjLj3EES5_S5_.uses_vcc, 1
	.set _ZL33flash_attn_stream_k_fixup_uniformILi96ELi32ELi1EEvPfPK15HIP_vector_typeIfLj2EEiiiiiiS1_IjLj3EES5_S5_.uses_flat_scratch, 0
	.set _ZL33flash_attn_stream_k_fixup_uniformILi96ELi32ELi1EEvPfPK15HIP_vector_typeIfLj2EEiiiiiiS1_IjLj3EES5_S5_.has_dyn_sized_stack, 0
	.set _ZL33flash_attn_stream_k_fixup_uniformILi96ELi32ELi1EEvPfPK15HIP_vector_typeIfLj2EEiiiiiiS1_IjLj3EES5_S5_.has_recursion, 0
	.set _ZL33flash_attn_stream_k_fixup_uniformILi96ELi32ELi1EEvPfPK15HIP_vector_typeIfLj2EEiiiiiiS1_IjLj3EES5_S5_.has_indirect_call, 0
	.section	.AMDGPU.csdata,"",@progbits
; Kernel info:
; codeLenInByte = 1136
; TotalNumSgprs: 18
; NumVgprs: 11
; ScratchSize: 0
; MemoryBound: 0
; FloatMode: 240
; IeeeMode: 1
; LDSByteSize: 0 bytes/workgroup (compile time only)
; SGPRBlocks: 0
; VGPRBlocks: 1
; NumSGPRsForWavesPerEU: 18
; NumVGPRsForWavesPerEU: 11
; Occupancy: 16
; WaveLimiterHint : 0
; COMPUTE_PGM_RSRC2:SCRATCH_EN: 0
; COMPUTE_PGM_RSRC2:USER_SGPR: 2
; COMPUTE_PGM_RSRC2:TRAP_HANDLER: 0
; COMPUTE_PGM_RSRC2:TGID_X_EN: 1
; COMPUTE_PGM_RSRC2:TGID_Y_EN: 1
; COMPUTE_PGM_RSRC2:TGID_Z_EN: 1
; COMPUTE_PGM_RSRC2:TIDIG_COMP_CNT: 0
	.section	.text._ZL33flash_attn_stream_k_fixup_generalILi96ELi32ELi1EEvPfPK15HIP_vector_typeIfLj2EEiiiiS1_IjLj3EES5_S5_S5_,"axG",@progbits,_ZL33flash_attn_stream_k_fixup_generalILi96ELi32ELi1EEvPfPK15HIP_vector_typeIfLj2EEiiiiS1_IjLj3EES5_S5_S5_,comdat
	.globl	_ZL33flash_attn_stream_k_fixup_generalILi96ELi32ELi1EEvPfPK15HIP_vector_typeIfLj2EEiiiiS1_IjLj3EES5_S5_S5_ ; -- Begin function _ZL33flash_attn_stream_k_fixup_generalILi96ELi32ELi1EEvPfPK15HIP_vector_typeIfLj2EEiiiiS1_IjLj3EES5_S5_S5_
	.p2align	8
	.type	_ZL33flash_attn_stream_k_fixup_generalILi96ELi32ELi1EEvPfPK15HIP_vector_typeIfLj2EEiiiiS1_IjLj3EES5_S5_S5_,@function
_ZL33flash_attn_stream_k_fixup_generalILi96ELi32ELi1EEvPfPK15HIP_vector_typeIfLj2EEiiiiS1_IjLj3EES5_S5_S5_: ; @_ZL33flash_attn_stream_k_fixup_generalILi96ELi32ELi1EEvPfPK15HIP_vector_typeIfLj2EEiiiiS1_IjLj3EES5_S5_S5_
; %bb.0:
	s_clause 0x1
	s_load_b128 s[4:7], s[0:1], 0x10
	s_load_b32 s16, s[0:1], 0x50
	s_mov_b32 s2, ttmp9
	s_ashr_i32 s3, ttmp9, 31
	s_mov_b32 s17, 0
	s_delay_alu instid0(SALU_CYCLE_1) | instskip(SKIP_3) | instid1(SALU_CYCLE_1)
	s_mov_b32 s8, s17
	s_wait_kmcnt 0x0
	s_ashr_i32 s19, s7, 31
	s_mov_b32 s18, s7
	s_mul_u64 s[2:3], s[18:19], s[2:3]
	s_delay_alu instid0(SALU_CYCLE_1) | instskip(NEXT) | instid1(SALU_CYCLE_1)
	s_mov_b32 s9, s3
	s_cmp_lg_u64 s[8:9], 0
	s_cbranch_scc0 .LBB58_21
; %bb.1:
	s_add_nc_u64 s[8:9], s[16:17], 0
	s_mov_b32 s15, s17
	s_xor_b64 s[8:9], s[8:9], 0
	s_mov_b32 s23, s17
	s_cvt_f32_u32 s7, s8
	s_cvt_f32_u32 s10, s9
	s_sub_nc_u64 s[12:13], 0, s[8:9]
	s_delay_alu instid0(SALU_CYCLE_2) | instskip(NEXT) | instid1(SALU_CYCLE_3)
	s_fmamk_f32 s7, s10, 0x4f800000, s7
	v_s_rcp_f32 s7, s7
	s_delay_alu instid0(TRANS32_DEP_1) | instskip(SKIP_1) | instid1(SALU_CYCLE_2)
	s_mul_f32 s7, s7, 0x5f7ffffc
	s_wait_alu 0xfffe
	s_mul_f32 s10, s7, 0x2f800000
	s_delay_alu instid0(SALU_CYCLE_3) | instskip(NEXT) | instid1(SALU_CYCLE_3)
	s_trunc_f32 s10, s10
	s_fmamk_f32 s7, s10, 0xcf800000, s7
	s_cvt_u32_f32 s11, s10
	s_wait_alu 0xfffe
	s_delay_alu instid0(SALU_CYCLE_1) | instskip(NEXT) | instid1(SALU_CYCLE_3)
	s_cvt_u32_f32 s10, s7
	s_mul_u64 s[20:21], s[12:13], s[10:11]
	s_delay_alu instid0(SALU_CYCLE_1)
	s_mul_hi_u32 s25, s10, s21
	s_mul_i32 s24, s10, s21
	s_mul_hi_u32 s14, s10, s20
	s_mul_i32 s22, s11, s20
	s_add_nc_u64 s[14:15], s[14:15], s[24:25]
	s_mul_hi_u32 s7, s11, s20
	s_mul_hi_u32 s26, s11, s21
	s_add_co_u32 s14, s14, s22
	s_wait_alu 0xfffe
	s_add_co_ci_u32 s22, s15, s7
	s_mul_i32 s20, s11, s21
	s_add_co_ci_u32 s21, s26, 0
	s_delay_alu instid0(SALU_CYCLE_1)
	s_add_nc_u64 s[14:15], s[22:23], s[20:21]
	s_mov_b32 s21, s17
	s_add_co_u32 s10, s10, s14
	s_cselect_b32 s7, -1, 0
	s_wait_alu 0xfffe
	s_cmp_lg_u32 s7, 0
	s_add_co_ci_u32 s11, s11, s15
	s_mov_b32 s15, s17
	s_mul_u64 s[12:13], s[12:13], s[10:11]
	s_delay_alu instid0(SALU_CYCLE_1)
	s_mul_hi_u32 s23, s10, s13
	s_mul_i32 s22, s10, s13
	s_mul_hi_u32 s14, s10, s12
	s_mul_i32 s20, s11, s12
	s_add_nc_u64 s[14:15], s[14:15], s[22:23]
	s_mul_hi_u32 s7, s11, s12
	s_mul_hi_u32 s24, s11, s13
	s_mul_i32 s12, s11, s13
	s_add_co_u32 s13, s14, s20
	s_wait_alu 0xfffe
	s_add_co_ci_u32 s20, s15, s7
	s_add_co_ci_u32 s13, s24, 0
	s_mov_b32 s15, s17
	s_add_nc_u64 s[12:13], s[20:21], s[12:13]
	s_delay_alu instid0(SALU_CYCLE_1) | instskip(SKIP_1) | instid1(SALU_CYCLE_1)
	s_add_co_u32 s7, s10, s12
	s_cselect_b32 s10, -1, 0
	s_cmp_lg_u32 s10, 0
	s_add_co_ci_u32 s20, s11, s13
	s_ashr_i32 s10, s3, 31
	s_delay_alu instid0(SALU_CYCLE_1) | instskip(NEXT) | instid1(SALU_CYCLE_1)
	s_mov_b32 s11, s10
	s_add_nc_u64 s[12:13], s[2:3], s[10:11]
	s_delay_alu instid0(SALU_CYCLE_1) | instskip(NEXT) | instid1(SALU_CYCLE_1)
	s_xor_b64 s[12:13], s[12:13], s[10:11]
	s_mul_hi_u32 s23, s12, s20
	s_mul_i32 s22, s12, s20
	s_wait_alu 0xfffe
	s_mul_hi_u32 s14, s12, s7
	s_mul_hi_u32 s24, s13, s7
	s_mul_i32 s7, s13, s7
	s_add_nc_u64 s[14:15], s[14:15], s[22:23]
	s_mul_hi_u32 s3, s13, s20
	s_wait_alu 0xfffe
	s_add_co_u32 s7, s14, s7
	s_mul_i32 s22, s13, s20
	s_add_co_ci_u32 s20, s15, s24
	s_add_co_ci_u32 s23, s3, 0
	s_delay_alu instid0(SALU_CYCLE_1) | instskip(NEXT) | instid1(SALU_CYCLE_1)
	s_add_nc_u64 s[14:15], s[20:21], s[22:23]
	s_mul_u64 s[20:21], s[8:9], s[14:15]
	s_delay_alu instid0(SALU_CYCLE_1)
	s_sub_co_u32 s3, s12, s20
	s_cselect_b32 s7, -1, 0
	s_sub_co_i32 s12, s13, s21
	s_wait_alu 0xfffe
	s_cmp_lg_u32 s7, 0
	s_sub_co_ci_u32 s12, s12, s9
	s_sub_co_u32 s20, s3, s8
	s_cselect_b32 s22, -1, 0
	s_delay_alu instid0(SALU_CYCLE_1) | instskip(SKIP_2) | instid1(SALU_CYCLE_1)
	s_cmp_lg_u32 s22, 0
	s_add_nc_u64 s[22:23], s[14:15], 1
	s_sub_co_ci_u32 s12, s12, 0
	s_cmp_ge_u32 s12, s9
	s_cselect_b32 s24, -1, 0
	s_cmp_ge_u32 s20, s8
	s_cselect_b32 s20, -1, 0
	s_cmp_eq_u32 s12, s9
	s_cselect_b32 s12, s20, s24
	s_add_nc_u64 s[24:25], s[14:15], 2
	s_cmp_lg_u32 s12, 0
	s_cselect_b32 s12, s24, s22
	s_cselect_b32 s20, s25, s23
	s_cmp_lg_u32 s7, 0
	s_sub_co_ci_u32 s7, s13, s21
	s_wait_alu 0xfffe
	s_cmp_ge_u32 s7, s9
	s_cselect_b32 s13, -1, 0
	s_cmp_ge_u32 s3, s8
	s_cselect_b32 s3, -1, 0
	s_cmp_eq_u32 s7, s9
	s_cselect_b32 s3, s3, s13
	s_delay_alu instid0(SALU_CYCLE_1) | instskip(SKIP_4) | instid1(SALU_CYCLE_1)
	s_cmp_lg_u32 s3, 0
	s_mov_b32 s3, s17
	s_cselect_b32 s9, s20, s15
	s_cselect_b32 s8, s12, s14
	s_xor_b64 s[10:11], s[10:11], 0
	s_xor_b64 s[8:9], s[8:9], s[10:11]
	s_delay_alu instid0(SALU_CYCLE_1)
	s_sub_nc_u64 s[20:21], s[8:9], s[10:11]
	s_and_not1_b32 vcc_lo, exec_lo, s3
	s_cbranch_vccnz .LBB58_3
.LBB58_2:
	v_cvt_f32_u32_e32 v1, s16
	s_sub_co_i32 s7, 0, s16
	s_delay_alu instid0(VALU_DEP_1) | instskip(NEXT) | instid1(TRANS32_DEP_1)
	v_rcp_iflag_f32_e32 v1, v1
	v_mul_f32_e32 v1, 0x4f7ffffe, v1
	s_delay_alu instid0(VALU_DEP_1) | instskip(NEXT) | instid1(VALU_DEP_1)
	v_cvt_u32_f32_e32 v1, v1
	v_readfirstlane_b32 s3, v1
	s_wait_alu 0xfffe
	s_mul_i32 s7, s7, s3
	s_wait_alu 0xfffe
	s_mul_hi_u32 s7, s3, s7
	s_wait_alu 0xfffe
	s_add_co_i32 s3, s3, s7
	s_delay_alu instid0(SALU_CYCLE_1) | instskip(NEXT) | instid1(SALU_CYCLE_1)
	s_mul_hi_u32 s3, s2, s3
	s_mul_i32 s7, s3, s16
	s_wait_alu 0xfffe
	s_sub_co_i32 s2, s2, s7
	s_add_co_i32 s7, s3, 1
	s_sub_co_i32 s8, s2, s16
	s_cmp_ge_u32 s2, s16
	s_wait_alu 0xfffe
	s_cselect_b32 s3, s7, s3
	s_cselect_b32 s2, s8, s2
	s_add_co_i32 s7, s3, 1
	s_cmp_ge_u32 s2, s16
	s_wait_alu 0xfffe
	s_cselect_b32 s20, s7, s3
.LBB58_3:
	s_add_co_i32 s2, ttmp9, 1
	s_mov_b32 s8, 0
	s_ashr_i32 s3, s2, 31
	s_delay_alu instid0(SALU_CYCLE_1) | instskip(NEXT) | instid1(SALU_CYCLE_1)
	s_mul_u64 s[2:3], s[18:19], s[2:3]
	s_mov_b32 s9, s3
	s_delay_alu instid0(SALU_CYCLE_1)
	s_cmp_lg_u64 s[8:9], 0
	s_cbranch_scc0 .LBB58_22
; %bb.4:
	s_add_nc_u64 s[10:11], s[16:17], 0
	s_mov_b32 s23, s8
	s_xor_b64 s[10:11], s[10:11], 0
	s_mov_b32 s27, s8
	s_cvt_f32_u32 s7, s10
	s_cvt_f32_u32 s9, s11
	s_sub_nc_u64 s[14:15], 0, s[10:11]
	s_wait_alu 0xfffe
	s_delay_alu instid0(SALU_CYCLE_1) | instskip(SKIP_1) | instid1(SALU_CYCLE_2)
	s_fmamk_f32 s7, s9, 0x4f800000, s7
	s_wait_alu 0xfffe
	v_s_rcp_f32 s7, s7
	s_delay_alu instid0(TRANS32_DEP_1) | instskip(SKIP_1) | instid1(SALU_CYCLE_2)
	s_mul_f32 s7, s7, 0x5f7ffffc
	s_wait_alu 0xfffe
	s_mul_f32 s9, s7, 0x2f800000
	s_delay_alu instid0(SALU_CYCLE_3) | instskip(NEXT) | instid1(SALU_CYCLE_3)
	s_trunc_f32 s9, s9
	s_fmamk_f32 s7, s9, 0xcf800000, s7
	s_cvt_u32_f32 s13, s9
	s_wait_alu 0xfffe
	s_delay_alu instid0(SALU_CYCLE_1) | instskip(NEXT) | instid1(SALU_CYCLE_3)
	s_cvt_u32_f32 s12, s7
	s_mul_u64 s[24:25], s[14:15], s[12:13]
	s_delay_alu instid0(SALU_CYCLE_1)
	s_mul_hi_u32 s29, s12, s25
	s_mul_i32 s28, s12, s25
	s_mul_hi_u32 s22, s12, s24
	s_mul_i32 s9, s13, s24
	s_add_nc_u64 s[22:23], s[22:23], s[28:29]
	s_mul_hi_u32 s7, s13, s24
	s_mul_hi_u32 s21, s13, s25
	s_add_co_u32 s9, s22, s9
	s_wait_alu 0xfffe
	s_add_co_ci_u32 s26, s23, s7
	s_mul_i32 s24, s13, s25
	s_add_co_ci_u32 s25, s21, 0
	s_delay_alu instid0(SALU_CYCLE_1)
	s_add_nc_u64 s[22:23], s[26:27], s[24:25]
	s_mov_b32 s25, s8
	s_add_co_u32 s12, s12, s22
	s_cselect_b32 s7, -1, 0
	s_wait_alu 0xfffe
	s_cmp_lg_u32 s7, 0
	s_add_co_ci_u32 s13, s13, s23
	s_mov_b32 s23, s8
	s_mul_u64 s[14:15], s[14:15], s[12:13]
	s_delay_alu instid0(SALU_CYCLE_1)
	s_mul_hi_u32 s27, s12, s15
	s_mul_i32 s26, s12, s15
	s_mul_hi_u32 s22, s12, s14
	s_mul_i32 s9, s13, s14
	s_add_nc_u64 s[22:23], s[22:23], s[26:27]
	s_mul_hi_u32 s7, s13, s14
	s_mul_hi_u32 s21, s13, s15
	s_add_co_u32 s9, s22, s9
	s_wait_alu 0xfffe
	s_add_co_ci_u32 s24, s23, s7
	s_mul_i32 s14, s13, s15
	s_add_co_ci_u32 s15, s21, 0
	s_mov_b32 s23, s8
	s_add_nc_u64 s[14:15], s[24:25], s[14:15]
	s_delay_alu instid0(SALU_CYCLE_1) | instskip(SKIP_1) | instid1(SALU_CYCLE_1)
	s_add_co_u32 s7, s12, s14
	s_cselect_b32 s9, -1, 0
	s_cmp_lg_u32 s9, 0
	s_add_co_ci_u32 s9, s13, s15
	s_ashr_i32 s12, s3, 31
	s_delay_alu instid0(SALU_CYCLE_1) | instskip(NEXT) | instid1(SALU_CYCLE_1)
	s_mov_b32 s13, s12
	s_add_nc_u64 s[14:15], s[2:3], s[12:13]
	s_delay_alu instid0(SALU_CYCLE_1) | instskip(NEXT) | instid1(SALU_CYCLE_1)
	s_xor_b64 s[14:15], s[14:15], s[12:13]
	s_mul_hi_u32 s27, s14, s9
	s_mul_i32 s26, s14, s9
	s_wait_alu 0xfffe
	s_mul_hi_u32 s22, s14, s7
	s_mul_hi_u32 s21, s15, s7
	s_mul_i32 s7, s15, s7
	s_add_nc_u64 s[22:23], s[22:23], s[26:27]
	s_mul_hi_u32 s3, s15, s9
	s_wait_alu 0xfffe
	s_add_co_u32 s7, s22, s7
	s_add_co_ci_u32 s24, s23, s21
	s_mul_i32 s26, s15, s9
	s_add_co_ci_u32 s27, s3, 0
	s_delay_alu instid0(SALU_CYCLE_1) | instskip(NEXT) | instid1(SALU_CYCLE_1)
	s_add_nc_u64 s[22:23], s[24:25], s[26:27]
	s_mul_u64 s[24:25], s[10:11], s[22:23]
	s_add_nc_u64 s[26:27], s[22:23], 1
	s_sub_co_u32 s3, s14, s24
	s_cselect_b32 s7, -1, 0
	s_sub_co_i32 s9, s15, s25
	s_wait_alu 0xfffe
	s_cmp_lg_u32 s7, 0
	s_add_nc_u64 s[28:29], s[22:23], 2
	s_sub_co_ci_u32 s9, s9, s11
	s_sub_co_u32 s14, s3, s10
	s_cselect_b32 s21, -1, 0
	s_delay_alu instid0(SALU_CYCLE_1) | instskip(SKIP_1) | instid1(SALU_CYCLE_1)
	s_cmp_lg_u32 s21, 0
	s_sub_co_ci_u32 s9, s9, 0
	s_cmp_ge_u32 s9, s11
	s_cselect_b32 s21, -1, 0
	s_cmp_ge_u32 s14, s10
	s_cselect_b32 s14, -1, 0
	s_cmp_eq_u32 s9, s11
	s_cselect_b32 s9, s14, s21
	s_delay_alu instid0(SALU_CYCLE_1)
	s_cmp_lg_u32 s9, 0
	s_cselect_b32 s9, s28, s26
	s_cselect_b32 s14, s29, s27
	s_cmp_lg_u32 s7, 0
	s_sub_co_ci_u32 s7, s15, s25
	s_wait_alu 0xfffe
	s_cmp_ge_u32 s7, s11
	s_cselect_b32 s15, -1, 0
	s_cmp_ge_u32 s3, s10
	s_cselect_b32 s3, -1, 0
	s_cmp_eq_u32 s7, s11
	s_cselect_b32 s3, s3, s15
	s_delay_alu instid0(SALU_CYCLE_1) | instskip(SKIP_3) | instid1(SALU_CYCLE_1)
	s_cmp_lg_u32 s3, 0
	s_cselect_b32 s11, s14, s23
	s_cselect_b32 s10, s9, s22
	s_xor_b64 s[12:13], s[12:13], 0
	s_xor_b64 s[10:11], s[10:11], s[12:13]
	s_delay_alu instid0(SALU_CYCLE_1)
	s_sub_nc_u64 s[10:11], s[10:11], s[12:13]
	s_load_b96 s[12:14], s[0:1], 0x44
	s_and_not1_b32 vcc_lo, exec_lo, s8
	s_cbranch_vccnz .LBB58_6
.LBB58_5:
	v_cvt_f32_u32_e32 v1, s16
	s_sub_co_i32 s7, 0, s16
	s_delay_alu instid0(VALU_DEP_1) | instskip(NEXT) | instid1(TRANS32_DEP_1)
	v_rcp_iflag_f32_e32 v1, v1
	v_mul_f32_e32 v1, 0x4f7ffffe, v1
	s_delay_alu instid0(VALU_DEP_1) | instskip(NEXT) | instid1(VALU_DEP_1)
	v_cvt_u32_f32_e32 v1, v1
	v_readfirstlane_b32 s3, v1
	s_wait_alu 0xfffe
	s_mul_i32 s7, s7, s3
	s_wait_alu 0xfffe
	s_mul_hi_u32 s7, s3, s7
	s_wait_alu 0xfffe
	s_add_co_i32 s3, s3, s7
	s_delay_alu instid0(SALU_CYCLE_1) | instskip(NEXT) | instid1(SALU_CYCLE_1)
	s_mul_hi_u32 s3, s2, s3
	s_mul_i32 s7, s3, s16
	s_wait_alu 0xfffe
	s_sub_co_i32 s2, s2, s7
	s_add_co_i32 s7, s3, 1
	s_sub_co_i32 s8, s2, s16
	s_cmp_ge_u32 s2, s16
	s_wait_alu 0xfffe
	s_cselect_b32 s3, s7, s3
	s_cselect_b32 s2, s8, s2
	s_add_co_i32 s7, s3, 1
	s_cmp_ge_u32 s2, s16
	s_wait_alu 0xfffe
	s_cselect_b32 s10, s7, s3
.LBB58_6:
	s_mov_b32 s21, 0
	s_wait_kmcnt 0x0
	s_mov_b32 s22, s12
	s_mov_b32 s23, s21
	s_cmp_eq_u32 s20, s10
	s_mul_u64 s[2:3], s[20:21], s[22:23]
	s_cselect_b32 s7, -1, 0
	s_add_co_i32 s2, s3, s20
	s_mov_b32 s11, s21
	s_lshr_b32 s12, s2, s13
	s_mul_u64 s[2:3], s[10:11], s[22:23]
	s_mul_i32 s2, s12, s14
	s_delay_alu instid0(SALU_CYCLE_1) | instskip(SKIP_2) | instid1(SALU_CYCLE_1)
	s_cmp_eq_u32 s2, s20
	s_cselect_b32 s2, -1, 0
	s_add_co_i32 s3, s3, s10
	s_lshr_b32 s3, s3, s13
	s_delay_alu instid0(SALU_CYCLE_1)
	s_cmp_eq_u32 s12, s3
	s_mul_i32 s3, s3, s14
	s_cselect_b32 s8, -1, 0
	s_cmp_lg_u32 s3, s10
	s_cselect_b32 s3, -1, 0
	s_wait_alu 0xfffe
	s_or_b32 s2, s7, s2
	s_and_b32 s3, s8, s3
	s_delay_alu instid0(SALU_CYCLE_1) | instskip(NEXT) | instid1(SALU_CYCLE_1)
	s_or_b32 s2, s2, s3
	s_and_b32 vcc_lo, exec_lo, s2
	s_cbranch_vccnz .LBB58_24
; %bb.7:
	s_load_b256 s[24:31], s[0:1], 0x20
	s_mov_b32 s3, s21
	s_and_b32 s15, ttmp7, 0xffff
	s_wait_kmcnt 0x0
	s_mov_b32 s2, s24
	s_delay_alu instid0(SALU_CYCLE_1) | instskip(NEXT) | instid1(SALU_CYCLE_1)
	s_mul_u64 s[2:3], s[20:21], s[2:3]
	s_add_co_i32 s2, s3, s20
	s_delay_alu instid0(SALU_CYCLE_1) | instskip(SKIP_4) | instid1(SALU_CYCLE_1)
	s_lshr_b32 s3, s2, s25
	s_load_b32 s2, s[0:1], 0x40
	s_mul_i32 s7, s3, s26
	s_wait_alu 0xfffe
	s_sub_co_i32 s8, s20, s7
	s_mul_hi_u32 s7, s8, s27
	s_wait_alu 0xfffe
	s_add_co_i32 s7, s8, s7
	s_wait_alu 0xfffe
	s_lshr_b32 s7, s7, s28
	s_wait_alu 0xfffe
	s_mul_i32 s9, s7, s29
	s_delay_alu instid0(SALU_CYCLE_1) | instskip(NEXT) | instid1(SALU_CYCLE_1)
	s_sub_co_i32 s8, s8, s9
	s_mul_hi_u32 s9, s8, s30
	s_delay_alu instid0(SALU_CYCLE_1) | instskip(NEXT) | instid1(SALU_CYCLE_1)
	s_add_co_i32 s9, s8, s9
	s_lshr_b32 s24, s9, s31
	s_mov_b32 s9, s21
	s_wait_kmcnt 0x0
	s_mul_i32 s2, s24, s2
	s_delay_alu instid0(SALU_CYCLE_1) | instskip(NEXT) | instid1(SALU_CYCLE_1)
	s_sub_co_i32 s8, s8, s2
	s_mul_u64 s[10:11], s[8:9], s[22:23]
	s_delay_alu instid0(SALU_CYCLE_1) | instskip(NEXT) | instid1(SALU_CYCLE_1)
	s_add_co_i32 s2, s8, s11
	s_lshr_b32 s21, s2, s13
	s_delay_alu instid0(SALU_CYCLE_1) | instskip(NEXT) | instid1(SALU_CYCLE_1)
	s_lshl_b32 s2, s21, 5
	s_add_co_i32 s8, s2, s15
	s_lshr_b32 s2, ttmp7, 16
	s_cmp_lt_i32 s8, s4
	s_cselect_b32 s8, -1, 0
	s_add_co_i32 s24, s24, s2
	s_delay_alu instid0(SALU_CYCLE_1) | instskip(SKIP_1) | instid1(SALU_CYCLE_1)
	s_cmp_lt_i32 s24, s6
	s_cselect_b32 s9, -1, 0
	s_and_b32 s8, s8, s9
	s_delay_alu instid0(SALU_CYCLE_1)
	s_and_not1_b32 vcc_lo, exec_lo, s8
	s_cbranch_vccnz .LBB58_24
; %bb.8:
	s_mul_i32 s3, s3, s4
	s_load_b128 s[8:11], s[0:1], 0x0
	s_add_co_i32 s0, s3, s15
	s_mul_i32 s7, s7, s6
	s_mul_i32 s0, s0, s5
	s_wait_alu 0xfffe
	s_add_co_i32 s1, s24, s7
	s_mul_i32 s3, s5, s21
	s_add_co_i32 s0, s1, s0
	s_mulk_i32 s3, 0xc00
	s_mulk_i32 s0, 0x60
	s_add_co_i32 s15, s15, s2
	v_add3_u32 v1, s3, s0, v0
	s_add_nc_u64 s[0:1], s[16:17], 0
	v_cvt_f32_u32_e32 v3, s16
	s_wait_alu 0xfffe
	s_xor_b64 s[6:7], s[0:1], 0
	s_lshl_b32 s0, ttmp9, 5
	v_ashrrev_i32_e32 v2, 31, v1
	s_wait_alu 0xfffe
	s_cvt_f32_u32 s1, s6
	s_cvt_f32_u32 s2, s7
	s_add_co_i32 s0, s0, s15
	v_rcp_iflag_f32_e32 v3, v3
	v_lshlrev_b64_e32 v[1:2], 2, v[1:2]
	s_wait_alu 0xfffe
	s_fmamk_f32 s2, s2, 0x4f800000, s1
	s_ashr_i32 s1, s0, 31
	s_add_co_i32 s34, ttmp9, -1
	s_wait_alu 0xfffe
	s_lshl_b64 s[0:1], s[0:1], 3
	v_s_rcp_f32 s2, s2
	s_wait_kmcnt 0x0
	v_add_co_u32 v1, vcc_lo, s8, v1
	s_delay_alu instid0(VALU_DEP_1)
	v_add_co_ci_u32_e64 v2, null, s9, v2, vcc_lo
	s_wait_alu 0xfffe
	s_add_nc_u64 s[0:1], s[10:11], s[0:1]
	s_mov_b32 s8, 0
	s_load_b64 s[26:27], s[0:1], 0x0
	global_load_b32 v5, v[1:2], off
	s_mul_f32 s2, s2, 0x5f7ffffc
	s_lshl_b32 s0, s16, 7
	s_mov_b32 s1, s8
	v_mul_f32_e32 v6, 0x4f7ffffe, v3
	s_wait_alu 0xfffe
	s_mul_f32 s3, s2, 0x2f800000
	s_lshl_b64 s[0:1], s[0:1], 2
	v_mad_co_u64_u32 v[3:4], null, 0x60, s15, v[0:1]
	s_wait_alu 0xfffe
	s_trunc_f32 s3, s3
	s_add_nc_u64 s[24:25], s[10:11], s[0:1]
	v_cvt_u32_f32_e32 v0, v6
	s_sub_nc_u64 s[30:31], 0, s[6:7]
	s_wait_alu 0xfffe
	s_fmamk_f32 s0, s3, 0xcf800000, s2
	s_cvt_u32_f32 s29, s3
	s_wait_alu 0xfffe
	s_delay_alu instid0(SALU_CYCLE_1)
	s_cvt_u32_f32 s28, s0
	s_wait_kmcnt 0x0
	v_mov_b32_e32 v4, s27
.LBB58_9:                               ; =>This Inner Loop Header: Depth=1
	s_wait_alu 0xfffe
	s_ashr_i32 s35, s34, 31
	s_mov_b32 s2, -1
	s_wait_alu 0xfffe
	s_mul_u64 s[0:1], s[34:35], s[18:19]
                                        ; implicit-def: $sgpr38_sgpr39
	s_wait_alu 0xfffe
	s_mov_b32 s9, s1
	s_wait_alu 0xfffe
	s_cmp_lg_u64 s[8:9], 0
	s_cbranch_scc0 .LBB58_11
; %bb.10:                               ;   in Loop: Header=BB58_9 Depth=1
	s_mul_u64 s[2:3], s[30:31], s[28:29]
	s_mov_b32 s37, s8
	s_wait_alu 0xfffe
	s_mul_hi_u32 s5, s28, s3
	s_mul_i32 s4, s28, s3
	s_mul_hi_u32 s36, s28, s2
	s_mul_hi_u32 s9, s29, s2
	s_wait_alu 0xfffe
	s_add_nc_u64 s[4:5], s[36:37], s[4:5]
	s_mul_i32 s2, s29, s2
	s_mul_hi_u32 s17, s29, s3
	s_wait_alu 0xfffe
	s_add_co_u32 s2, s4, s2
	s_add_co_ci_u32 s2, s5, s9
	s_add_co_ci_u32 s5, s17, 0
	s_mul_i32 s4, s29, s3
	s_mov_b32 s3, s8
	s_mov_b32 s39, s8
	s_wait_alu 0xfffe
	s_add_nc_u64 s[2:3], s[2:3], s[4:5]
	s_wait_alu 0xfffe
	s_add_co_u32 s2, s28, s2
	s_cselect_b32 s4, -1, 0
	s_wait_alu 0xfffe
	s_cmp_lg_u32 s4, 0
	s_add_co_ci_u32 s3, s29, s3
	s_wait_alu 0xfffe
	s_mul_u64 s[4:5], s[30:31], s[2:3]
	s_wait_alu 0xfffe
	s_mul_hi_u32 s37, s2, s5
	s_mul_i32 s36, s2, s5
	s_mul_hi_u32 s38, s2, s4
	s_mul_hi_u32 s9, s3, s4
	s_mul_i32 s4, s3, s4
	s_wait_alu 0xfffe
	s_add_nc_u64 s[36:37], s[38:39], s[36:37]
	s_mul_hi_u32 s17, s3, s5
	s_wait_alu 0xfffe
	s_add_co_u32 s4, s36, s4
	s_add_co_ci_u32 s4, s37, s9
	s_add_co_ci_u32 s37, s17, 0
	s_mul_i32 s36, s3, s5
	s_mov_b32 s5, s8
	s_wait_alu 0xfffe
	s_add_nc_u64 s[4:5], s[4:5], s[36:37]
	s_mov_b32 s37, s8
	s_wait_alu 0xfffe
	s_add_co_u32 s9, s2, s4
	s_cselect_b32 s2, -1, 0
	s_wait_alu 0xfffe
	s_cmp_lg_u32 s2, 0
	s_add_co_ci_u32 s17, s3, s5
	s_ashr_i32 s2, s1, 31
	s_wait_alu 0xfffe
	s_mov_b32 s3, s2
	s_wait_alu 0xfffe
	s_add_nc_u64 s[4:5], s[0:1], s[2:3]
	s_wait_alu 0xfffe
	s_xor_b64 s[4:5], s[4:5], s[2:3]
	s_wait_alu 0xfffe
	s_mul_hi_u32 s39, s4, s17
	s_mul_i32 s38, s4, s17
	s_mul_hi_u32 s36, s4, s9
	s_mul_i32 s21, s5, s9
	s_wait_alu 0xfffe
	s_add_nc_u64 s[36:37], s[36:37], s[38:39]
	s_mul_hi_u32 s9, s5, s9
	s_mul_hi_u32 s1, s5, s17
	s_wait_alu 0xfffe
	s_add_co_u32 s21, s36, s21
	s_add_co_ci_u32 s36, s37, s9
	s_add_co_ci_u32 s39, s1, 0
	s_mul_i32 s38, s5, s17
	s_mov_b32 s37, s8
	s_wait_alu 0xfffe
	s_add_nc_u64 s[36:37], s[36:37], s[38:39]
	s_wait_alu 0xfffe
	s_mul_u64 s[38:39], s[6:7], s[36:37]
	s_add_nc_u64 s[40:41], s[36:37], 1
	s_sub_co_u32 s1, s4, s38
	s_cselect_b32 s4, -1, 0
	s_sub_co_i32 s9, s5, s39
	s_wait_alu 0xfffe
	s_cmp_lg_u32 s4, 0
	s_add_nc_u64 s[42:43], s[36:37], 2
	s_sub_co_ci_u32 s9, s9, s7
	s_sub_co_u32 s17, s1, s6
	s_cselect_b32 s21, -1, 0
	s_delay_alu instid0(SALU_CYCLE_1)
	s_cmp_lg_u32 s21, 0
	s_wait_alu 0xfffe
	s_sub_co_ci_u32 s9, s9, 0
	s_wait_alu 0xfffe
	s_cmp_ge_u32 s9, s7
	s_cselect_b32 s21, -1, 0
	s_cmp_ge_u32 s17, s6
	s_cselect_b32 s17, -1, 0
	s_cmp_eq_u32 s9, s7
	s_wait_alu 0xfffe
	s_cselect_b32 s9, s17, s21
	s_wait_alu 0xfffe
	s_cmp_lg_u32 s9, 0
	s_cselect_b32 s9, s42, s40
	s_cselect_b32 s17, s43, s41
	s_cmp_lg_u32 s4, 0
	s_sub_co_ci_u32 s4, s5, s39
	s_wait_alu 0xfffe
	s_cmp_ge_u32 s4, s7
	s_cselect_b32 s5, -1, 0
	s_cmp_ge_u32 s1, s6
	s_cselect_b32 s1, -1, 0
	s_cmp_eq_u32 s4, s7
	s_wait_alu 0xfffe
	s_cselect_b32 s1, s1, s5
	s_wait_alu 0xfffe
	s_cmp_lg_u32 s1, 0
	s_cselect_b32 s5, s17, s37
	s_cselect_b32 s4, s9, s36
	s_xor_b64 s[2:3], s[2:3], 0
	s_wait_alu 0xfffe
	s_xor_b64 s[4:5], s[4:5], s[2:3]
	s_wait_alu 0xfffe
	s_sub_nc_u64 s[38:39], s[4:5], s[2:3]
	s_mov_b32 s2, 0
.LBB58_11:                              ;   in Loop: Header=BB58_9 Depth=1
	s_wait_alu 0xfffe
	s_and_not1_b32 vcc_lo, exec_lo, s2
	s_wait_alu 0xfffe
	s_cbranch_vccnz .LBB58_13
; %bb.12:                               ;   in Loop: Header=BB58_9 Depth=1
	v_readfirstlane_b32 s1, v0
	s_sub_co_i32 s2, 0, s16
	s_wait_alu 0xfffe
	s_mul_i32 s2, s2, s1
	s_wait_alu 0xfffe
	s_mul_hi_u32 s2, s1, s2
	s_wait_alu 0xfffe
	s_add_co_i32 s1, s1, s2
	s_wait_alu 0xfffe
	s_mul_hi_u32 s1, s0, s1
	s_wait_alu 0xfffe
	s_mul_i32 s2, s1, s16
	s_wait_alu 0xfffe
	s_sub_co_i32 s0, s0, s2
	s_add_co_i32 s2, s1, 1
	s_wait_alu 0xfffe
	s_sub_co_i32 s3, s0, s16
	s_cmp_ge_u32 s0, s16
	s_cselect_b32 s1, s2, s1
	s_wait_alu 0xfffe
	s_cselect_b32 s0, s3, s0
	s_add_co_i32 s2, s1, 1
	s_wait_alu 0xfffe
	s_cmp_ge_u32 s0, s16
	s_cselect_b32 s38, s2, s1
.LBB58_13:                              ;   in Loop: Header=BB58_9 Depth=1
	v_readfirstlane_b32 s9, v0
	s_cmp_lg_u32 s20, s38
	s_mov_b32 s0, -1
                                        ; implicit-def: $sgpr21
                                        ; implicit-def: $vgpr6
                                        ; implicit-def: $vgpr7
                                        ; implicit-def: $sgpr17
                                        ; implicit-def: $sgpr27
	s_cbranch_scc1 .LBB58_16
; %bb.14:                               ;   in Loop: Header=BB58_9 Depth=1
	s_wait_alu 0xfffe
	s_and_not1_b32 vcc_lo, exec_lo, s0
	s_wait_alu 0xfffe
	s_cbranch_vccz .LBB58_19
.LBB58_15:                              ;   in Loop: Header=BB58_9 Depth=1
	s_and_not1_b32 vcc_lo, exec_lo, s21
	s_wait_alu 0xfffe
	s_cbranch_vccnz .LBB58_20
	s_branch .LBB58_23
.LBB58_16:                              ;   in Loop: Header=BB58_9 Depth=1
	s_add_co_i32 s0, s34, s16
	s_mov_b32 s1, s8
	s_wait_alu 0xfffe
	s_lshl_b32 s0, s0, 5
	v_max_num_f32_e64 v6, s26, s26
	s_wait_alu 0xfffe
	s_add_co_i32 s0, s0, s15
	s_mov_b32 s39, s8
	s_wait_alu 0xfffe
	s_lshl_b64 s[0:1], s[0:1], 3
	s_mul_u64 s[40:41], s[38:39], s[22:23]
	s_wait_alu 0xfffe
	s_add_nc_u64 s[0:1], s[10:11], s[0:1]
	s_mov_b32 s27, s20
	s_load_b64 s[36:37], s[0:1], 0x0
	v_readfirstlane_b32 s0, v6
	s_wait_kmcnt 0x0
	v_max_num_f32_e64 v7, s36, s36
	s_delay_alu instid0(VALU_DEP_1) | instskip(SKIP_2) | instid1(SALU_CYCLE_2)
	v_readfirstlane_b32 s1, v7
	s_max_num_f32 s9, s0, s1
	s_wait_alu 0xfffe
	s_sub_f32 s33, s26, s9
	s_sub_f32 s35, s36, s9
	s_wait_alu 0xfffe
	s_delay_alu instid0(SALU_CYCLE_1)
	s_cmp_nlt_f32 s33, 0xc2ce8ed0
	s_cselect_b32 s0, -1, 0
	s_cmp_ngt_f32 s33, 0x42b17218
	s_cselect_b32 s1, -1, 0
	s_cmp_ge_f32 s33, 0xc1a00000
	s_cselect_b32 s2, -1, 0
	s_cmp_nlt_f32 s35, 0xc2ce8ed0
	s_cselect_b32 s3, -1, 0
	s_cmp_ngt_f32 s35, 0x42b17218
	s_cselect_b32 s4, -1, 0
	s_cmp_ge_f32 s35, 0xc1a00000
	s_cselect_b32 s5, -1, 0
	s_add_co_i32 s17, s41, s38
	s_wait_alu 0xfffe
	s_lshr_b32 s17, s17, s13
	s_wait_alu 0xfffe
	s_mul_i32 s21, s17, s14
	s_delay_alu instid0(SALU_CYCLE_1)
	s_cmp_eq_u32 s21, s38
	s_cselect_b32 s21, -1, 0
	s_cmp_lt_u32 s17, s12
	s_cselect_b32 s17, -1, 0
	s_wait_alu 0xfffe
	s_or_b32 s17, s17, s21
	s_mov_b32 s21, -1
	s_wait_alu 0xfffe
	s_and_b32 vcc_lo, exec_lo, s17
	s_mov_b32 s17, s34
	s_wait_alu 0xfffe
	s_cbranch_vccnz .LBB58_18
; %bb.17:                               ;   in Loop: Header=BB58_9 Depth=1
	s_add_co_i32 s17, s34, -1
	s_mov_b32 s21, 0
	s_mov_b32 s27, s38
.LBB58_18:                              ;   in Loop: Header=BB58_9 Depth=1
	v_mad_co_u64_u32 v[6:7], null, 0xc00, s34, v[3:4]
	s_mul_f32 s36, s35, 0x3fb8aa3b
	s_mul_f32 s38, s33, 0x3fb8aa3b
	s_wait_alu 0xfffe
	s_delay_alu instid0(SALU_CYCLE_1)
	s_xor_b32 s39, s36, 0x80000000
	s_rndne_f32 s40, s36
	v_ashrrev_i32_e32 v7, 31, v6
	s_fmamk_f32 s39, s35, 0x3fb8aa3b, s39
	s_xor_b32 s41, s38, 0x80000000
	s_sub_f32 s36, s36, s40
	s_rndne_f32 s42, s38
	v_lshlrev_b64_e32 v[6:7], 2, v[6:7]
	s_fmamk_f32 s35, s35, 0x32a5705f, s39
	s_fmamk_f32 s39, s33, 0x3fb8aa3b, s41
	s_sub_f32 s38, s38, s42
	s_wait_alu 0xfffe
	s_add_f32 s35, s36, s35
	v_add_co_u32 v6, vcc_lo, s24, v6
	s_wait_alu 0xfffd
	v_add_co_ci_u32_e64 v7, null, s25, v7, vcc_lo
	s_fmamk_f32 s33, s33, 0x32a5705f, s39
	s_wait_alu 0xfffe
	v_s_exp_f32 s35, s35
	s_cvt_i32_f32 s36, s40
	global_load_b32 v6, v[6:7], off
	s_add_f32 s33, s38, s33
	s_wait_alu 0xfffe
	s_delay_alu instid0(SALU_CYCLE_2) | instskip(SKIP_2) | instid1(VALU_DEP_1)
	v_s_exp_f32 s33, s33
	v_ldexp_f32 v7, s35, s36
	s_cvt_i32_f32 s35, s42
	v_cndmask_b32_e64 v7, 0, v7, s3
	s_wait_alu 0xf1fe
	s_delay_alu instid0(TRANS32_DEP_1) | instid1(SALU_CYCLE_1)
	v_ldexp_f32 v8, s33, s35
	s_delay_alu instid0(VALU_DEP_2) | instskip(NEXT) | instid1(VALU_DEP_2)
	v_cndmask_b32_e64 v7, 0x7f800000, v7, s4
	v_cndmask_b32_e64 v8, 0, v8, s0
	s_delay_alu instid0(VALU_DEP_2) | instskip(NEXT) | instid1(VALU_DEP_2)
	v_cndmask_b32_e64 v7, 0, v7, s5
	v_cndmask_b32_e64 v8, 0x7f800000, v8, s1
	s_delay_alu instid0(VALU_DEP_1) | instskip(SKIP_1) | instid1(VALU_DEP_3)
	v_cndmask_b32_e64 v8, 0, v8, s2
	s_wait_loadcnt 0x0
	v_mul_f32_e32 v6, v6, v7
	v_mul_f32_e32 v7, s37, v7
	s_delay_alu instid0(VALU_DEP_1) | instskip(NEXT) | instid1(VALU_DEP_3)
	v_fmac_f32_e32 v7, v4, v8
	v_fmac_f32_e32 v6, v5, v8
	s_cbranch_execnz .LBB58_15
.LBB58_19:                              ;   in Loop: Header=BB58_9 Depth=1
	s_wait_loadcnt 0x0
	v_dual_mov_b32 v7, v4 :: v_dual_mov_b32 v6, v5
	s_add_co_i32 s17, s34, -1
	s_mov_b32 s27, s20
	s_mov_b32 s9, s26
	s_cbranch_execz .LBB58_23
.LBB58_20:                              ;   in Loop: Header=BB58_9 Depth=1
	s_wait_loadcnt 0x0
	v_dual_mov_b32 v4, v7 :: v_dual_mov_b32 v5, v6
	s_wait_alu 0xfffe
	s_mov_b32 s20, s27
	s_mov_b32 s34, s17
	;; [unrolled: 1-line block ×3, first 2 shown]
	s_branch .LBB58_9
.LBB58_21:
                                        ; implicit-def: $sgpr20_sgpr21
	s_branch .LBB58_2
.LBB58_22:
                                        ; implicit-def: $sgpr10_sgpr11
	s_load_b96 s[12:14], s[0:1], 0x44
	s_branch .LBB58_5
.LBB58_23:
	v_div_scale_f32 v0, null, v7, v7, v6
	s_delay_alu instid0(VALU_DEP_1) | instskip(NEXT) | instid1(TRANS32_DEP_1)
	v_rcp_f32_e32 v3, v0
	v_fma_f32 v4, -v0, v3, 1.0
	s_delay_alu instid0(VALU_DEP_1) | instskip(SKIP_2) | instid1(VALU_DEP_1)
	v_fmac_f32_e32 v3, v4, v3
	v_div_scale_f32 v4, vcc_lo, v6, v7, v6
	s_wait_loadcnt 0x0
	v_mul_f32_e32 v5, v4, v3
	s_delay_alu instid0(VALU_DEP_1) | instskip(NEXT) | instid1(VALU_DEP_1)
	v_fma_f32 v8, -v0, v5, v4
	v_fmac_f32_e32 v5, v8, v3
	s_delay_alu instid0(VALU_DEP_1) | instskip(SKIP_1) | instid1(VALU_DEP_1)
	v_fma_f32 v0, -v0, v5, v4
	s_wait_alu 0xfffd
	v_div_fmas_f32 v0, v0, v3, v5
	s_delay_alu instid0(VALU_DEP_1)
	v_div_fixup_f32 v0, v0, v7, v6
	global_store_b32 v[1:2], v0, off
.LBB58_24:
	s_endpgm
	.section	.rodata,"a",@progbits
	.p2align	6, 0x0
	.amdhsa_kernel _ZL33flash_attn_stream_k_fixup_generalILi96ELi32ELi1EEvPfPK15HIP_vector_typeIfLj2EEiiiiS1_IjLj3EES5_S5_S5_
		.amdhsa_group_segment_fixed_size 0
		.amdhsa_private_segment_fixed_size 0
		.amdhsa_kernarg_size 336
		.amdhsa_user_sgpr_count 2
		.amdhsa_user_sgpr_dispatch_ptr 0
		.amdhsa_user_sgpr_queue_ptr 0
		.amdhsa_user_sgpr_kernarg_segment_ptr 1
		.amdhsa_user_sgpr_dispatch_id 0
		.amdhsa_user_sgpr_private_segment_size 0
		.amdhsa_wavefront_size32 1
		.amdhsa_uses_dynamic_stack 0
		.amdhsa_enable_private_segment 0
		.amdhsa_system_sgpr_workgroup_id_x 1
		.amdhsa_system_sgpr_workgroup_id_y 1
		.amdhsa_system_sgpr_workgroup_id_z 1
		.amdhsa_system_sgpr_workgroup_info 0
		.amdhsa_system_vgpr_workitem_id 0
		.amdhsa_next_free_vgpr 9
		.amdhsa_next_free_sgpr 44
		.amdhsa_reserve_vcc 1
		.amdhsa_float_round_mode_32 0
		.amdhsa_float_round_mode_16_64 0
		.amdhsa_float_denorm_mode_32 3
		.amdhsa_float_denorm_mode_16_64 3
		.amdhsa_fp16_overflow 0
		.amdhsa_workgroup_processor_mode 1
		.amdhsa_memory_ordered 1
		.amdhsa_forward_progress 1
		.amdhsa_inst_pref_size 28
		.amdhsa_round_robin_scheduling 0
		.amdhsa_exception_fp_ieee_invalid_op 0
		.amdhsa_exception_fp_denorm_src 0
		.amdhsa_exception_fp_ieee_div_zero 0
		.amdhsa_exception_fp_ieee_overflow 0
		.amdhsa_exception_fp_ieee_underflow 0
		.amdhsa_exception_fp_ieee_inexact 0
		.amdhsa_exception_int_div_zero 0
	.end_amdhsa_kernel
	.section	.text._ZL33flash_attn_stream_k_fixup_generalILi96ELi32ELi1EEvPfPK15HIP_vector_typeIfLj2EEiiiiS1_IjLj3EES5_S5_S5_,"axG",@progbits,_ZL33flash_attn_stream_k_fixup_generalILi96ELi32ELi1EEvPfPK15HIP_vector_typeIfLj2EEiiiiS1_IjLj3EES5_S5_S5_,comdat
.Lfunc_end58:
	.size	_ZL33flash_attn_stream_k_fixup_generalILi96ELi32ELi1EEvPfPK15HIP_vector_typeIfLj2EEiiiiS1_IjLj3EES5_S5_S5_, .Lfunc_end58-_ZL33flash_attn_stream_k_fixup_generalILi96ELi32ELi1EEvPfPK15HIP_vector_typeIfLj2EEiiiiS1_IjLj3EES5_S5_S5_
                                        ; -- End function
	.set _ZL33flash_attn_stream_k_fixup_generalILi96ELi32ELi1EEvPfPK15HIP_vector_typeIfLj2EEiiiiS1_IjLj3EES5_S5_S5_.num_vgpr, 9
	.set _ZL33flash_attn_stream_k_fixup_generalILi96ELi32ELi1EEvPfPK15HIP_vector_typeIfLj2EEiiiiS1_IjLj3EES5_S5_S5_.num_agpr, 0
	.set _ZL33flash_attn_stream_k_fixup_generalILi96ELi32ELi1EEvPfPK15HIP_vector_typeIfLj2EEiiiiS1_IjLj3EES5_S5_S5_.numbered_sgpr, 44
	.set _ZL33flash_attn_stream_k_fixup_generalILi96ELi32ELi1EEvPfPK15HIP_vector_typeIfLj2EEiiiiS1_IjLj3EES5_S5_S5_.num_named_barrier, 0
	.set _ZL33flash_attn_stream_k_fixup_generalILi96ELi32ELi1EEvPfPK15HIP_vector_typeIfLj2EEiiiiS1_IjLj3EES5_S5_S5_.private_seg_size, 0
	.set _ZL33flash_attn_stream_k_fixup_generalILi96ELi32ELi1EEvPfPK15HIP_vector_typeIfLj2EEiiiiS1_IjLj3EES5_S5_S5_.uses_vcc, 1
	.set _ZL33flash_attn_stream_k_fixup_generalILi96ELi32ELi1EEvPfPK15HIP_vector_typeIfLj2EEiiiiS1_IjLj3EES5_S5_S5_.uses_flat_scratch, 0
	.set _ZL33flash_attn_stream_k_fixup_generalILi96ELi32ELi1EEvPfPK15HIP_vector_typeIfLj2EEiiiiS1_IjLj3EES5_S5_S5_.has_dyn_sized_stack, 0
	.set _ZL33flash_attn_stream_k_fixup_generalILi96ELi32ELi1EEvPfPK15HIP_vector_typeIfLj2EEiiiiS1_IjLj3EES5_S5_S5_.has_recursion, 0
	.set _ZL33flash_attn_stream_k_fixup_generalILi96ELi32ELi1EEvPfPK15HIP_vector_typeIfLj2EEiiiiS1_IjLj3EES5_S5_S5_.has_indirect_call, 0
	.section	.AMDGPU.csdata,"",@progbits
; Kernel info:
; codeLenInByte = 3552
; TotalNumSgprs: 46
; NumVgprs: 9
; ScratchSize: 0
; MemoryBound: 0
; FloatMode: 240
; IeeeMode: 1
; LDSByteSize: 0 bytes/workgroup (compile time only)
; SGPRBlocks: 0
; VGPRBlocks: 1
; NumSGPRsForWavesPerEU: 46
; NumVGPRsForWavesPerEU: 9
; Occupancy: 16
; WaveLimiterHint : 0
; COMPUTE_PGM_RSRC2:SCRATCH_EN: 0
; COMPUTE_PGM_RSRC2:USER_SGPR: 2
; COMPUTE_PGM_RSRC2:TRAP_HANDLER: 0
; COMPUTE_PGM_RSRC2:TGID_X_EN: 1
; COMPUTE_PGM_RSRC2:TGID_Y_EN: 1
; COMPUTE_PGM_RSRC2:TGID_Z_EN: 1
; COMPUTE_PGM_RSRC2:TIDIG_COMP_CNT: 0
	.section	.text._ZL15flash_attn_tileILi96ELi96ELi16ELi1ELb0EEvPKcS1_S1_S1_S1_PKiPfP15HIP_vector_typeIfLj2EEffffjfiS5_IjLj3EEiiiiiiiiiiiliiliiiiil,"axG",@progbits,_ZL15flash_attn_tileILi96ELi96ELi16ELi1ELb0EEvPKcS1_S1_S1_S1_PKiPfP15HIP_vector_typeIfLj2EEffffjfiS5_IjLj3EEiiiiiiiiiiiliiliiiiil,comdat
	.globl	_ZL15flash_attn_tileILi96ELi96ELi16ELi1ELb0EEvPKcS1_S1_S1_S1_PKiPfP15HIP_vector_typeIfLj2EEffffjfiS5_IjLj3EEiiiiiiiiiiiliiliiiiil ; -- Begin function _ZL15flash_attn_tileILi96ELi96ELi16ELi1ELb0EEvPKcS1_S1_S1_S1_PKiPfP15HIP_vector_typeIfLj2EEffffjfiS5_IjLj3EEiiiiiiiiiiiliiliiiiil
	.p2align	8
	.type	_ZL15flash_attn_tileILi96ELi96ELi16ELi1ELb0EEvPKcS1_S1_S1_S1_PKiPfP15HIP_vector_typeIfLj2EEffffjfiS5_IjLj3EEiiiiiiiiiiiliiliiiiil,@function
_ZL15flash_attn_tileILi96ELi96ELi16ELi1ELb0EEvPKcS1_S1_S1_S1_PKiPfP15HIP_vector_typeIfLj2EEffffjfiS5_IjLj3EEiiiiiiiiiiiliiliiiiil: ; @_ZL15flash_attn_tileILi96ELi96ELi16ELi1ELb0EEvPKcS1_S1_S1_S1_PKiPfP15HIP_vector_typeIfLj2EEffffjfiS5_IjLj3EEiiiiiiiiiiiliiliiiiil
; %bb.0:
	s_clause 0x1
	s_load_b128 s[20:23], s[0:1], 0x5c
	s_load_b64 s[38:39], s[0:1], 0x80
	s_lshr_b32 s28, ttmp7, 16
	s_mov_b32 s37, 0
	s_mov_b64 s[34:35], 0
	s_wait_kmcnt 0x0
	s_cvt_f32_u32 s2, s23
	s_sub_co_i32 s3, 0, s23
	s_delay_alu instid0(SALU_CYCLE_2) | instskip(NEXT) | instid1(TRANS32_DEP_1)
	v_rcp_iflag_f32_e32 v1, s2
	v_readfirstlane_b32 s2, v1
	s_mul_f32 s2, s2, 0x4f7ffffe
	s_wait_alu 0xfffe
	s_delay_alu instid0(SALU_CYCLE_2) | instskip(SKIP_1) | instid1(SALU_CYCLE_2)
	s_cvt_u32_f32 s2, s2
	s_wait_alu 0xfffe
	s_mul_i32 s3, s3, s2
	s_wait_alu 0xfffe
	s_mul_hi_u32 s3, s2, s3
	s_wait_alu 0xfffe
	s_add_co_i32 s2, s2, s3
	s_wait_alu 0xfffe
	s_mul_hi_u32 s2, s28, s2
	s_wait_alu 0xfffe
	s_mul_i32 s3, s2, s23
	s_add_co_i32 s4, s2, 1
	s_wait_alu 0xfffe
	s_sub_co_i32 s3, s28, s3
	s_wait_alu 0xfffe
	s_sub_co_i32 s5, s3, s23
	s_cmp_ge_u32 s3, s23
	s_cselect_b32 s2, s4, s2
	s_cselect_b32 s3, s5, s3
	s_wait_alu 0xfffe
	s_add_co_i32 s4, s2, 1
	s_cmp_ge_u32 s3, s23
	s_cselect_b32 s30, s4, s2
	s_abs_i32 s2, s39
	s_abs_i32 s5, s23
	s_wait_alu 0xfffe
	s_cvt_f32_u32 s3, s2
	s_sub_co_i32 s4, 0, s2
	s_mul_i32 s33, s30, s23
	s_wait_alu 0xfffe
	v_rcp_iflag_f32_e32 v1, s3
	s_delay_alu instid0(TRANS32_DEP_1) | instskip(SKIP_2) | instid1(SALU_CYCLE_2)
	v_readfirstlane_b32 s3, v1
	s_mul_f32 s3, s3, 0x4f7ffffe
	s_wait_alu 0xfffe
	s_cvt_u32_f32 s3, s3
	s_wait_alu 0xfffe
	s_delay_alu instid0(SALU_CYCLE_2) | instskip(NEXT) | instid1(SALU_CYCLE_1)
	s_mul_i32 s4, s4, s3
	s_mul_hi_u32 s4, s3, s4
	s_delay_alu instid0(SALU_CYCLE_1)
	s_add_co_i32 s3, s3, s4
	s_xor_b32 s4, s23, s39
	s_wait_alu 0xfffe
	s_mul_hi_u32 s3, s5, s3
	s_ashr_i32 s4, s4, 31
	s_wait_alu 0xfffe
	s_mul_i32 s6, s3, s2
	s_delay_alu instid0(SALU_CYCLE_1)
	s_sub_co_i32 s5, s5, s6
	s_add_co_i32 s6, s3, 1
	s_sub_co_i32 s7, s5, s2
	s_cmp_ge_u32 s5, s2
	s_cselect_b32 s3, s6, s3
	s_cselect_b32 s5, s7, s5
	s_wait_alu 0xfffe
	s_add_co_i32 s6, s3, 1
	s_cmp_ge_u32 s5, s2
	s_cselect_b32 s2, s6, s3
	s_wait_alu 0xfffe
	s_xor_b32 s2, s2, s4
	s_wait_alu 0xfffe
	s_sub_co_i32 s31, s2, s4
	s_delay_alu instid0(SALU_CYCLE_1) | instskip(NEXT) | instid1(SALU_CYCLE_1)
	s_abs_i32 s39, s31
	s_cvt_f32_u32 s2, s39
	s_sub_co_i32 s36, 0, s39
	s_wait_alu 0xfffe
	s_delay_alu instid0(SALU_CYCLE_1) | instskip(SKIP_3) | instid1(TRANS32_DEP_1)
	v_rcp_iflag_f32_e32 v1, s2
	s_clause 0x1
	s_load_b512 s[4:19], s[0:1], 0x0
	s_load_b64 s[2:3], s[0:1], 0xb8
	v_readfirstlane_b32 s24, v1
	s_mul_f32 s24, s24, 0x4f7ffffe
	s_delay_alu instid0(SALU_CYCLE_3) | instskip(SKIP_2) | instid1(SALU_CYCLE_1)
	s_cvt_u32_f32 s29, s24
	s_wait_kmcnt 0x0
	s_cmp_eq_u64 s[10:11], 0
	s_mul_i32 s36, s36, s29
	s_cbranch_scc1 .LBB59_2
; %bb.1:
	s_abs_i32 s2, s2
	s_wait_alu 0xfffe
	s_cvt_f32_u32 s24, s2
	s_delay_alu instid0(SALU_CYCLE_3) | instskip(NEXT) | instid1(TRANS32_DEP_1)
	v_rcp_iflag_f32_e32 v1, s24
	v_readfirstlane_b32 s24, v1
	s_mul_f32 s24, s24, 0x4f7ffffe
	s_wait_alu 0xfffe
	s_delay_alu instid0(SALU_CYCLE_2) | instskip(SKIP_2) | instid1(SALU_CYCLE_1)
	s_cvt_u32_f32 s26, s24
	s_sub_co_i32 s24, 0, s2
	s_wait_alu 0xfffe
	s_mul_i32 s24, s24, s26
	s_wait_alu 0xfffe
	s_mul_hi_u32 s27, s26, s24
	s_load_b64 s[24:25], s[0:1], 0xc8
	s_add_co_i32 s26, s26, s27
	s_delay_alu instid0(SALU_CYCLE_1) | instskip(NEXT) | instid1(SALU_CYCLE_1)
	s_mul_hi_u32 s26, s30, s26
	s_mul_i32 s26, s26, s2
	s_delay_alu instid0(SALU_CYCLE_1) | instskip(NEXT) | instid1(SALU_CYCLE_1)
	s_sub_co_i32 s26, s30, s26
	s_sub_co_i32 s27, s26, s2
	s_cmp_ge_u32 s26, s2
	s_cselect_b32 s26, s27, s26
	s_delay_alu instid0(SALU_CYCLE_1) | instskip(SKIP_2) | instid1(SALU_CYCLE_1)
	s_sub_co_i32 s27, s26, s2
	s_cmp_ge_u32 s26, s2
	s_cselect_b32 s26, s27, s26
	s_ashr_i32 s27, s26, 31
	s_wait_kmcnt 0x0
	s_mul_u64 s[24:25], s[24:25], s[26:27]
	s_wait_alu 0xfffe
	s_add_nc_u64 s[34:35], s[10:11], s[24:25]
.LBB59_2:
	s_clause 0x1
	s_load_b128 s[24:27], s[0:1], 0x40
	s_load_b32 s2, s[0:1], 0x50
	s_sub_co_i32 s28, s28, s33
	v_mov_b32_e32 v72, 1.0
	s_mul_hi_u32 s10, s29, s36
	s_wait_kmcnt 0x0
	s_cmp_le_f32 s25, 0
	s_cbranch_scc1 .LBB59_4
; %bb.3:
	v_sub_co_u32 v1, s2, s28, s2
	s_and_b32 s25, s2, exec_lo
	s_cselect_b32 s25, s26, s27
	s_add_co_i32 s26, s28, 1
	v_readfirstlane_b32 s11, v1
	s_lshl_b32 s11, s11, 1
	s_delay_alu instid0(SALU_CYCLE_1)
	s_or_b32 s11, s11, 1
	s_and_b32 s2, s2, exec_lo
	s_cselect_b32 s2, s26, s11
	s_wait_alu 0xfffe
	s_cmp_neq_f32 s25, 1.0
	s_cvt_f32_i32 s2, s2
	s_wait_alu 0xfffe
	s_delay_alu instid0(SALU_CYCLE_2) | instskip(NEXT) | instid1(SALU_CYCLE_1)
	s_cselect_b32 s11, s2, 1.0
	s_cmp_neq_f32 s11, 0
	s_cselect_b32 s2, s25, 1.0
	s_wait_alu 0xfffe
	v_frexp_mant_f32_e64 v1, |s2|
	s_delay_alu instid0(VALU_DEP_1) | instskip(SKIP_3) | instid1(SALU_CYCLE_1)
	v_readfirstlane_b32 s25, v1
	v_cvt_f64_f32_e64 v[1:2], |s2|
	s_cmp_lt_f32 s25, 0x3f2aaaab
	s_cselect_b32 s26, -1, 0
	s_and_b32 s27, s26, exec_lo
	s_cselect_b32 s27, 2.0, 1.0
	s_delay_alu instid0(SALU_CYCLE_1) | instskip(SKIP_1) | instid1(SALU_CYCLE_2)
	s_mul_f32 s25, s25, s27
	s_wait_alu 0xfffe
	s_add_f32 s27, s25, 1.0
	s_add_f32 s36, s25, -1.0
	s_delay_alu instid0(SALU_CYCLE_2) | instskip(SKIP_1) | instid1(SALU_CYCLE_3)
	v_s_rcp_f32 s33, s27
	s_add_f32 s42, s27, -1.0
	s_sub_f32 s25, s25, s42
	s_delay_alu instid0(TRANS32_DEP_1) | instskip(NEXT) | instid1(SALU_CYCLE_3)
	s_mul_f32 s40, s36, s33
	s_mul_f32 s41, s27, s40
	s_delay_alu instid0(SALU_CYCLE_3) | instskip(NEXT) | instid1(VALU_DEP_1)
	s_xor_b32 s43, s41, 0x80000000
	v_frexp_exp_i32_f64_e32 v1, v[1:2]
	s_fmac_f32 s43, s40, s27
	s_wait_alu 0xfffe
	s_delay_alu instid0(SALU_CYCLE_2) | instskip(NEXT) | instid1(SALU_CYCLE_3)
	s_fmac_f32 s43, s40, s25
	s_add_f32 s25, s41, s43
	s_wait_alu 0xfffe
	s_delay_alu instid0(SALU_CYCLE_2) | instskip(SKIP_2) | instid1(SALU_CYCLE_1)
	s_sub_f32 s27, s36, s25
	s_sub_f32 s41, s25, s41
	s_wait_alu 0xfffe
	s_sub_f32 s36, s36, s27
	s_delay_alu instid0(SALU_CYCLE_1) | instskip(NEXT) | instid1(SALU_CYCLE_2)
	s_sub_f32 s41, s41, s43
	s_sub_f32 s25, s36, s25
	s_wait_alu 0xfffe
	s_delay_alu instid0(SALU_CYCLE_2) | instskip(SKIP_2) | instid1(SALU_CYCLE_1)
	s_add_f32 s25, s41, s25
	s_mov_b32 s41, 0x3e76c4e1
	s_wait_alu 0xfffe
	s_add_f32 s25, s27, s25
	s_wait_alu 0xfffe
	s_delay_alu instid0(SALU_CYCLE_2) | instskip(SKIP_1) | instid1(SALU_CYCLE_2)
	s_mul_f32 s25, s33, s25
	s_wait_alu 0xfffe
	s_add_f32 s27, s40, s25
	s_wait_alu 0xfffe
	s_delay_alu instid0(SALU_CYCLE_2) | instskip(SKIP_1) | instid1(SALU_CYCLE_2)
	s_sub_f32 s33, s27, s40
	s_mul_f32 s36, s27, s27
	s_sub_f32 s25, s25, s33
	s_delay_alu instid0(SALU_CYCLE_2) | instskip(NEXT) | instid1(SALU_CYCLE_1)
	s_xor_b32 s33, s36, 0x80000000
	s_fmac_f32 s33, s27, s27
	s_wait_alu 0xfffe
	s_add_f32 s40, s25, s25
	s_delay_alu instid0(SALU_CYCLE_3) | instskip(NEXT) | instid1(SALU_CYCLE_3)
	s_fmac_f32 s33, s27, s40
	s_add_f32 s40, s36, s33
	s_delay_alu instid0(SALU_CYCLE_3) | instskip(SKIP_1) | instid1(SALU_CYCLE_2)
	s_fmaak_f32 s41, s40, s41, 0x3e91f4c4
	s_sub_f32 s36, s40, s36
	s_fmaak_f32 s41, s40, s41, 0x3ecccdef
	s_delay_alu instid0(SALU_CYCLE_2) | instskip(SKIP_1) | instid1(SALU_CYCLE_1)
	s_sub_f32 s33, s33, s36
	s_mul_f32 s36, s27, s40
	s_mul_f32 s42, s40, s41
	s_delay_alu instid0(SALU_CYCLE_2) | instskip(NEXT) | instid1(SALU_CYCLE_2)
	s_xor_b32 s44, s36, 0x80000000
	s_xor_b32 s43, s42, 0x80000000
	s_fmac_f32 s44, s40, s27
	s_fmac_f32 s43, s40, s41
	s_delay_alu instid0(SALU_CYCLE_2) | instskip(NEXT) | instid1(SALU_CYCLE_2)
	s_fmac_f32 s44, s40, s25
	s_fmac_f32 s43, s33, s41
	s_delay_alu instid0(SALU_CYCLE_2) | instskip(NEXT) | instid1(SALU_CYCLE_2)
	s_fmac_f32 s44, s33, s27
	s_add_f32 s41, s42, s43
	s_delay_alu instid0(SALU_CYCLE_3) | instskip(SKIP_1) | instid1(SALU_CYCLE_2)
	s_sub_f32 s42, s41, s42
	s_add_f32 s45, s41, 0x3f2aaaaa
	s_sub_f32 s42, s43, s42
	s_delay_alu instid0(SALU_CYCLE_2) | instskip(NEXT) | instid1(SALU_CYCLE_2)
	s_add_f32 s43, s45, 0xbf2aaaaa
	s_add_f32 s40, s42, 0x31739010
	s_delay_alu instid0(SALU_CYCLE_2) | instskip(NEXT) | instid1(SALU_CYCLE_3)
	s_sub_f32 s41, s41, s43
	s_add_f32 s33, s40, s41
	s_add_f32 s40, s36, s44
	s_delay_alu instid0(SALU_CYCLE_2) | instskip(NEXT) | instid1(SALU_CYCLE_2)
	s_add_f32 s41, s45, s33
	s_sub_f32 s36, s40, s36
	s_delay_alu instid0(SALU_CYCLE_2) | instskip(SKIP_1) | instid1(SALU_CYCLE_1)
	s_mul_f32 s42, s40, s41
	s_sub_f32 s43, s45, s41
	s_sub_f32 s36, s44, s36
	s_delay_alu instid0(SALU_CYCLE_1) | instskip(NEXT) | instid1(SALU_CYCLE_1)
	s_xor_b32 s45, s42, 0x80000000
	s_add_f32 s33, s33, s43
	s_fmac_f32 s45, s40, s41
	v_readfirstlane_b32 s43, v1
	v_ldexp_f32 v1, s27, 1
	s_cmp_lg_u32 s26, 0
	s_fmac_f32 s45, s40, s33
	s_sub_co_ci_u32 s26, s43, 0
	s_delay_alu instid0(VALU_DEP_1) | instskip(NEXT) | instid1(SALU_CYCLE_1)
	v_readfirstlane_b32 s27, v1
	s_fmac_f32 s45, s36, s41
	s_wait_alu 0xfffe
	s_cvt_f32_i32 s26, s26
	v_ldexp_f32 v1, s25, 1
	s_add_f32 s33, s42, s45
	s_wait_alu 0xfffe
	s_mul_f32 s25, s26, 0x3f317218
	s_delay_alu instid0(VALU_DEP_1)
	v_readfirstlane_b32 s41, v1
	s_add_f32 s36, s27, s33
	s_sub_f32 s40, s33, s42
	s_wait_alu 0xfffe
	s_xor_b32 s42, s25, 0x80000000
	s_sub_f32 s27, s36, s27
	s_sub_f32 s40, s45, s40
	s_fmamk_f32 s42, s26, 0x3f317218, s42
	s_wait_alu 0xfffe
	s_sub_f32 s27, s33, s27
	s_add_f32 s33, s41, s40
	s_fmamk_f32 s26, s26, 0xb102e308, s42
	s_wait_alu 0xfffe
	s_delay_alu instid0(SALU_CYCLE_1) | instskip(NEXT) | instid1(SALU_CYCLE_1)
	s_add_f32 s27, s33, s27
	s_add_f32 s33, s25, s26
	s_wait_alu 0xfffe
	s_delay_alu instid0(SALU_CYCLE_1) | instskip(NEXT) | instid1(SALU_CYCLE_1)
	s_add_f32 s40, s36, s27
	s_sub_f32 s25, s33, s25
	s_delay_alu instid0(SALU_CYCLE_2)
	s_add_f32 s41, s33, s40
	s_sub_f32 s36, s40, s36
	s_wait_alu 0xfffe
	s_sub_f32 s25, s26, s25
	s_sub_f32 s42, s41, s33
	;; [unrolled: 1-line block ×3, first 2 shown]
	s_delay_alu instid0(SALU_CYCLE_2) | instskip(SKIP_4) | instid1(SALU_CYCLE_3)
	s_sub_f32 s43, s41, s42
	s_sub_f32 s27, s40, s42
	s_wait_alu 0xfffe
	s_add_f32 s36, s25, s26
	s_sub_f32 s33, s33, s43
	s_add_f32 s27, s27, s33
	s_delay_alu instid0(SALU_CYCLE_1) | instskip(SKIP_1) | instid1(SALU_CYCLE_1)
	s_sub_f32 s33, s36, s25
	s_wait_alu 0xfffe
	s_add_f32 s27, s36, s27
	s_delay_alu instid0(SALU_CYCLE_1) | instskip(SKIP_4) | instid1(SALU_CYCLE_2)
	s_sub_f32 s36, s36, s33
	s_sub_f32 s26, s26, s33
	s_wait_alu 0xfffe
	s_add_f32 s40, s41, s27
	s_sub_f32 s25, s25, s36
	s_sub_f32 s33, s40, s41
	s_wait_alu 0xfffe
	s_delay_alu instid0(SALU_CYCLE_1) | instskip(NEXT) | instid1(SALU_CYCLE_1)
	s_add_f32 s25, s26, s25
	s_sub_f32 s26, s27, s33
	s_wait_alu 0xfffe
	s_delay_alu instid0(SALU_CYCLE_2) | instskip(SKIP_1) | instid1(SALU_CYCLE_2)
	s_add_f32 s25, s25, s26
	s_wait_alu 0xfffe
	s_add_f32 s26, s40, s25
	s_wait_alu 0xfffe
	s_delay_alu instid0(SALU_CYCLE_2) | instskip(SKIP_2) | instid1(SALU_CYCLE_1)
	s_mul_f32 s27, s11, s26
	s_sub_f32 s33, s26, s40
	s_wait_alu 0xfffe
	s_xor_b32 s36, s27, 0x80000000
	s_delay_alu instid0(SALU_CYCLE_1) | instskip(SKIP_2) | instid1(SALU_CYCLE_2)
	s_sub_f32 s25, s25, s33
	s_fmac_f32 s36, s11, s26
	s_wait_alu 0xfffe
	s_fmac_f32 s36, s11, s25
	v_cmp_class_f32_e64 s25, s27, 0x204
	s_delay_alu instid0(SALU_CYCLE_2) | instskip(SKIP_2) | instid1(SALU_CYCLE_1)
	s_add_f32 s26, s27, s36
	s_and_b32 s25, s25, exec_lo
	s_wait_alu 0xfffe
	s_sub_f32 s25, s26, s27
	s_cselect_b32 s26, s27, s26
	s_wait_alu 0xfffe
	s_and_b32 s27, s26, 0x7fffffff
	s_sub_f32 s25, s36, s25
	s_wait_alu 0xfffe
	s_cmp_neq_f32 s27, 0x7f800000
	s_delay_alu instid0(SALU_CYCLE_1)
	s_cselect_b32 s25, s25, 0
	s_cmp_eq_f32 s26, 0x42b17218
	s_cselect_b32 s27, 0x37000000, 0
	s_wait_alu 0xfffe
	s_sub_f32 s26, s26, s27
	s_add_f32 s25, s27, s25
	s_wait_alu 0xfffe
	s_delay_alu instid0(SALU_CYCLE_1) | instskip(NEXT) | instid1(SALU_CYCLE_3)
	s_mul_f32 s33, s26, 0x3fb8aa3b
	s_xor_b32 s36, s33, 0x80000000
	s_rndne_f32 s40, s33
	s_fmamk_f32 s36, s26, 0x3fb8aa3b, s36
	s_cmp_nlt_f32 s26, 0xc2ce8ed0
	s_delay_alu instid0(SALU_CYCLE_1) | instskip(NEXT) | instid1(SALU_CYCLE_1)
	s_sub_f32 s33, s33, s40
	s_fmamk_f32 s36, s26, 0x32a5705f, s36
	s_cselect_b32 vcc_lo, -1, 0
	s_cmp_ngt_f32 s26, 0x42b17218
	s_trunc_f32 s26, s11
	s_add_f32 s33, s33, s36
	s_cvt_i32_f32 s36, s40
	s_delay_alu instid0(SALU_CYCLE_2)
	v_s_exp_f32 s33, s33
	s_wait_alu 0xf1ff
	s_delay_alu instid0(TRANS32_DEP_1) | instid1(SALU_CYCLE_1)
	v_ldexp_f32 v1, s33, s36
	s_mul_f32 s33, s11, 0.5
	s_delay_alu instid0(VALU_DEP_1)
	v_cndmask_b32_e32 v1, 0, v1, vcc_lo
	s_cselect_b32 vcc_lo, -1, 0
	s_wait_alu 0xfffe
	s_cmp_eq_f32 s26, s11
	s_trunc_f32 s36, s33
	v_cndmask_b32_e32 v1, 0x7f800000, v1, vcc_lo
	s_cselect_b32 s40, -1, 0
	s_wait_alu 0xfffe
	s_cmp_neq_f32 s36, s33
	s_delay_alu instid0(VALU_DEP_1)
	v_fma_f32 v2, s25, v1, v1
	v_cmp_class_f32_e64 vcc_lo, v1, 0x204
	s_cselect_b32 s27, -1, 0
	s_wait_alu 0xfffe
	s_and_b32 s25, s40, s27
	s_wait_alu 0xfffd
	v_cndmask_b32_e32 v1, v2, v1, vcc_lo
	s_wait_alu 0xfffe
	s_and_b32 s27, s25, exec_lo
	s_cselect_b32 s27, s2, 1.0
	s_cmp_eq_f32 s26, s11
	v_cmp_class_f32_e64 s26, s2, 0x204
	s_wait_alu 0xfffe
	v_bfi_b32 v1, 0x7fffffff, v1, s27
	s_cselect_b32 vcc_lo, -1, 0
	s_cmp_lt_f32 s2, 0
	s_wait_alu 0xfffe
	s_delay_alu instid0(VALU_DEP_1) | instskip(SKIP_3) | instid1(VALU_DEP_1)
	v_cndmask_b32_e32 v2, 0x7fc00000, v1, vcc_lo
	s_cselect_b32 vcc_lo, -1, 0
	s_cmp_eq_f32 s2, 0
	s_wait_alu 0xfffe
	v_cndmask_b32_e32 v1, v1, v2, vcc_lo
	s_cselect_b32 s27, -1, 0
	s_wait_alu 0xfffe
	s_or_b32 vcc_lo, s27, s26
	s_cmp_lt_f32 s11, 0
	s_cselect_b32 s11, -1, 0
	s_delay_alu instid0(SALU_CYCLE_1) | instskip(NEXT) | instid1(SALU_CYCLE_1)
	s_xor_b32 s11, s11, s27
	s_and_b32 s11, s11, exec_lo
	s_cselect_b32 s11, 0, 0x7f800000
	s_and_b32 s25, s25, exec_lo
	s_cselect_b32 s25, s2, 0
	s_cmp_o_f32 s2, s2
	s_wait_alu 0xfffe
	v_mov_b32_e32 v2, s25
	s_delay_alu instid0(VALU_DEP_1) | instskip(NEXT) | instid1(VALU_DEP_1)
	v_bfi_b32 v2, 0x7fffffff, s11, v2
	v_cndmask_b32_e32 v1, v1, v2, vcc_lo
	s_cselect_b32 vcc_lo, -1, 0
	s_wait_alu 0xfffe
	s_delay_alu instid0(VALU_DEP_1)
	v_cndmask_b32_e32 v72, 0x7fc00000, v1, vcc_lo
.LBB59_4:
	s_load_b96 s[40:42], s[0:1], 0x70
	v_and_b32_e32 v59, 0x3ff, v0
	v_bfe_u32 v70, v0, 10, 10
	s_lshl_b32 s33, ttmp9, 4
	s_abs_i32 s36, s28
	s_delay_alu instid0(VALU_DEP_2) | instskip(NEXT) | instid1(VALU_DEP_2)
	v_lshlrev_b32_e32 v1, 4, v59
	v_lshlrev_b32_e32 v61, 1, v70
	;; [unrolled: 1-line block ×3, first 2 shown]
	v_cmp_gt_u32_e64 s2, 24, v59
	s_wait_alu 0xfffe
	s_delay_alu instid0(VALU_DEP_3) | instskip(NEXT) | instid1(VALU_DEP_3)
	v_add_nc_u32_e32 v63, s33, v61
	v_add_nc_u32_e32 v0, 0xe80, v64
	s_wait_kmcnt 0x0
	s_mul_i32 s26, s30, s42
	s_mul_i32 s42, s28, s41
	s_wait_alu 0xfffe
	s_ashr_i32 s27, s26, 31
	s_ashr_i32 s43, s42, 31
	s_wait_alu 0xfffe
	s_add_nc_u64 s[4:5], s[4:5], s[26:27]
	s_ashr_i32 s41, s40, 31
	s_add_nc_u64 s[4:5], s[4:5], s[42:43]
	s_delay_alu instid0(SALU_CYCLE_1)
	v_add_co_u32 v1, s4, s4, v1
	s_wait_alu 0xf1ff
	v_add_co_ci_u32_e64 v2, null, s5, 0, s4
	s_add_co_i32 s4, s29, s10
	s_lshr_b64 s[10:11], s[40:41], 2
	s_and_saveexec_b32 s5, s2
	s_cbranch_execz .LBB59_6
; %bb.5:
	v_mul_hi_u32 v3, v63, s20
	v_mad_u32_u24 v7, 0x180, v70, v0
	s_delay_alu instid0(VALU_DEP_2) | instskip(NEXT) | instid1(VALU_DEP_1)
	v_add_nc_u32_e32 v3, v63, v3
	v_lshrrev_b32_e32 v3, s21, v3
	s_delay_alu instid0(VALU_DEP_1) | instskip(NEXT) | instid1(VALU_DEP_1)
	v_mul_lo_u32 v3, v3, s22
	v_sub_nc_u32_e32 v5, v63, v3
	s_wait_alu 0xfffe
	s_delay_alu instid0(VALU_DEP_1) | instskip(NEXT) | instid1(VALU_DEP_1)
	v_mad_co_u64_u32 v[3:4], null, s10, v5, 0
	v_mad_co_u64_u32 v[4:5], null, s11, v5, v[4:5]
	s_delay_alu instid0(VALU_DEP_1) | instskip(NEXT) | instid1(VALU_DEP_1)
	v_lshlrev_b64_e32 v[3:4], 2, v[3:4]
	v_add_co_u32 v3, vcc_lo, v1, v3
	s_wait_alu 0xfffd
	s_delay_alu instid0(VALU_DEP_2)
	v_add_co_ci_u32_e64 v4, null, v2, v4, vcc_lo
	global_load_b128 v[3:6], v[3:4], off
	s_wait_loadcnt 0x0
	v_fma_mixlo_f16 v4, s24, v4, 0
	v_fma_mixlo_f16 v3, s24, v3, 0
	;; [unrolled: 1-line block ×4, first 2 shown]
	s_delay_alu instid0(VALU_DEP_4) | instskip(NEXT) | instid1(VALU_DEP_4)
	v_lshlrev_b32_e32 v4, 16, v4
	v_and_b32_e32 v3, 0xffff, v3
	s_delay_alu instid0(VALU_DEP_4) | instskip(NEXT) | instid1(VALU_DEP_4)
	v_and_b32_e32 v5, 0xffff, v5
	v_lshlrev_b32_e32 v6, 16, v6
	s_delay_alu instid0(VALU_DEP_3) | instskip(NEXT) | instid1(VALU_DEP_2)
	v_or_b32_e32 v3, v4, v3
	v_or3_b32 v4, v6, v5, 0
	s_delay_alu instid0(VALU_DEP_2)
	v_or3_b32 v3, 0, 0, v3
	ds_store_b64 v7, v[3:4]
.LBB59_6:
	s_wait_alu 0xfffe
	s_or_b32 exec_lo, exec_lo, s5
	v_or_b32_e32 v60, 1, v61
	s_mov_b32 s5, s37
	s_delay_alu instid0(VALU_DEP_1)
	v_add_nc_u32_e32 v62, s33, v60
	s_and_saveexec_b32 s25, s2
	s_cbranch_execz .LBB59_8
; %bb.7:
	s_delay_alu instid0(VALU_DEP_1) | instskip(NEXT) | instid1(VALU_DEP_1)
	v_mul_hi_u32 v3, v62, s20
	v_add_nc_u32_e32 v3, v62, v3
	s_delay_alu instid0(VALU_DEP_1) | instskip(NEXT) | instid1(VALU_DEP_1)
	v_lshrrev_b32_e32 v3, s21, v3
	v_mul_lo_u32 v3, v3, s22
	s_delay_alu instid0(VALU_DEP_1) | instskip(NEXT) | instid1(VALU_DEP_1)
	v_sub_nc_u32_e32 v5, v62, v3
	v_mad_co_u64_u32 v[3:4], null, s10, v5, 0
	s_delay_alu instid0(VALU_DEP_1) | instskip(SKIP_1) | instid1(VALU_DEP_2)
	v_mad_co_u64_u32 v[4:5], null, s11, v5, v[4:5]
	v_mad_u32_u24 v5, 0xc0, v60, v0
	v_lshlrev_b64_e32 v[3:4], 2, v[3:4]
	s_delay_alu instid0(VALU_DEP_1) | instskip(SKIP_1) | instid1(VALU_DEP_2)
	v_add_co_u32 v1, vcc_lo, v1, v3
	s_wait_alu 0xfffd
	v_add_co_ci_u32_e64 v2, null, v2, v4, vcc_lo
	global_load_b128 v[1:4], v[1:2], off
	s_wait_loadcnt 0x0
	v_fma_mixlo_f16 v2, s24, v2, 0
	v_fma_mixlo_f16 v1, s24, v1, 0
	;; [unrolled: 1-line block ×4, first 2 shown]
	s_delay_alu instid0(VALU_DEP_4) | instskip(NEXT) | instid1(VALU_DEP_4)
	v_lshlrev_b32_e32 v2, 16, v2
	v_and_b32_e32 v1, 0xffff, v1
	s_delay_alu instid0(VALU_DEP_4) | instskip(NEXT) | instid1(VALU_DEP_4)
	v_and_b32_e32 v3, 0xffff, v3
	v_lshlrev_b32_e32 v4, 16, v4
	s_delay_alu instid0(VALU_DEP_3) | instskip(NEXT) | instid1(VALU_DEP_2)
	v_or_b32_e32 v2, v2, v1
	v_or3_b32 v1, v4, v3, 0
	s_delay_alu instid0(VALU_DEP_2)
	v_or3_b32 v0, 0, 0, v2
	ds_store_b64 v5, v[0:1]
.LBB59_8:
	s_wait_alu 0xfffe
	s_or_b32 exec_lo, exec_lo, s25
	s_ashr_i32 s29, s28, 31
	s_ashr_i32 s10, s31, 31
	s_mul_u64 s[4:5], s[36:37], s[4:5]
	s_cmp_eq_u64 s[14:15], 0
	s_wait_dscnt 0x0
	s_barrier_signal -1
	s_barrier_wait -1
	global_inv scope:SCOPE_SE
	s_cbranch_scc1 .LBB59_10
; %bb.9:
	s_load_b32 s4, s[0:1], 0xd0
	s_mov_b32 s25, 0
	s_wait_kmcnt 0x0
	s_mul_i32 s4, s4, s30
	s_wait_alu 0xfffe
	s_add_co_i32 s24, s4, ttmp9
	s_wait_alu 0xfffe
	s_lshl_b64 s[24:25], s[24:25], 2
	s_wait_alu 0xfffe
	s_add_nc_u64 s[14:15], s[14:15], s[24:25]
	s_load_b32 s38, s[14:15], 0x0
.LBB59_10:
	s_clause 0x2
	s_load_b64 s[40:41], s[0:1], 0x8c
	s_load_b128 s[24:27], s[0:1], 0x98
	s_load_b64 s[42:43], s[0:1], 0xa8
	s_mul_i32 s4, s5, s39
	s_ashr_i32 s15, s3, 1
	s_wait_alu 0xfffe
	s_sub_co_i32 s4, s36, s4
	s_xor_b32 s3, s29, s10
	s_add_co_i32 s14, s5, 1
	s_wait_alu 0xfffe
	s_sub_co_i32 s36, s4, s39
	s_mov_b32 s31, 0
	v_lshlrev_b32_e32 v48, 2, v59
	v_lshrrev_b32_e32 v81, 1, v59
	v_lshrrev_b32_e32 v79, 2, v59
	v_mul_u32_u24_e32 v78, 0x70, v59
	v_lshl_add_u32 v66, v70, 7, 0x1a80
	v_lshrrev_b32_e32 v73, 3, v59
	v_and_b32_e32 v80, 4, v48
	v_and_b32_e32 v75, 12, v48
	;; [unrolled: 1-line block ×3, first 2 shown]
	v_mbcnt_lo_u32_b32 v65, -1, 0
	s_wait_kmcnt 0x0
	s_ashr_i32 s40, s40, 2
	s_ashr_i32 s26, s26, 2
	s_cmp_ge_u32 s4, s39
	s_mul_u64 s[10:11], s[24:25], s[30:31]
	s_cselect_b32 s14, s14, s5
	s_wait_alu 0xfffe
	s_cselect_b32 s4, s36, s4
	s_mul_u64 s[24:25], s[42:43], s[30:31]
	s_add_co_i32 s31, s14, 1
	s_wait_alu 0xfffe
	s_cmp_ge_u32 s4, s39
	s_add_nc_u64 s[4:5], s[6:7], s[10:11]
	s_cselect_b32 s10, s31, s14
	s_add_nc_u64 s[6:7], s[8:9], s[24:25]
	s_wait_alu 0xfffe
	s_xor_b32 s8, s10, s3
	s_and_b32 s14, ttmp7, 0xffff
	s_sub_co_i32 s3, s8, s3
	s_sub_co_i32 s11, s38, 32
	s_wait_alu 0xfffe
	s_mul_i32 s8, s3, s41
	s_mul_i32 s24, s3, s27
	s_lshl_b32 s36, s14, 5
	s_ashr_i32 s9, s8, 31
	s_wait_alu 0xfffe
	s_ashr_i32 s25, s24, 31
	s_add_nc_u64 s[42:43], s[4:5], s[8:9]
	s_cmp_ge_i32 s36, s11
	s_wait_alu 0xfffe
	s_add_nc_u64 s[24:25], s[6:7], s[24:25]
	s_cbranch_scc1 .LBB59_34
; %bb.11:
	v_or_b32_e32 v0, 1, v63
	v_mul_hi_u32 v2, s20, v63
	v_lshl_add_u32 v6, v70, 3, v79
	v_lshl_add_u32 v1, v70, 4, v81
	;; [unrolled: 1-line block ×3, first 2 shown]
	v_mul_hi_u32 v3, s20, v0
	v_mov_b32_e32 v68, 0
	v_dual_mov_b32 v71, 0 :: v_dual_lshlrev_b32 v8, 2, v75
	v_add_nc_u32_e32 v2, v63, v2
	s_movk_i32 s3, 0x180
	v_mul_u32_u24_e32 v13, 0xc0, v6
	s_wait_alu 0xfffe
	v_mad_u32_u24 v82, v70, s3, 0xe80
	v_add_nc_u32_e32 v3, v0, v3
	v_lshrrev_b32_e32 v2, s21, v2
	v_cmp_gt_u32_e64 s3, 32, v1
	v_mul_u32_u24_e32 v11, 0x70, v1
	v_mul_lo_u32 v1, s40, v1
	v_lshrrev_b32_e32 v3, s21, v3
	v_mul_lo_u32 v2, v2, s22
	v_mul_lo_u32 v5, s26, v6
	;; [unrolled: 1-line block ×3, first 2 shown]
	v_dual_mov_b32 v67, 0 :: v_dual_lshlrev_b32 v4, 2, v80
	v_mul_lo_u32 v12, v3, s22
	v_mul_lo_u32 v3, s40, v6
	v_mad_u32_u24 v83, 0x70, v6, v8
	v_or_b32_e32 v8, v13, v8
	v_add3_u32 v84, v11, v4, 64
	v_sub_nc_u32_e32 v11, v63, v2
	v_cmp_gt_u32_e64 s4, 32, v6
	v_ashrrev_i32_e32 v2, 31, v1
	v_sub_nc_u32_e32 v0, v0, v12
	v_ashrrev_i32_e32 v4, 31, v3
	v_cmp_gt_u32_e64 s5, 16, v6
	v_dual_mov_b32 v92, 0 :: v_dual_add_nc_u32 v87, 0x80, v8
	v_ashrrev_i32_e32 v6, 31, v5
	v_ashrrev_i32_e32 v8, 31, v7
	v_dual_mov_b32 v69, 0 :: v_dual_lshlrev_b32 v10, 2, v74
	v_mul_lo_u32 v85, v11, s15
	v_mul_lo_u32 v86, v0, s15
	v_lshlrev_b64_e32 v[51:52], 2, v[1:2]
	v_lshlrev_b64_e32 v[53:54], 2, v[3:4]
	;; [unrolled: 1-line block ×4, first 2 shown]
	s_ashr_i32 s41, s40, 31
	v_cmp_gt_u32_e64 s6, 16, v9
	v_mad_u32_u24 v88, 0xc0, v9, v10
	v_dual_mov_b32 v0, 0xfeffffff :: v_dual_lshlrev_b32 v89, 2, v80
	v_dual_mov_b32 v93, 0 :: v_dual_lshlrev_b32 v90, 2, v75
	v_mbcnt_lo_u32_b32 v91, -1, 0
	v_mov_b32_e32 v1, 0xfeffffff
	s_cmp_lg_u64 s[34:35], 0
	s_add_nc_u64 s[44:45], s[0:1], 0xd0
	s_cselect_b32 s31, -1, 0
	s_ashr_i32 s27, s26, 31
.LBB59_12:                              ; =>This Inner Loop Header: Depth=1
	s_ashr_i32 s37, s36, 31
	s_wait_alu 0xfffe
	s_mul_u64 s[8:9], s[36:37], s[40:41]
	s_wait_alu 0xfffe
	s_lshl_b64 s[8:9], s[8:9], 2
	s_wait_alu 0xfffe
	s_add_nc_u64 s[8:9], s[42:43], s[8:9]
	s_and_saveexec_b32 s7, s3
	s_cbranch_execz .LBB59_14
; %bb.13:                               ;   in Loop: Header=BB59_12 Depth=1
	s_wait_alu 0xfffe
	v_add_co_u32 v2, vcc_lo, s8, v51
	s_wait_alu 0xfffd
	v_add_co_ci_u32_e64 v3, null, s9, v52, vcc_lo
	s_delay_alu instid0(VALU_DEP_2) | instskip(SKIP_1) | instid1(VALU_DEP_2)
	v_add_co_u32 v2, vcc_lo, v2, v89
	s_wait_alu 0xfffd
	v_add_co_ci_u32_e64 v3, null, 0, v3, vcc_lo
	global_load_b128 v[2:5], v[2:3], off offset:64
	s_wait_loadcnt 0x0
	ds_store_b128 v84, v[2:5]
.LBB59_14:                              ;   in Loop: Header=BB59_12 Depth=1
	s_wait_alu 0xfffe
	s_or_b32 exec_lo, exec_lo, s7
	s_and_saveexec_b32 s7, s4
	s_cbranch_execz .LBB59_16
; %bb.15:                               ;   in Loop: Header=BB59_12 Depth=1
	v_add_co_u32 v2, vcc_lo, s8, v53
	s_wait_alu 0xfffd
	v_add_co_ci_u32_e64 v3, null, s9, v54, vcc_lo
	s_delay_alu instid0(VALU_DEP_2) | instskip(SKIP_1) | instid1(VALU_DEP_2)
	v_add_co_u32 v2, vcc_lo, v2, v90
	s_wait_alu 0xfffd
	v_add_co_ci_u32_e64 v3, null, 0, v3, vcc_lo
	global_load_b128 v[2:5], v[2:3], off
	s_wait_loadcnt 0x0
	ds_store_b128 v83, v[2:5]
.LBB59_16:                              ;   in Loop: Header=BB59_12 Depth=1
	s_wait_alu 0xfffe
	s_or_b32 exec_lo, exec_lo, s7
	s_wait_loadcnt_dscnt 0x0
	s_barrier_signal -1
	s_barrier_wait -1
	global_inv scope:SCOPE_SE
	ds_load_b128 v[4:7], v78
	ds_load_b128 v[8:11], v82
	ds_load_b128 v[12:15], v82 offset:192
	v_dual_mov_b32 v3, 0 :: v_dual_mov_b32 v2, 0
	s_wait_dscnt 0x1
	;;#ASMSTART
	v_dot2_f32_f16 v3, v4, v8, v3
	;;#ASMEND
	;;#ASMSTART
	v_dot2_f32_f16 v3, v5, v9, v3
	;;#ASMEND
	;;#ASMSTART
	v_dot2_f32_f16 v3, v6, v10, v3
	;;#ASMEND
	;;#ASMSTART
	v_dot2_f32_f16 v3, v7, v11, v3
	;;#ASMEND
	s_wait_dscnt 0x0
	;;#ASMSTART
	v_dot2_f32_f16 v2, v4, v12, v2
	;;#ASMEND
	;;#ASMSTART
	v_dot2_f32_f16 v2, v5, v13, v2
	;;#ASMEND
	;;#ASMSTART
	v_dot2_f32_f16 v2, v6, v14, v2
	;;#ASMEND
	;;#ASMSTART
	v_dot2_f32_f16 v2, v7, v15, v2
	;;#ASMEND
	ds_load_b128 v[4:7], v78 offset:16
	ds_load_b128 v[8:11], v82 offset:16
	ds_load_b128 v[12:15], v82 offset:208
	s_wait_dscnt 0x1
	;;#ASMSTART
	v_dot2_f32_f16 v3, v4, v8, v3
	;;#ASMEND
	;;#ASMSTART
	v_dot2_f32_f16 v3, v5, v9, v3
	;;#ASMEND
	;;#ASMSTART
	v_dot2_f32_f16 v3, v6, v10, v3
	;;#ASMEND
	;;#ASMSTART
	v_dot2_f32_f16 v3, v7, v11, v3
	;;#ASMEND
	s_wait_dscnt 0x0
	;;#ASMSTART
	v_dot2_f32_f16 v2, v4, v12, v2
	;;#ASMEND
	;;#ASMSTART
	v_dot2_f32_f16 v2, v5, v13, v2
	;;#ASMEND
	;;#ASMSTART
	v_dot2_f32_f16 v2, v6, v14, v2
	;;#ASMEND
	;;#ASMSTART
	v_dot2_f32_f16 v2, v7, v15, v2
	;;#ASMEND
	ds_load_b128 v[4:7], v78 offset:32
	ds_load_b128 v[8:11], v82 offset:32
	ds_load_b128 v[12:15], v82 offset:224
	;; [unrolled: 29-line block ×5, first 2 shown]
	s_wait_dscnt 0x1
	;;#ASMSTART
	v_dot2_f32_f16 v3, v4, v8, v3
	;;#ASMEND
	;;#ASMSTART
	v_dot2_f32_f16 v3, v5, v9, v3
	;;#ASMEND
	;; [unrolled: 3-line block ×4, first 2 shown]
	s_wait_dscnt 0x0
	;;#ASMSTART
	v_dot2_f32_f16 v2, v4, v12, v2
	;;#ASMEND
	;;#ASMSTART
	v_dot2_f32_f16 v2, v5, v13, v2
	;;#ASMEND
	;; [unrolled: 3-line block ×4, first 2 shown]
	s_wait_loadcnt 0x0
	s_barrier_signal -1
	s_barrier_wait -1
	global_inv scope:SCOPE_SE
	s_and_saveexec_b32 s7, s3
	s_cbranch_execz .LBB59_18
; %bb.17:                               ;   in Loop: Header=BB59_12 Depth=1
	v_add_co_u32 v4, vcc_lo, s8, v51
	s_wait_alu 0xfffd
	v_add_co_ci_u32_e64 v5, null, s9, v52, vcc_lo
	s_delay_alu instid0(VALU_DEP_2) | instskip(SKIP_1) | instid1(VALU_DEP_2)
	v_add_co_u32 v4, vcc_lo, v4, v89
	s_wait_alu 0xfffd
	v_add_co_ci_u32_e64 v5, null, 0, v5, vcc_lo
	global_load_b128 v[4:7], v[4:5], off offset:160
	s_wait_loadcnt 0x0
	ds_store_b128 v84, v[4:7]
.LBB59_18:                              ;   in Loop: Header=BB59_12 Depth=1
	s_wait_alu 0xfffe
	s_or_b32 exec_lo, exec_lo, s7
	s_and_saveexec_b32 s7, s4
	s_cbranch_execz .LBB59_20
; %bb.19:                               ;   in Loop: Header=BB59_12 Depth=1
	v_add_co_u32 v4, vcc_lo, s8, v53
	s_wait_alu 0xfffd
	v_add_co_ci_u32_e64 v5, null, s9, v54, vcc_lo
	s_delay_alu instid0(VALU_DEP_2) | instskip(SKIP_1) | instid1(VALU_DEP_2)
	v_add_co_u32 v4, vcc_lo, v4, v90
	s_wait_alu 0xfffd
	v_add_co_ci_u32_e64 v5, null, 0, v5, vcc_lo
	global_load_b128 v[4:7], v[4:5], off offset:96
	s_wait_loadcnt 0x0
	ds_store_b128 v83, v[4:7]
.LBB59_20:                              ;   in Loop: Header=BB59_12 Depth=1
	s_wait_alu 0xfffe
	s_or_b32 exec_lo, exec_lo, s7
	s_wait_loadcnt_dscnt 0x0
	s_barrier_signal -1
	s_barrier_wait -1
	global_inv scope:SCOPE_SE
	ds_load_b128 v[4:7], v78
	ds_load_b128 v[8:11], v82 offset:96
	ds_load_b128 v[12:15], v82 offset:288
	s_and_not1_b32 vcc_lo, exec_lo, s31
	s_wait_dscnt 0x1
	;;#ASMSTART
	v_dot2_f32_f16 v3, v4, v8, v3
	;;#ASMEND
	;;#ASMSTART
	v_dot2_f32_f16 v3, v5, v9, v3
	;;#ASMEND
	;;#ASMSTART
	v_dot2_f32_f16 v3, v6, v10, v3
	;;#ASMEND
	;;#ASMSTART
	v_dot2_f32_f16 v3, v7, v11, v3
	;;#ASMEND
	s_wait_dscnt 0x0
	;;#ASMSTART
	v_dot2_f32_f16 v2, v4, v12, v2
	;;#ASMEND
	;;#ASMSTART
	v_dot2_f32_f16 v2, v5, v13, v2
	;;#ASMEND
	;;#ASMSTART
	v_dot2_f32_f16 v2, v6, v14, v2
	;;#ASMEND
	;;#ASMSTART
	v_dot2_f32_f16 v2, v7, v15, v2
	;;#ASMEND
	ds_load_b128 v[4:7], v78 offset:16
	ds_load_b128 v[8:11], v82 offset:112
	ds_load_b128 v[12:15], v82 offset:304
	s_wait_dscnt 0x1
	;;#ASMSTART
	v_dot2_f32_f16 v3, v4, v8, v3
	;;#ASMEND
	;;#ASMSTART
	v_dot2_f32_f16 v3, v5, v9, v3
	;;#ASMEND
	;;#ASMSTART
	v_dot2_f32_f16 v3, v6, v10, v3
	;;#ASMEND
	;;#ASMSTART
	v_dot2_f32_f16 v3, v7, v11, v3
	;;#ASMEND
	s_wait_dscnt 0x0
	;;#ASMSTART
	v_dot2_f32_f16 v2, v4, v12, v2
	;;#ASMEND
	;;#ASMSTART
	v_dot2_f32_f16 v2, v5, v13, v2
	;;#ASMEND
	;;#ASMSTART
	v_dot2_f32_f16 v2, v6, v14, v2
	;;#ASMEND
	;;#ASMSTART
	v_dot2_f32_f16 v2, v7, v15, v2
	;;#ASMEND
	ds_load_b128 v[4:7], v78 offset:32
	ds_load_b128 v[8:11], v82 offset:128
	ds_load_b128 v[12:15], v82 offset:320
	;; [unrolled: 29-line block ×5, first 2 shown]
	v_dual_mov_b32 v4, 0 :: v_dual_add_nc_u32 v5, s36, v59
	v_mov_b32_e32 v6, 0
	s_wait_dscnt 0x1
	;;#ASMSTART
	v_dot2_f32_f16 v3, v7, v11, v3
	;;#ASMEND
	;;#ASMSTART
	v_dot2_f32_f16 v3, v8, v12, v3
	;;#ASMEND
	;;#ASMSTART
	v_dot2_f32_f16 v3, v9, v13, v3
	;;#ASMEND
	;;#ASMSTART
	v_dot2_f32_f16 v3, v10, v14, v3
	;;#ASMEND
	s_wait_dscnt 0x0
	;;#ASMSTART
	v_dot2_f32_f16 v2, v7, v15, v2
	;;#ASMEND
	;;#ASMSTART
	v_dot2_f32_f16 v2, v8, v16, v2
	;;#ASMEND
	;; [unrolled: 3-line block ×4, first 2 shown]
	s_wait_alu 0xfffe
	s_cbranch_vccnz .LBB59_22
; %bb.21:                               ;   in Loop: Header=BB59_12 Depth=1
	v_add_nc_u32_e32 v6, v5, v85
	s_delay_alu instid0(VALU_DEP_1) | instskip(NEXT) | instid1(VALU_DEP_1)
	v_ashrrev_i32_e32 v7, 31, v6
	v_lshlrev_b64_e32 v[6:7], 1, v[6:7]
	s_delay_alu instid0(VALU_DEP_1) | instskip(SKIP_1) | instid1(VALU_DEP_2)
	v_add_co_u32 v6, vcc_lo, s34, v6
	s_wait_alu 0xfffd
	v_add_co_ci_u32_e64 v7, null, s35, v7, vcc_lo
	global_load_u16 v6, v[6:7], off
	s_wait_loadcnt 0x0
	v_cvt_f32_f16_e32 v6, v6
	s_delay_alu instid0(VALU_DEP_1)
	v_mul_f32_e32 v6, v72, v6
.LBB59_22:                              ;   in Loop: Header=BB59_12 Depth=1
	v_xor_b32_e32 v7, 16, v91
	s_delay_alu instid0(VALU_DEP_2) | instskip(SKIP_1) | instid1(VALU_DEP_3)
	v_dual_add_f32 v3, v3, v6 :: v_dual_max_num_f32 v8, v0, v0
	v_xor_b32_e32 v9, 8, v91
	v_cmp_gt_i32_e32 vcc_lo, 32, v7
	s_wait_alu 0xfffd
	v_cndmask_b32_e32 v6, v91, v7, vcc_lo
	v_add_f32_e32 v7, 0x40051340, v3
	v_cmp_gt_i32_e32 vcc_lo, 32, v9
	s_delay_alu instid0(VALU_DEP_3) | instskip(SKIP_1) | instid1(VALU_DEP_3)
	v_lshlrev_b32_e32 v6, 2, v6
	s_wait_alu 0xfffd
	v_dual_max_num_f32 v8, v8, v7 :: v_dual_cndmask_b32 v9, v91, v9
	ds_bpermute_b32 v7, v6, v8
	s_wait_dscnt 0x0
	v_dual_max_num_f32 v10, v7, v7 :: v_dual_lshlrev_b32 v7, 2, v9
	s_delay_alu instid0(VALU_DEP_1)
	v_max_num_f32_e32 v9, v8, v10
	v_xor_b32_e32 v10, 4, v91
	ds_bpermute_b32 v8, v7, v9
	v_cmp_gt_i32_e32 vcc_lo, 32, v10
	s_wait_dscnt 0x0
	s_wait_alu 0xfffd
	v_dual_cndmask_b32 v10, v91, v10 :: v_dual_max_num_f32 v11, v8, v8
	s_delay_alu instid0(VALU_DEP_1) | instskip(NEXT) | instid1(VALU_DEP_2)
	v_lshlrev_b32_e32 v8, 2, v10
	v_max_num_f32_e32 v10, v9, v11
	v_xor_b32_e32 v11, 2, v91
	s_delay_alu instid0(VALU_DEP_1)
	v_cmp_gt_i32_e32 vcc_lo, 32, v11
	s_wait_alu 0xfffd
	v_cndmask_b32_e32 v11, v91, v11, vcc_lo
	ds_bpermute_b32 v9, v8, v10
	s_wait_dscnt 0x0
	v_dual_max_num_f32 v12, v9, v9 :: v_dual_lshlrev_b32 v9, 2, v11
	s_delay_alu instid0(VALU_DEP_1)
	v_max_num_f32_e32 v10, v10, v12
	v_xor_b32_e32 v12, 1, v91
	ds_bpermute_b32 v11, v9, v10
	v_cmp_gt_i32_e32 vcc_lo, 32, v12
	s_wait_alu 0xfffd
	v_cndmask_b32_e32 v12, v91, v12, vcc_lo
	s_and_not1_b32 vcc_lo, exec_lo, s31
	s_wait_dscnt 0x0
	v_max_num_f32_e32 v13, v11, v11
	s_delay_alu instid0(VALU_DEP_1)
	v_dual_max_num_f32 v10, v10, v13 :: v_dual_lshlrev_b32 v11, 2, v12
	ds_bpermute_b32 v12, v11, v10
	s_wait_alu 0xfffe
	s_cbranch_vccnz .LBB59_24
; %bb.23:                               ;   in Loop: Header=BB59_12 Depth=1
	v_add_nc_u32_e32 v4, v5, v86
	s_delay_alu instid0(VALU_DEP_1) | instskip(NEXT) | instid1(VALU_DEP_1)
	v_ashrrev_i32_e32 v5, 31, v4
	v_lshlrev_b64_e32 v[4:5], 1, v[4:5]
	s_delay_alu instid0(VALU_DEP_1) | instskip(SKIP_1) | instid1(VALU_DEP_2)
	v_add_co_u32 v4, vcc_lo, s34, v4
	s_wait_alu 0xfffd
	v_add_co_ci_u32_e64 v5, null, s35, v5, vcc_lo
	global_load_u16 v4, v[4:5], off
	s_wait_loadcnt 0x0
	v_cvt_f32_f16_e32 v4, v4
	s_delay_alu instid0(VALU_DEP_1)
	v_mul_f32_e32 v4, v72, v4
.LBB59_24:                              ;   in Loop: Header=BB59_12 Depth=1
	s_delay_alu instid0(VALU_DEP_1)
	v_add_f32_e32 v2, v2, v4
	v_max_num_f32_e32 v4, v1, v1
	s_mul_u64 s[46:47], s[36:37], s[26:27]
	s_wait_loadcnt_dscnt 0x0
	s_wait_alu 0xfffe
	s_lshl_b64 s[46:47], s[46:47], 2
	v_add_f32_e32 v5, 0x40051340, v2
	s_wait_alu 0xfffe
	s_add_nc_u64 s[46:47], s[24:25], s[46:47]
	s_barrier_signal -1
	s_barrier_wait -1
	global_inv scope:SCOPE_SE
	v_max_num_f32_e32 v4, v4, v5
	ds_bpermute_b32 v5, v6, v4
	s_wait_dscnt 0x0
	v_dual_max_num_f32 v6, v12, v12 :: v_dual_max_num_f32 v5, v5, v5
	s_delay_alu instid0(VALU_DEP_1) | instskip(SKIP_2) | instid1(VALU_DEP_1)
	v_max_num_f32_e32 v4, v4, v5
	ds_bpermute_b32 v5, v7, v4
	v_max_num_f32_e32 v7, v10, v10
	v_max_num_f32_e32 v49, v7, v6
	s_delay_alu instid0(VALU_DEP_1) | instskip(SKIP_1) | instid1(VALU_DEP_1)
	v_sub_f32_e32 v3, v3, v49
	v_sub_f32_e32 v96, v0, v49
	v_cmp_ngt_f32_e64 s7, 0xc2ce8ed0, v96
	s_wait_dscnt 0x0
	v_max_num_f32_e32 v5, v5, v5
	s_delay_alu instid0(VALU_DEP_1) | instskip(SKIP_3) | instid1(VALU_DEP_1)
	v_max_num_f32_e32 v4, v4, v5
	ds_bpermute_b32 v5, v8, v4
	s_wait_dscnt 0x0
	v_max_num_f32_e32 v5, v5, v5
	v_max_num_f32_e32 v4, v4, v5
	ds_bpermute_b32 v5, v9, v4
	s_wait_dscnt 0x0
	v_max_num_f32_e32 v5, v5, v5
	s_delay_alu instid0(VALU_DEP_1) | instskip(SKIP_3) | instid1(VALU_DEP_1)
	v_max_num_f32_e32 v4, v4, v5
	ds_bpermute_b32 v5, v11, v4
	s_wait_dscnt 0x0
	v_max_num_f32_e32 v5, v5, v5
	v_max_num_f32_e32 v50, v4, v5
	v_mul_f32_e32 v4, 0x3fb8aa3b, v3
	s_delay_alu instid0(VALU_DEP_2) | instskip(NEXT) | instid1(VALU_DEP_2)
	v_sub_f32_e32 v2, v2, v50
	v_fma_f32 v6, 0x3fb8aa3b, v3, -v4
	v_rndne_f32_e32 v7, v4
	s_delay_alu instid0(VALU_DEP_1) | instskip(NEXT) | instid1(VALU_DEP_3)
	v_dual_mul_f32 v5, 0x3fb8aa3b, v2 :: v_dual_sub_f32 v4, v4, v7
	v_fmac_f32_e32 v6, 0x32a5705f, v3
	v_cmp_ngt_f32_e32 vcc_lo, 0xc2ce8ed0, v3
	s_delay_alu instid0(VALU_DEP_3) | instskip(SKIP_1) | instid1(VALU_DEP_4)
	v_fma_f32 v8, 0x3fb8aa3b, v2, -v5
	v_rndne_f32_e32 v9, v5
	v_add_f32_e32 v4, v4, v6
	v_cvt_i32_f32_e32 v6, v7
	s_delay_alu instid0(VALU_DEP_3) | instskip(SKIP_1) | instid1(VALU_DEP_4)
	v_dual_fmac_f32 v8, 0x32a5705f, v2 :: v_dual_sub_f32 v5, v5, v9
	v_cvt_i32_f32_e32 v7, v9
	v_exp_f32_e32 v4, v4
	s_delay_alu instid0(VALU_DEP_2) | instskip(NEXT) | instid1(VALU_DEP_1)
	v_add_f32_e32 v5, v5, v8
	v_exp_f32_e32 v5, v5
	s_delay_alu instid0(TRANS32_DEP_2) | instskip(SKIP_1) | instid1(VALU_DEP_1)
	v_ldexp_f32 v4, v4, v6
	s_wait_alu 0xfffd
	v_cndmask_b32_e32 v4, 0, v4, vcc_lo
	v_cmp_ngt_f32_e32 vcc_lo, 0xc2ce8ed0, v2
	s_delay_alu instid0(TRANS32_DEP_1) | instskip(SKIP_1) | instid1(VALU_DEP_1)
	v_ldexp_f32 v5, v5, v7
	s_wait_alu 0xfffd
	v_cndmask_b32_e32 v5, 0, v5, vcc_lo
	v_cmp_nlt_f32_e32 vcc_lo, 0x42b17218, v3
	s_wait_alu 0xfffd
	v_cndmask_b32_e32 v77, 0x7f800000, v4, vcc_lo
	v_cmp_nlt_f32_e32 vcc_lo, 0x42b17218, v2
	v_dual_sub_f32 v97, v1, v50 :: v_dual_add_nc_u32 v2, v66, v48
	s_delay_alu instid0(VALU_DEP_3) | instskip(SKIP_2) | instid1(VALU_DEP_3)
	v_cvt_f16_f32_e32 v0, v77
	s_wait_alu 0xfffd
	v_cndmask_b32_e32 v76, 0x7f800000, v5, vcc_lo
	v_cmp_ngt_f32_e64 s9, 0xc2ce8ed0, v97
	v_cmp_nlt_f32_e64 s8, 0x42b17218, v97
	v_cmp_nlt_f32_e32 vcc_lo, 0x42b17218, v96
	s_delay_alu instid0(VALU_DEP_4) | instskip(NEXT) | instid1(VALU_DEP_1)
	v_cvt_f16_f32_e32 v1, v76
	v_pack_b32_f16 v0, v0, v1
	ds_store_b32 v2, v0
	s_and_saveexec_b32 s37, s5
	s_cbranch_execz .LBB59_26
; %bb.25:                               ;   in Loop: Header=BB59_12 Depth=1
	s_wait_alu 0xfffe
	v_add_co_u32 v0, s10, s46, v55
	s_wait_alu 0xf1ff
	v_add_co_ci_u32_e64 v1, null, s47, v56, s10
	s_delay_alu instid0(VALU_DEP_2) | instskip(SKIP_1) | instid1(VALU_DEP_2)
	v_add_co_u32 v0, s10, v0, v90
	s_wait_alu 0xf1ff
	v_add_co_ci_u32_e64 v1, null, 0, v1, s10
	global_load_b128 v[0:3], v[0:1], off offset:128
	s_wait_loadcnt 0x0
	ds_store_b128 v87, v[0:3]
.LBB59_26:                              ;   in Loop: Header=BB59_12 Depth=1
	s_wait_alu 0xfffe
	s_or_b32 exec_lo, exec_lo, s37
	v_lshlrev_b32_e32 v98, 2, v74
	s_and_saveexec_b32 s37, s6
	s_cbranch_execz .LBB59_28
; %bb.27:                               ;   in Loop: Header=BB59_12 Depth=1
	v_add_co_u32 v0, s10, s46, v57
	s_wait_alu 0xf1ff
	v_add_co_ci_u32_e64 v1, null, s47, v58, s10
	s_delay_alu instid0(VALU_DEP_2) | instskip(SKIP_1) | instid1(VALU_DEP_2)
	v_add_co_u32 v0, s10, v0, v98
	s_wait_alu 0xf1ff
	v_add_co_ci_u32_e64 v1, null, 0, v1, s10
	global_load_b128 v[0:3], v[0:1], off
	s_wait_loadcnt 0x0
	ds_store_b128 v88, v[0:3]
.LBB59_28:                              ;   in Loop: Header=BB59_12 Depth=1
	s_wait_alu 0xfffe
	s_or_b32 exec_lo, exec_lo, s37
	v_add_nc_u32_e32 v95, 0x400, v64
	v_add_nc_u32_e32 v94, 0x800, v64
	s_wait_loadcnt_dscnt 0x0
	s_barrier_signal -1
	s_barrier_wait -1
	global_inv scope:SCOPE_SE
	ds_load_2addr_b64 v[28:31], v64 offset1:24
	ds_load_b128 v[44:47], v66
	ds_load_b128 v[40:43], v66 offset:16
	ds_load_b128 v[36:39], v66 offset:32
	;; [unrolled: 1-line block ×3, first 2 shown]
	ds_load_2addr_b64 v[24:27], v64 offset0:48 offset1:72
	ds_load_2addr_b64 v[32:35], v64 offset0:96 offset1:120
	ds_load_2addr_b64 v[20:23], v64 offset0:144 offset1:168
	ds_load_2addr_b64 v[16:19], v64 offset0:192 offset1:216
	ds_load_2addr_b64 v[12:15], v95 offset0:112 offset1:136
	ds_load_2addr_b64 v[8:11], v94 offset0:32 offset1:56
	ds_load_2addr_b64 v[4:7], v94 offset0:80 offset1:104
	s_or_b32 s46, s36, 16
	s_wait_loadcnt_dscnt 0x0
	s_wait_alu 0xfffe
	s_ashr_i32 s47, s46, 31
	s_barrier_signal -1
	s_wait_alu 0xfffe
	s_mul_u64 s[46:47], s[46:47], s[26:27]
	s_barrier_wait -1
	s_wait_alu 0xfffe
	s_lshl_b64 s[46:47], s[46:47], 2
	global_inv scope:SCOPE_SE
	s_wait_alu 0xfffe
	s_add_nc_u64 s[46:47], s[24:25], s[46:47]
	s_and_saveexec_b32 s37, s5
	s_cbranch_execz .LBB59_30
; %bb.29:                               ;   in Loop: Header=BB59_12 Depth=1
	s_wait_alu 0xfffe
	v_add_co_u32 v99, s10, s46, v55
	s_wait_alu 0xf1ff
	v_add_co_ci_u32_e64 v100, null, s47, v56, s10
	s_delay_alu instid0(VALU_DEP_2) | instskip(SKIP_1) | instid1(VALU_DEP_2)
	v_add_co_u32 v99, s10, v99, v90
	s_wait_alu 0xf1ff
	v_add_co_ci_u32_e64 v100, null, 0, v100, s10
	global_load_b128 v[99:102], v[99:100], off offset:128
	s_wait_loadcnt 0x0
	ds_store_b128 v87, v[99:102]
.LBB59_30:                              ;   in Loop: Header=BB59_12 Depth=1
	s_wait_alu 0xfffe
	s_or_b32 exec_lo, exec_lo, s37
	s_and_saveexec_b32 s37, s6
	s_cbranch_execz .LBB59_32
; %bb.31:                               ;   in Loop: Header=BB59_12 Depth=1
	v_add_co_u32 v99, s10, s46, v57
	s_wait_alu 0xf1ff
	v_add_co_ci_u32_e64 v100, null, s47, v58, s10
	s_delay_alu instid0(VALU_DEP_2) | instskip(SKIP_1) | instid1(VALU_DEP_2)
	v_add_co_u32 v98, s10, v99, v98
	s_wait_alu 0xf1ff
	v_add_co_ci_u32_e64 v99, null, 0, v100, s10
	global_load_b128 v[98:101], v[98:99], off
	s_wait_loadcnt 0x0
	ds_store_b128 v88, v[98:101]
.LBB59_32:                              ;   in Loop: Header=BB59_12 Depth=1
	s_wait_alu 0xfffe
	s_or_b32 exec_lo, exec_lo, s37
	v_dual_mul_f32 v98, 0x3fb8aa3b, v96 :: v_dual_mul_f32 v99, 0x3fb8aa3b, v97
	v_lshrrev_b32_e32 v104, 16, v44
	v_and_b32_e32 v44, 0xffff, v44
	v_lshrrev_b32_e32 v105, 16, v41
	s_delay_alu instid0(VALU_DEP_4)
	v_fma_f32 v100, 0x3fb8aa3b, v96, -v98
	v_rndne_f32_e32 v101, v98
	v_fma_f32 v102, 0x3fb8aa3b, v97, -v99
	v_rndne_f32_e32 v103, v99
	v_mul_u32_u24_e32 v44, 0x10001, v44
	v_fmac_f32_e32 v100, 0x32a5705f, v96
	v_and_b32_e32 v41, 0xffff, v41
	s_delay_alu instid0(VALU_DEP_4)
	v_dual_fmac_f32 v102, 0x32a5705f, v97 :: v_dual_sub_f32 v97, v99, v103
	v_sub_f32_e32 v96, v98, v101
	v_lshrrev_b32_e32 v98, 16, v45
	v_cvt_i32_f32_e32 v101, v101
	v_cvt_i32_f32_e32 v103, v103
	v_add_f32_e32 v97, v97, v102
	v_dual_add_f32 v96, v96, v100 :: v_dual_and_b32 v45, 0xffff, v45
	v_pk_mul_f16 v113, v28, v44
	v_lshrrev_b32_e32 v99, 16, v46
	s_delay_alu instid0(VALU_DEP_4)
	v_exp_f32_e32 v97, v97
	v_and_b32_e32 v46, 0xffff, v46
	v_exp_f32_e32 v96, v96
	v_mul_u32_u24_e32 v45, 0x10001, v45
	v_mul_u32_u24_e32 v98, 0x10001, v98
	v_lshrrev_b32_e32 v100, 16, v47
	v_mul_u32_u24_e32 v46, 0x10001, v46
	v_mul_u32_u24_e32 v99, 0x10001, v99
	v_lshrrev_b32_e32 v102, 16, v40
	v_and_b32_e32 v40, 0xffff, v40
	v_ldexp_f32 v97, v97, v103
	v_mul_u32_u24_e32 v103, 0x10001, v104
	v_ldexp_f32 v96, v96, v101
	v_mul_u32_u24_e32 v100, 0x10001, v100
	v_mul_u32_u24_e32 v40, 0x10001, v40
	v_cndmask_b32_e64 v97, 0, v97, s9
	v_pk_mul_f16 v28, v28, v103
	v_cndmask_b32_e64 v96, 0, v96, s7
	v_mul_u32_u24_e32 v102, 0x10001, v102
	v_lshrrev_b32_e32 v106, 16, v42
	v_cndmask_b32_e64 v97, 0x7f800000, v97, s8
	v_and_b32_e32 v47, 0xffff, v47
	s_wait_alu 0xfffd
	v_cndmask_b32_e32 v96, 0x7f800000, v96, vcc_lo
	v_and_b32_e32 v42, 0xffff, v42
	v_mul_u32_u24_e32 v41, 0x10001, v41
	v_cvt_f16_f32_e32 v107, v97
	v_fmac_f32_e32 v76, v92, v97
	v_cvt_f16_f32_e32 v104, v96
	v_mul_u32_u24_e32 v47, 0x10001, v47
	v_mul_u32_u24_e32 v105, 0x10001, v105
	v_and_b32_e32 v107, 0xffff, v107
	v_and_b32_e32 v101, 0xffff, v43
	v_and_b32_e32 v104, 0xffff, v104
	v_mul_u32_u24_e32 v42, 0x10001, v42
	v_mul_u32_u24_e32 v106, 0x10001, v106
	;; [unrolled: 1-line block ×3, first 2 shown]
	v_lshrrev_b32_e32 v43, 16, v43
	v_mul_u32_u24_e32 v104, 0x10001, v104
	v_and_b32_e32 v108, 0xffff, v36
	v_lshrrev_b32_e32 v36, 16, v36
	v_pk_mul_f16 v68, v68, v107
	v_pk_fma_f16 v28, v67, v107, v28
	v_pk_mul_f16 v71, v71, v104
	v_pk_fma_f16 v69, v69, v104, v113
	v_mul_u32_u24_e32 v101, 0x10001, v101
	v_mul_u32_u24_e32 v43, 0x10001, v43
	v_pk_fma_f16 v28, v30, v98, v28
	v_pk_fma_f16 v44, v29, v44, v71
	;; [unrolled: 1-line block ×4, first 2 shown]
	v_and_b32_e32 v109, 0xffff, v37
	v_mul_u32_u24_e32 v108, 0x10001, v108
	v_pk_fma_f16 v30, v31, v45, v44
	v_pk_fma_f16 v29, v31, v98, v29
	;; [unrolled: 1-line block ×4, first 2 shown]
	v_mul_u32_u24_e32 v36, 0x10001, v36
	v_pk_fma_f16 v28, v25, v46, v30
	v_pk_fma_f16 v25, v25, v99, v29
	;; [unrolled: 1-line block ×4, first 2 shown]
	v_lshrrev_b32_e32 v37, 16, v37
	v_pk_fma_f16 v26, v27, v47, v28
	v_pk_fma_f16 v25, v27, v100, v25
	;; [unrolled: 1-line block ×4, first 2 shown]
	v_mul_u32_u24_e32 v109, 0x10001, v109
	v_pk_fma_f16 v26, v33, v40, v26
	v_pk_fma_f16 v25, v33, v102, v25
	v_pk_fma_f16 v27, v34, v41, v27
	v_pk_fma_f16 v24, v34, v105, v24
	v_and_b32_e32 v110, 0xffff, v38
	v_pk_fma_f16 v26, v35, v41, v26
	v_pk_fma_f16 v25, v35, v105, v25
	;; [unrolled: 1-line block ×4, first 2 shown]
	v_lshrrev_b32_e32 v38, 16, v38
	v_pk_fma_f16 v24, v21, v42, v26
	v_pk_fma_f16 v21, v21, v106, v25
	v_lshrrev_b32_e32 v26, 16, v2
	v_pk_fma_f16 v25, v22, v101, v27
	v_pk_fma_f16 v20, v22, v43, v20
	;; [unrolled: 1-line block ×3, first 2 shown]
	v_and_b32_e32 v2, 0xffff, v2
	v_pk_fma_f16 v21, v23, v43, v21
	v_mul_u32_u24_e32 v37, 0x10001, v37
	v_pk_fma_f16 v23, v16, v108, v25
	v_pk_fma_f16 v16, v16, v36, v20
	;; [unrolled: 1-line block ×3, first 2 shown]
	v_mul_u32_u24_e32 v22, 0x10001, v2
	v_pk_fma_f16 v2, v17, v36, v21
	v_and_b32_e32 v111, 0xffff, v39
	v_lshrrev_b32_e32 v39, 16, v39
	v_mul_u32_u24_e32 v110, 0x10001, v110
	v_mul_u32_u24_e32 v38, 0x10001, v38
	v_pk_fma_f16 v17, v18, v109, v23
	v_pk_fma_f16 v16, v18, v37, v16
	;; [unrolled: 1-line block ×4, first 2 shown]
	v_mul_u32_u24_e32 v111, 0x10001, v111
	v_mul_u32_u24_e32 v39, 0x10001, v39
	v_lshrrev_b32_e32 v112, 16, v0
	v_and_b32_e32 v0, 0xffff, v0
	v_pk_fma_f16 v17, v12, v110, v17
	v_pk_fma_f16 v12, v12, v38, v16
	;; [unrolled: 1-line block ×4, first 2 shown]
	v_mul_u32_u24_e32 v0, 0x10001, v0
	v_mul_u32_u24_e32 v44, 0x10001, v112
	v_lshrrev_b32_e32 v30, 16, v1
	v_and_b32_e32 v1, 0xffff, v1
	v_pk_fma_f16 v13, v14, v111, v17
	v_pk_fma_f16 v12, v14, v39, v12
	;; [unrolled: 1-line block ×3, first 2 shown]
	s_wait_loadcnt_dscnt 0x0
	s_barrier_signal -1
	s_barrier_wait -1
	global_inv scope:SCOPE_SE
	ds_load_b128 v[16:19], v66 offset:64
	v_pk_fma_f16 v2, v15, v39, v2
	v_mul_u32_u24_e32 v1, 0x10001, v1
	v_mul_u32_u24_e32 v28, 0x10001, v30
	v_lshrrev_b32_e32 v21, 16, v3
	v_and_b32_e32 v3, 0xffff, v3
	v_pk_fma_f16 v13, v8, v0, v13
	v_pk_fma_f16 v8, v8, v44, v12
	;; [unrolled: 1-line block ×4, first 2 shown]
	v_mul_u32_u24_e32 v12, 0x10001, v3
	v_pk_fma_f16 v9, v10, v1, v13
	v_pk_fma_f16 v8, v10, v28, v8
	v_pk_fma_f16 v10, v11, v1, v0
	v_pk_fma_f16 v11, v11, v28, v2
	ds_load_2addr_b64 v[0:3], v64 offset1:24
	v_mul_u32_u24_e32 v20, 0x10001, v26
	v_pk_fma_f16 v9, v4, v22, v9
	v_mul_u32_u24_e32 v13, 0x10001, v21
	v_pk_fma_f16 v14, v5, v22, v10
	v_fmac_f32_e32 v77, v93, v96
	v_pk_fma_f16 v4, v4, v20, v8
	v_pk_fma_f16 v5, v5, v20, v11
	;; [unrolled: 1-line block ×3, first 2 shown]
	ds_load_b128 v[8:11], v66 offset:80
	s_wait_dscnt 0x2
	v_and_b32_e32 v15, 0xffff, v16
	v_lshrrev_b32_e32 v16, 16, v16
	v_pk_fma_f16 v25, v6, v13, v4
	v_pk_fma_f16 v26, v7, v12, v14
	;; [unrolled: 1-line block ×3, first 2 shown]
	v_mul_u32_u24_e32 v28, 0x10001, v15
	v_mul_u32_u24_e32 v16, 0x10001, v16
	v_and_b32_e32 v29, 0xffff, v17
	v_lshrrev_b32_e32 v17, 16, v17
	ds_load_2addr_b64 v[4:7], v64 offset0:48 offset1:72
	ds_load_b128 v[12:15], v66 offset:96
	ds_load_b128 v[20:23], v66 offset:112
	s_wait_dscnt 0x4
	v_pk_fma_f16 v24, v0, v28, v24
	v_pk_fma_f16 v0, v0, v16, v25
	v_mul_u32_u24_e32 v29, 0x10001, v29
	v_pk_fma_f16 v25, v1, v28, v26
	v_mul_u32_u24_e32 v17, 0x10001, v17
	v_pk_fma_f16 v1, v1, v16, v27
	v_and_b32_e32 v27, 0xffff, v19
	v_pk_fma_f16 v16, v2, v29, v24
	v_and_b32_e32 v24, 0xffff, v18
	v_lshrrev_b32_e32 v18, 16, v18
	v_pk_fma_f16 v26, v2, v17, v0
	v_pk_fma_f16 v25, v3, v29, v25
	;; [unrolled: 1-line block ×3, first 2 shown]
	ds_load_2addr_b64 v[0:3], v64 offset0:96 offset1:120
	v_mul_u32_u24_e32 v24, 0x10001, v24
	v_mul_u32_u24_e32 v18, 0x10001, v18
	v_lshrrev_b32_e32 v19, 16, v19
	s_wait_dscnt 0x3
	s_delay_alu instid0(VALU_DEP_3) | instskip(NEXT) | instid1(VALU_DEP_3)
	v_pk_fma_f16 v16, v4, v24, v16
	v_pk_fma_f16 v4, v4, v18, v26
	;; [unrolled: 1-line block ×3, first 2 shown]
	v_mul_u32_u24_e32 v25, 0x10001, v27
	v_mul_u32_u24_e32 v26, 0x10001, v19
	v_pk_fma_f16 v5, v5, v18, v17
	v_and_b32_e32 v17, 0xffff, v8
	v_lshrrev_b32_e32 v8, 16, v8
	v_pk_fma_f16 v27, v6, v25, v16
	v_pk_fma_f16 v4, v6, v26, v4
	;; [unrolled: 1-line block ×3, first 2 shown]
	v_mul_u32_u24_e32 v24, 0x10001, v17
	v_mul_u32_u24_e32 v8, 0x10001, v8
	v_and_b32_e32 v25, 0xffff, v9
	ds_load_2addr_b64 v[16:19], v64 offset0:144 offset1:168
	v_pk_fma_f16 v5, v7, v26, v5
	v_lshrrev_b32_e32 v7, 16, v9
	s_wait_dscnt 0x1
	v_pk_fma_f16 v9, v0, v24, v27
	v_mul_u32_u24_e32 v25, 0x10001, v25
	v_pk_fma_f16 v0, v0, v8, v4
	v_pk_fma_f16 v4, v1, v24, v6
	v_mul_u32_u24_e32 v6, 0x10001, v7
	v_pk_fma_f16 v1, v1, v8, v5
	v_pk_fma_f16 v5, v2, v25, v9
	v_and_b32_e32 v7, 0xffff, v10
	v_lshrrev_b32_e32 v8, 16, v10
	v_pk_fma_f16 v9, v2, v6, v0
	v_pk_fma_f16 v4, v3, v25, v4
	;; [unrolled: 1-line block ×3, first 2 shown]
	ds_load_2addr_b64 v[0:3], v64 offset0:192 offset1:216
	v_mul_u32_u24_e32 v7, 0x10001, v7
	v_mul_u32_u24_e32 v8, 0x10001, v8
	v_and_b32_e32 v10, 0xffff, v11
	v_lshrrev_b32_e32 v11, 16, v11
	s_wait_dscnt 0x1
	v_pk_fma_f16 v5, v16, v7, v5
	v_pk_fma_f16 v9, v16, v8, v9
	;; [unrolled: 1-line block ×3, first 2 shown]
	v_mul_u32_u24_e32 v7, 0x10001, v10
	v_mul_u32_u24_e32 v10, 0x10001, v11
	v_pk_fma_f16 v8, v17, v8, v6
	v_and_b32_e32 v6, 0xffff, v12
	v_lshrrev_b32_e32 v11, 16, v12
	v_pk_fma_f16 v12, v18, v7, v5
	v_pk_fma_f16 v9, v18, v10, v9
	;; [unrolled: 1-line block ×3, first 2 shown]
	v_mul_u32_u24_e32 v17, 0x10001, v6
	v_mul_u32_u24_e32 v11, 0x10001, v11
	v_and_b32_e32 v18, 0xffff, v13
	ds_load_2addr_b64 v[4:7], v95 offset0:112 offset1:136
	v_pk_fma_f16 v8, v19, v10, v8
	v_lshrrev_b32_e32 v10, 16, v13
	s_wait_dscnt 0x1
	v_pk_fma_f16 v12, v0, v17, v12
	v_pk_fma_f16 v0, v0, v11, v9
	v_mul_u32_u24_e32 v9, 0x10001, v18
	v_pk_fma_f16 v13, v1, v17, v16
	v_mul_u32_u24_e32 v16, 0x10001, v10
	v_pk_fma_f16 v1, v1, v11, v8
	v_and_b32_e32 v8, 0xffff, v14
	v_pk_fma_f16 v12, v2, v9, v12
	v_lshrrev_b32_e32 v14, 16, v14
	v_pk_fma_f16 v0, v2, v16, v0
	v_pk_fma_f16 v2, v3, v9, v13
	v_mul_u32_u24_e32 v13, 0x10001, v8
	ds_load_2addr_b64 v[8:11], v94 offset0:32 offset1:56
	v_mul_u32_u24_e32 v14, 0x10001, v14
	v_pk_fma_f16 v1, v3, v16, v1
	v_and_b32_e32 v3, 0xffff, v15
	v_lshrrev_b32_e32 v15, 16, v15
	s_wait_dscnt 0x1
	v_pk_fma_f16 v12, v4, v13, v12
	v_pk_fma_f16 v0, v4, v14, v0
	;; [unrolled: 1-line block ×3, first 2 shown]
	v_mul_u32_u24_e32 v3, 0x10001, v3
	v_mul_u32_u24_e32 v4, 0x10001, v15
	v_lshrrev_b32_e32 v15, 16, v20
	v_and_b32_e32 v13, 0xffff, v20
	v_pk_fma_f16 v1, v5, v14, v1
	v_pk_fma_f16 v5, v6, v3, v12
	;; [unrolled: 1-line block ×3, first 2 shown]
	v_mul_u32_u24_e32 v12, 0x10001, v15
	v_mul_u32_u24_e32 v6, 0x10001, v13
	v_pk_fma_f16 v13, v7, v3, v2
	v_pk_fma_f16 v4, v7, v4, v1
	v_lshrrev_b32_e32 v14, 16, v21
	s_wait_dscnt 0x0
	v_pk_fma_f16 v7, v8, v12, v0
	ds_load_2addr_b64 v[0:3], v94 offset0:80 offset1:104
	s_wait_loadcnt_dscnt 0x0
	s_barrier_signal -1
	s_barrier_wait -1
	global_inv scope:SCOPE_SE
	s_load_b32 s7, s[44:45], 0x4
	v_pk_fma_f16 v5, v8, v6, v5
	v_and_b32_e32 v8, 0xffff, v21
	v_pk_fma_f16 v6, v9, v6, v13
	v_pk_fma_f16 v4, v9, v12, v4
	v_mul_u32_u24_e32 v9, 0x10001, v14
	v_and_b32_e32 v12, 0xffff, v22
	v_mul_u32_u24_e32 v8, 0x10001, v8
	v_lshrrev_b32_e32 v13, 16, v22
	s_delay_alu instid0(VALU_DEP_4) | instskip(SKIP_1) | instid1(VALU_DEP_4)
	v_pk_fma_f16 v7, v10, v9, v7
	v_pk_fma_f16 v4, v11, v9, v4
	;; [unrolled: 1-line block ×4, first 2 shown]
	v_mul_u32_u24_e32 v8, 0x10001, v12
	v_mul_u32_u24_e32 v10, 0x10001, v13
	v_and_b32_e32 v12, 0xffff, v23
	v_lshrrev_b32_e32 v13, 16, v23
	s_delay_alu instid0(VALU_DEP_4) | instskip(NEXT) | instid1(VALU_DEP_4)
	v_pk_fma_f16 v5, v0, v8, v5
	v_pk_fma_f16 v0, v0, v10, v7
	s_delay_alu instid0(VALU_DEP_4) | instskip(NEXT) | instid1(VALU_DEP_4)
	v_mul_u32_u24_e32 v7, 0x10001, v12
	v_mul_u32_u24_e32 v9, 0x10001, v13
	v_pk_fma_f16 v6, v1, v8, v6
	v_pk_fma_f16 v1, v1, v10, v4
	s_wait_kmcnt 0x0
	s_lshl_b32 s7, s7, 5
	v_pk_fma_f16 v69, v2, v7, v5
	v_pk_fma_f16 v67, v2, v9, v0
	;; [unrolled: 1-line block ×4, first 2 shown]
	s_wait_alu 0xfffe
	s_add_co_i32 s36, s7, s36
	s_wait_alu 0xfffe
	s_cmp_lt_i32 s36, s11
	s_cbranch_scc0 .LBB59_35
; %bb.33:                               ;   in Loop: Header=BB59_12 Depth=1
	v_dual_mov_b32 v0, v49 :: v_dual_mov_b32 v1, v50
	v_dual_mov_b32 v93, v77 :: v_dual_mov_b32 v92, v76
	s_branch .LBB59_12
.LBB59_34:
	v_dual_mov_b32 v49, 0xfeffffff :: v_dual_mov_b32 v76, 0
	v_mov_b32_e32 v69, 0
	v_dual_mov_b32 v77, 0 :: v_dual_mov_b32 v68, 0
	s_delay_alu instid0(VALU_DEP_3)
	v_dual_mov_b32 v71, 0 :: v_dual_mov_b32 v50, v49
	v_mov_b32_e32 v67, 0
.LBB59_35:
	s_cmp_gt_i32 s38, s36
	s_cbranch_scc1 .LBB59_38
; %bb.36:
	v_mbcnt_lo_u32_b32 v0, -1, 0
	v_mov_b32_e32 v44, 32
	s_delay_alu instid0(VALU_DEP_2)
	v_xor_b32_e32 v41, 16, v0
	v_xor_b32_e32 v40, 8, v0
	;; [unrolled: 1-line block ×5, first 2 shown]
	s_cbranch_execz .LBB59_39
; %bb.37:
	v_mov_b32_e32 v65, v0
	s_branch .LBB59_66
.LBB59_38:
                                        ; implicit-def: $vgpr0
                                        ; implicit-def: $vgpr44
                                        ; implicit-def: $vgpr41
                                        ; implicit-def: $vgpr40
                                        ; implicit-def: $vgpr42
                                        ; implicit-def: $vgpr43
                                        ; implicit-def: $vgpr45
.LBB59_39:
	v_lshl_add_u32 v2, v70, 4, v81
	v_lshlrev_b32_e32 v8, 2, v80
	s_ashr_i32 s37, s36, 31
	s_ashr_i32 s41, s40, 31
	s_mov_b64 s[6:7], src_private_base
	v_mul_lo_u32 v0, s40, v2
	v_mul_u32_u24_e32 v3, 0x70, v2
	s_wait_alu 0xfffe
	s_mul_u64 s[8:9], s[36:37], s[40:41]
	v_cmp_gt_u32_e64 s4, 32, v2
	s_wait_alu 0xfffe
	s_lshl_b64 s[8:9], s[8:9], 2
	s_sub_co_i32 s31, s38, s36
	v_add3_u32 v7, v3, v8, 64
	s_wait_alu 0xfffe
	s_add_nc_u64 s[8:9], s[42:43], s[8:9]
	v_ashrrev_i32_e32 v1, 31, v0
	v_cmp_gt_i32_e32 vcc_lo, s31, v2
	s_delay_alu instid0(VALU_DEP_2)
	v_lshlrev_b64_e32 v[3:4], 2, v[0:1]
	s_and_saveexec_b32 s5, s4
	s_cbranch_execz .LBB59_41
; %bb.40:
	s_wait_alu 0xfffe
	s_delay_alu instid0(VALU_DEP_1) | instskip(SKIP_2) | instid1(VALU_DEP_2)
	v_add_co_u32 v0, s3, s8, v3
	s_wait_alu 0xf1ff
	v_add_co_ci_u32_e64 v1, null, s9, v4, s3
	v_add_co_u32 v2, s3, v0, v8
	s_wait_alu 0xf1ff
	s_delay_alu instid0(VALU_DEP_2) | instskip(NEXT) | instid1(VALU_DEP_2)
	v_add_co_ci_u32_e64 v1, null, 0, v1, s3
	v_add_co_u32 v5, s3, v2, 64
	v_mov_b32_e32 v0, 0
	s_wait_alu 0xf1ff
	s_delay_alu instid0(VALU_DEP_3) | instskip(SKIP_3) | instid1(VALU_DEP_3)
	v_add_co_ci_u32_e64 v6, null, 0, v1, s3
	s_wait_alu 0xfffd
	v_cndmask_b32_e32 v5, 0, v5, vcc_lo
	v_dual_mov_b32 v1, v0 :: v_dual_mov_b32 v2, v0
	v_cndmask_b32_e32 v6, s7, v6, vcc_lo
	s_clause 0x1
	scratch_store_b32 off, v0, off
	scratch_store_b96 off, v[0:2], off offset:4
	flat_load_b128 v[9:12], v[5:6]
	s_wait_loadcnt_dscnt 0x0
	ds_store_b128 v7, v[9:12]
.LBB59_41:
	s_wait_alu 0xfffe
	s_or_b32 exec_lo, exec_lo, s5
	v_lshl_add_u32 v38, v70, 3, v79
	v_lshlrev_b32_e32 v39, 2, v75
	v_mov_b32_e32 v1, 0
	s_mov_b64 s[10:11], src_private_base
	s_delay_alu instid0(VALU_DEP_3) | instskip(SKIP_3) | instid1(VALU_DEP_4)
	v_mul_lo_u32 v5, s40, v38
	v_cmp_gt_u32_e64 s5, 32, v38
	v_mad_u32_u24 v9, 0x70, v38, v39
	v_cmp_gt_i32_e64 s3, s31, v38
	v_ashrrev_i32_e32 v6, 31, v5
	s_delay_alu instid0(VALU_DEP_1)
	v_lshlrev_b64_e32 v[5:6], 2, v[5:6]
	s_and_saveexec_b32 s10, s5
	s_cbranch_execz .LBB59_43
; %bb.42:
	s_delay_alu instid0(VALU_DEP_1) | instskip(SKIP_1) | instid1(VALU_DEP_2)
	v_add_co_u32 v0, s6, s8, v5
	s_wait_alu 0xf1ff
	v_add_co_ci_u32_e64 v2, null, s9, v6, s6
	s_delay_alu instid0(VALU_DEP_2) | instskip(SKIP_1) | instid1(VALU_DEP_2)
	v_add_co_u32 v10, s6, v0, v39
	s_wait_alu 0xf1ff
	v_add_co_ci_u32_e64 v11, null, 0, v2, s6
	v_mov_b32_e32 v0, v1
	v_mov_b32_e32 v2, v1
	v_cndmask_b32_e64 v10, 0, v10, s3
	s_wait_alu 0xfffe
	v_cndmask_b32_e64 v11, s11, v11, s3
	s_clause 0x1
	scratch_store_b32 off, v1, off
	scratch_store_b96 off, v[0:2], off offset:4
	flat_load_b128 v[10:13], v[10:11]
	s_wait_loadcnt_dscnt 0x0
	ds_store_b128 v9, v[10:13]
.LBB59_43:
	s_wait_alu 0xfffe
	s_or_b32 exec_lo, exec_lo, s10
	v_mul_u32_u24_e32 v0, 0x180, v70
	s_wait_storecnt 0x0
	s_wait_loadcnt_dscnt 0x0
	s_barrier_signal -1
	s_barrier_wait -1
	global_inv scope:SCOPE_SE
	ds_load_b128 v[10:13], v78
	ds_load_b128 v[14:17], v0 offset:3712
	ds_load_b128 v[18:21], v0 offset:3904
	v_mov_b32_e32 v2, 0
	s_movk_i32 s6, 0xe80
	s_wait_dscnt 0x1
	;;#ASMSTART
	v_dot2_f32_f16 v2, v10, v14, v2
	;;#ASMEND
	;;#ASMSTART
	v_dot2_f32_f16 v2, v11, v15, v2
	;;#ASMEND
	;;#ASMSTART
	v_dot2_f32_f16 v2, v12, v16, v2
	;;#ASMEND
	;;#ASMSTART
	v_dot2_f32_f16 v2, v13, v17, v2
	;;#ASMEND
	s_wait_dscnt 0x0
	;;#ASMSTART
	v_dot2_f32_f16 v1, v10, v18, v1
	;;#ASMEND
	;;#ASMSTART
	v_dot2_f32_f16 v1, v11, v19, v1
	;;#ASMEND
	;;#ASMSTART
	v_dot2_f32_f16 v1, v12, v20, v1
	;;#ASMEND
	;;#ASMSTART
	v_dot2_f32_f16 v1, v13, v21, v1
	;;#ASMEND
	ds_load_b128 v[10:13], v78 offset:16
	ds_load_b128 v[14:17], v0 offset:3728
	ds_load_b128 v[18:21], v0 offset:3920
	s_wait_dscnt 0x1
	;;#ASMSTART
	v_dot2_f32_f16 v2, v10, v14, v2
	;;#ASMEND
	;;#ASMSTART
	v_dot2_f32_f16 v2, v11, v15, v2
	;;#ASMEND
	;;#ASMSTART
	v_dot2_f32_f16 v2, v12, v16, v2
	;;#ASMEND
	;;#ASMSTART
	v_dot2_f32_f16 v2, v13, v17, v2
	;;#ASMEND
	s_wait_dscnt 0x0
	;;#ASMSTART
	v_dot2_f32_f16 v1, v10, v18, v1
	;;#ASMEND
	;;#ASMSTART
	v_dot2_f32_f16 v1, v11, v19, v1
	;;#ASMEND
	;;#ASMSTART
	v_dot2_f32_f16 v1, v12, v20, v1
	;;#ASMEND
	;;#ASMSTART
	v_dot2_f32_f16 v1, v13, v21, v1
	;;#ASMEND
	ds_load_b128 v[10:13], v78 offset:32
	ds_load_b128 v[14:17], v0 offset:3744
	ds_load_b128 v[18:21], v0 offset:3936
	s_wait_dscnt 0x1
	;;#ASMSTART
	v_dot2_f32_f16 v2, v10, v14, v2
	;;#ASMEND
	;;#ASMSTART
	v_dot2_f32_f16 v2, v11, v15, v2
	;;#ASMEND
	;;#ASMSTART
	v_dot2_f32_f16 v2, v12, v16, v2
	;;#ASMEND
	;;#ASMSTART
	v_dot2_f32_f16 v2, v13, v17, v2
	;;#ASMEND
	s_wait_dscnt 0x0
	;;#ASMSTART
	v_dot2_f32_f16 v1, v10, v18, v1
	;;#ASMEND
	;;#ASMSTART
	v_dot2_f32_f16 v1, v11, v19, v1
	;;#ASMEND
	;;#ASMSTART
	v_dot2_f32_f16 v1, v12, v20, v1
	;;#ASMEND
	;;#ASMSTART
	v_dot2_f32_f16 v1, v13, v21, v1
	;;#ASMEND
	ds_load_b128 v[10:13], v78 offset:48
	ds_load_b128 v[14:17], v0 offset:3760
	ds_load_b128 v[18:21], v0 offset:3952
	s_wait_dscnt 0x1
	;;#ASMSTART
	v_dot2_f32_f16 v2, v10, v14, v2
	;;#ASMEND
	;;#ASMSTART
	v_dot2_f32_f16 v2, v11, v15, v2
	;;#ASMEND
	;;#ASMSTART
	v_dot2_f32_f16 v2, v12, v16, v2
	;;#ASMEND
	;;#ASMSTART
	v_dot2_f32_f16 v2, v13, v17, v2
	;;#ASMEND
	s_wait_dscnt 0x0
	;;#ASMSTART
	v_dot2_f32_f16 v1, v10, v18, v1
	;;#ASMEND
	;;#ASMSTART
	v_dot2_f32_f16 v1, v11, v19, v1
	;;#ASMEND
	;;#ASMSTART
	v_dot2_f32_f16 v1, v12, v20, v1
	;;#ASMEND
	;;#ASMSTART
	v_dot2_f32_f16 v1, v13, v21, v1
	;;#ASMEND
	ds_load_b128 v[10:13], v78 offset:64
	ds_load_b128 v[14:17], v0 offset:3776
	ds_load_b128 v[18:21], v0 offset:3968
	s_wait_dscnt 0x1
	;;#ASMSTART
	v_dot2_f32_f16 v2, v10, v14, v2
	;;#ASMEND
	;;#ASMSTART
	v_dot2_f32_f16 v2, v11, v15, v2
	;;#ASMEND
	;;#ASMSTART
	v_dot2_f32_f16 v2, v12, v16, v2
	;;#ASMEND
	;;#ASMSTART
	v_dot2_f32_f16 v2, v13, v17, v2
	;;#ASMEND
	s_wait_dscnt 0x0
	;;#ASMSTART
	v_dot2_f32_f16 v1, v10, v18, v1
	;;#ASMEND
	;;#ASMSTART
	v_dot2_f32_f16 v1, v11, v19, v1
	;;#ASMEND
	;;#ASMSTART
	v_dot2_f32_f16 v1, v12, v20, v1
	;;#ASMEND
	;;#ASMSTART
	v_dot2_f32_f16 v1, v13, v21, v1
	;;#ASMEND
	ds_load_b128 v[10:13], v78 offset:80
	ds_load_b128 v[14:17], v0 offset:3792
	ds_load_b128 v[18:21], v0 offset:3984
	s_wait_dscnt 0x1
	;;#ASMSTART
	v_dot2_f32_f16 v2, v10, v14, v2
	;;#ASMEND
	;;#ASMSTART
	v_dot2_f32_f16 v2, v11, v15, v2
	;;#ASMEND
	;; [unrolled: 3-line block ×4, first 2 shown]
	s_wait_dscnt 0x0
	;;#ASMSTART
	v_dot2_f32_f16 v1, v10, v18, v1
	;;#ASMEND
	;;#ASMSTART
	v_dot2_f32_f16 v1, v11, v19, v1
	;;#ASMEND
	;; [unrolled: 3-line block ×4, first 2 shown]
	s_wait_loadcnt 0x0
	s_barrier_signal -1
	s_barrier_wait -1
	global_inv scope:SCOPE_SE
	s_and_saveexec_b32 s10, s4
	s_cbranch_execz .LBB59_45
; %bb.44:
	v_add_co_u32 v0, s4, s8, v3
	s_wait_alu 0xf1ff
	v_add_co_ci_u32_e64 v3, null, s9, v4, s4
	s_delay_alu instid0(VALU_DEP_2) | instskip(SKIP_1) | instid1(VALU_DEP_2)
	v_add_co_u32 v0, s4, v0, v8
	s_wait_alu 0xf1ff
	v_add_co_ci_u32_e64 v3, null, 0, v3, s4
	s_delay_alu instid0(VALU_DEP_2) | instskip(SKIP_2) | instid1(VALU_DEP_3)
	v_add_co_u32 v0, s4, 0xa0, v0
	v_mov_b32_e32 v10, 0
	s_wait_alu 0xf1ff
	v_add_co_ci_u32_e64 v3, null, 0, v3, s4
	s_wait_alu 0xfffd
	s_delay_alu instid0(VALU_DEP_1)
	v_cndmask_b32_e32 v4, s7, v3, vcc_lo
	v_cndmask_b32_e32 v3, 0, v0, vcc_lo
	v_dual_mov_b32 v11, v10 :: v_dual_mov_b32 v12, v10
	s_clause 0x1
	scratch_store_b32 off, v10, off
	scratch_store_b96 off, v[10:12], off offset:4
	flat_load_b128 v[10:13], v[3:4]
	s_wait_loadcnt_dscnt 0x0
	ds_store_b128 v7, v[10:13]
.LBB59_45:
	s_wait_alu 0xfffe
	s_or_b32 exec_lo, exec_lo, s10
	v_mad_u32_u24 v0, 0x180, v70, s6
	s_and_saveexec_b32 s4, s5
	s_cbranch_execz .LBB59_47
; %bb.46:
	v_add_co_u32 v3, vcc_lo, s8, v5
	s_wait_alu 0xfffd
	v_add_co_ci_u32_e64 v4, null, s9, v6, vcc_lo
	s_delay_alu instid0(VALU_DEP_2) | instskip(SKIP_1) | instid1(VALU_DEP_2)
	v_add_co_u32 v5, vcc_lo, v3, v39
	s_wait_alu 0xfffd
	v_add_co_ci_u32_e64 v4, null, 0, v4, vcc_lo
	v_mov_b32_e32 v3, 0
	s_delay_alu instid0(VALU_DEP_3) | instskip(SKIP_1) | instid1(VALU_DEP_3)
	v_add_co_u32 v6, vcc_lo, 0x60, v5
	s_wait_alu 0xfffd
	v_add_co_ci_u32_e64 v7, null, 0, v4, vcc_lo
	s_delay_alu instid0(VALU_DEP_3) | instskip(NEXT) | instid1(VALU_DEP_3)
	v_dual_mov_b32 v4, v3 :: v_dual_mov_b32 v5, v3
	v_cndmask_b32_e64 v6, 0, v6, s3
	s_delay_alu instid0(VALU_DEP_3)
	v_cndmask_b32_e64 v7, s11, v7, s3
	s_clause 0x1
	scratch_store_b32 off, v3, off
	scratch_store_b96 off, v[3:5], off offset:4
	flat_load_b128 v[3:6], v[6:7]
	s_wait_loadcnt_dscnt 0x0
	ds_store_b128 v9, v[3:6]
.LBB59_47:
	s_wait_alu 0xfffe
	s_or_b32 exec_lo, exec_lo, s4
	s_wait_storecnt 0x0
	s_wait_loadcnt_dscnt 0x0
	s_barrier_signal -1
	s_barrier_wait -1
	global_inv scope:SCOPE_SE
	ds_load_b128 v[3:6], v78
	ds_load_b128 v[7:10], v0 offset:96
	ds_load_b128 v[11:14], v0 offset:288
	s_cmp_lg_u64 s[34:35], 0
	v_cmp_gt_i32_e64 s4, s31, v59
	s_cselect_b32 s6, -1, 0
	s_wait_dscnt 0x1
	;;#ASMSTART
	v_dot2_f32_f16 v2, v3, v7, v2
	;;#ASMEND
	;;#ASMSTART
	v_dot2_f32_f16 v2, v4, v8, v2
	;;#ASMEND
	;;#ASMSTART
	v_dot2_f32_f16 v2, v5, v9, v2
	;;#ASMEND
	;;#ASMSTART
	v_dot2_f32_f16 v2, v6, v10, v2
	;;#ASMEND
	s_wait_dscnt 0x0
	;;#ASMSTART
	v_dot2_f32_f16 v1, v3, v11, v1
	;;#ASMEND
	;;#ASMSTART
	v_dot2_f32_f16 v1, v4, v12, v1
	;;#ASMEND
	;;#ASMSTART
	v_dot2_f32_f16 v1, v5, v13, v1
	;;#ASMEND
	;;#ASMSTART
	v_dot2_f32_f16 v1, v6, v14, v1
	;;#ASMEND
	ds_load_b128 v[3:6], v78 offset:16
	ds_load_b128 v[7:10], v0 offset:112
	ds_load_b128 v[11:14], v0 offset:304
	s_wait_dscnt 0x1
	;;#ASMSTART
	v_dot2_f32_f16 v2, v3, v7, v2
	;;#ASMEND
	;;#ASMSTART
	v_dot2_f32_f16 v2, v4, v8, v2
	;;#ASMEND
	;;#ASMSTART
	v_dot2_f32_f16 v2, v5, v9, v2
	;;#ASMEND
	;;#ASMSTART
	v_dot2_f32_f16 v2, v6, v10, v2
	;;#ASMEND
	s_wait_dscnt 0x0
	;;#ASMSTART
	v_dot2_f32_f16 v1, v3, v11, v1
	;;#ASMEND
	;;#ASMSTART
	v_dot2_f32_f16 v1, v4, v12, v1
	;;#ASMEND
	;;#ASMSTART
	v_dot2_f32_f16 v1, v5, v13, v1
	;;#ASMEND
	;;#ASMSTART
	v_dot2_f32_f16 v1, v6, v14, v1
	;;#ASMEND
	ds_load_b128 v[3:6], v78 offset:32
	ds_load_b128 v[7:10], v0 offset:128
	ds_load_b128 v[11:14], v0 offset:320
	;; [unrolled: 29-line block ×5, first 2 shown]
	v_dual_mov_b32 v5, v49 :: v_dual_add_nc_u32 v0, s36, v59
	s_wait_alu 0xfffe
	v_cndmask_b32_e64 v3, 0, 1, s6
	s_wait_dscnt 0x1
	;;#ASMSTART
	v_dot2_f32_f16 v2, v6, v10, v2
	;;#ASMEND
	;;#ASMSTART
	v_dot2_f32_f16 v2, v7, v11, v2
	;;#ASMEND
	;; [unrolled: 3-line block ×4, first 2 shown]
	s_wait_dscnt 0x0
	;;#ASMSTART
	v_dot2_f32_f16 v1, v6, v14, v1
	;;#ASMEND
	;;#ASMSTART
	v_dot2_f32_f16 v1, v7, v15, v1
	;;#ASMEND
	;; [unrolled: 3-line block ×4, first 2 shown]
	s_and_saveexec_b32 s5, s4
	s_cbranch_execz .LBB59_52
; %bb.48:
	s_and_not1_b32 vcc_lo, exec_lo, s6
	s_wait_alu 0xfffe
	s_cbranch_vccnz .LBB59_50
; %bb.49:
	v_mul_hi_u32 v4, s20, v63
	s_delay_alu instid0(VALU_DEP_1) | instskip(NEXT) | instid1(VALU_DEP_1)
	v_add_nc_u32_e32 v4, v63, v4
	v_lshrrev_b32_e32 v4, s21, v4
	s_delay_alu instid0(VALU_DEP_1) | instskip(NEXT) | instid1(VALU_DEP_1)
	v_mul_lo_u32 v4, v4, s22
	v_sub_nc_u32_e32 v4, v63, v4
	s_delay_alu instid0(VALU_DEP_1) | instskip(NEXT) | instid1(VALU_DEP_1)
	v_mad_co_u64_u32 v[4:5], null, v4, s15, v[0:1]
	v_ashrrev_i32_e32 v5, 31, v4
	s_delay_alu instid0(VALU_DEP_1) | instskip(NEXT) | instid1(VALU_DEP_1)
	v_lshlrev_b64_e32 v[4:5], 1, v[4:5]
	v_add_co_u32 v4, vcc_lo, s34, v4
	s_wait_alu 0xfffd
	s_delay_alu instid0(VALU_DEP_2) | instskip(SKIP_3) | instid1(VALU_DEP_1)
	v_add_co_ci_u32_e64 v5, null, s35, v5, vcc_lo
	global_load_u16 v4, v[4:5], off
	s_wait_loadcnt 0x0
	v_cvt_f32_f16_e32 v4, v4
	v_mul_f32_e32 v4, v72, v4
	s_branch .LBB59_51
.LBB59_50:
	v_mov_b32_e32 v4, 0
.LBB59_51:
	s_delay_alu instid0(VALU_DEP_1) | instskip(NEXT) | instid1(VALU_DEP_1)
	v_dual_add_f32 v2, v2, v4 :: v_dual_max_num_f32 v5, v49, v49
	v_add_f32_e32 v4, 0x40051340, v2
	s_delay_alu instid0(VALU_DEP_1)
	v_max_num_f32_e32 v5, v5, v4
.LBB59_52:
	s_wait_alu 0xfffe
	s_or_b32 exec_lo, exec_lo, s5
	v_xor_b32_e32 v41, 16, v65
	s_delay_alu instid0(VALU_DEP_2)
	v_max_num_f32_e32 v7, v5, v5
	v_xor_b32_e32 v40, 8, v65
	v_xor_b32_e32 v42, 4, v65
	v_xor_b32_e32 v43, 2, v65
	v_cmp_gt_i32_e32 vcc_lo, 32, v41
	v_xor_b32_e32 v45, 1, v65
	v_mov_b32_e32 v44, 32
	s_wait_alu 0xfffd
	v_cndmask_b32_e32 v4, v65, v41, vcc_lo
	v_cmp_gt_i32_e32 vcc_lo, 32, v40
	s_delay_alu instid0(VALU_DEP_2) | instskip(SKIP_3) | instid1(VALU_DEP_1)
	v_lshlrev_b32_e32 v4, 2, v4
	ds_bpermute_b32 v6, v4, v5
	s_wait_dscnt 0x0
	v_max_num_f32_e32 v6, v6, v6
	v_max_num_f32_e32 v7, v7, v6
	s_wait_alu 0xfffd
	v_cndmask_b32_e32 v5, v65, v40, vcc_lo
	v_cmp_gt_i32_e32 vcc_lo, 32, v42
	s_wait_alu 0xfffd
	s_delay_alu instid0(VALU_DEP_2)
	v_dual_cndmask_b32 v8, v65, v42 :: v_dual_lshlrev_b32 v5, 2, v5
	v_cmp_gt_i32_e32 vcc_lo, 32, v43
	ds_bpermute_b32 v6, v5, v7
	s_wait_dscnt 0x0
	v_dual_max_num_f32 v9, v6, v6 :: v_dual_lshlrev_b32 v6, 2, v8
	s_wait_alu 0xfffd
	s_delay_alu instid0(VALU_DEP_1)
	v_dual_max_num_f32 v8, v7, v9 :: v_dual_cndmask_b32 v9, v65, v43
	v_cmp_gt_i32_e32 vcc_lo, 32, v45
	ds_bpermute_b32 v7, v6, v8
	s_wait_dscnt 0x0
	v_dual_max_num_f32 v10, v7, v7 :: v_dual_lshlrev_b32 v7, 2, v9
	s_wait_alu 0xfffd
	s_delay_alu instid0(VALU_DEP_1) | instskip(SKIP_3) | instid1(VALU_DEP_1)
	v_dual_max_num_f32 v9, v8, v10 :: v_dual_cndmask_b32 v10, v65, v45
	ds_bpermute_b32 v8, v7, v9
	s_wait_dscnt 0x0
	v_dual_max_num_f32 v11, v8, v8 :: v_dual_lshlrev_b32 v8, 2, v10
	v_max_num_f32_e32 v9, v9, v11
	ds_bpermute_b32 v10, v8, v9
	s_wait_dscnt 0x0
	v_max_num_f32_e32 v10, v10, v10
	s_delay_alu instid0(VALU_DEP_1)
	v_dual_max_num_f32 v32, v9, v10 :: v_dual_mov_b32 v9, v50
	s_and_saveexec_b32 s5, s4
	s_cbranch_execz .LBB59_57
; %bb.53:
	v_cmp_ne_u32_e32 vcc_lo, 1, v3
	s_cbranch_vccnz .LBB59_55
; %bb.54:
	v_or_b32_e32 v3, 1, v63
	s_delay_alu instid0(VALU_DEP_1) | instskip(NEXT) | instid1(VALU_DEP_1)
	v_mul_hi_u32 v9, s20, v3
	v_add_nc_u32_e32 v9, v3, v9
	s_delay_alu instid0(VALU_DEP_1) | instskip(NEXT) | instid1(VALU_DEP_1)
	v_lshrrev_b32_e32 v9, s21, v9
	v_mul_lo_u32 v9, v9, s22
	s_delay_alu instid0(VALU_DEP_1) | instskip(NEXT) | instid1(VALU_DEP_1)
	v_sub_nc_u32_e32 v3, v3, v9
	v_mad_co_u64_u32 v[9:10], null, v3, s15, v[0:1]
	s_delay_alu instid0(VALU_DEP_1) | instskip(NEXT) | instid1(VALU_DEP_1)
	v_ashrrev_i32_e32 v10, 31, v9
	v_lshlrev_b64_e32 v[9:10], 1, v[9:10]
	s_delay_alu instid0(VALU_DEP_1) | instskip(SKIP_1) | instid1(VALU_DEP_2)
	v_add_co_u32 v9, vcc_lo, s34, v9
	s_wait_alu 0xfffd
	v_add_co_ci_u32_e64 v10, null, s35, v10, vcc_lo
	global_load_u16 v0, v[9:10], off
	s_wait_loadcnt 0x0
	v_cvt_f32_f16_e32 v0, v0
	s_delay_alu instid0(VALU_DEP_1)
	v_mul_f32_e32 v0, v72, v0
	s_branch .LBB59_56
.LBB59_55:
	v_mov_b32_e32 v0, 0
.LBB59_56:
	s_delay_alu instid0(VALU_DEP_1) | instskip(NEXT) | instid1(VALU_DEP_1)
	v_add_f32_e32 v1, v1, v0
	v_dual_max_num_f32 v3, v50, v50 :: v_dual_add_f32 v0, 0x40051340, v1
	s_delay_alu instid0(VALU_DEP_1)
	v_max_num_f32_e32 v9, v3, v0
.LBB59_57:
	s_wait_alu 0xfffe
	s_or_b32 exec_lo, exec_lo, s5
	ds_bpermute_b32 v0, v4, v9
	v_max_num_f32_e32 v3, v9, v9
	s_mov_b64 s[4:5], src_private_base
	s_ashr_i32 s27, s26, 31
	s_wait_loadcnt_dscnt 0x0
	s_wait_alu 0xfffe
	s_mul_u64 s[6:7], s[36:37], s[26:27]
	s_barrier_signal -1
	s_wait_alu 0xfffe
	s_lshl_b64 s[6:7], s[6:7], 2
	s_barrier_wait -1
	s_wait_alu 0xfffe
	s_add_nc_u64 s[8:9], s[24:25], s[6:7]
	global_inv scope:SCOPE_SE
	v_max_num_f32_e32 v0, v0, v0
	s_delay_alu instid0(VALU_DEP_1) | instskip(SKIP_3) | instid1(VALU_DEP_1)
	v_max_num_f32_e32 v0, v3, v0
	ds_bpermute_b32 v3, v5, v0
	s_wait_dscnt 0x0
	v_max_num_f32_e32 v3, v3, v3
	v_max_num_f32_e32 v0, v0, v3
	ds_bpermute_b32 v3, v6, v0
	s_wait_dscnt 0x0
	v_max_num_f32_e32 v3, v3, v3
	s_delay_alu instid0(VALU_DEP_1) | instskip(SKIP_3) | instid1(VALU_DEP_1)
	v_max_num_f32_e32 v0, v0, v3
	ds_bpermute_b32 v3, v7, v0
	s_wait_dscnt 0x0
	v_max_num_f32_e32 v3, v3, v3
	v_max_num_f32_e32 v0, v0, v3
	ds_bpermute_b32 v3, v8, v0
	s_wait_dscnt 0x0
	v_max_num_f32_e32 v3, v3, v3
	s_delay_alu instid0(VALU_DEP_1) | instskip(NEXT) | instid1(VALU_DEP_1)
	v_dual_max_num_f32 v33, v0, v3 :: v_dual_sub_f32 v0, v2, v32
	v_dual_sub_f32 v1, v1, v33 :: v_dual_mul_f32 v2, 0x3fb8aa3b, v0
	v_cmp_ngt_f32_e32 vcc_lo, 0xc2ce8ed0, v0
	s_delay_alu instid0(VALU_DEP_2) | instskip(NEXT) | instid1(VALU_DEP_3)
	v_mul_f32_e32 v3, 0x3fb8aa3b, v1
	v_fma_f32 v4, 0x3fb8aa3b, v0, -v2
	v_rndne_f32_e32 v5, v2
	v_cmp_nlt_f32_e64 s4, 0x42b17218, v1
	s_delay_alu instid0(VALU_DEP_4) | instskip(SKIP_3) | instid1(VALU_DEP_3)
	v_fma_f32 v6, 0x3fb8aa3b, v1, -v3
	v_rndne_f32_e32 v7, v3
	v_fmac_f32_e32 v4, 0x32a5705f, v0
	v_sub_f32_e32 v2, v2, v5
	v_dual_fmac_f32 v6, 0x32a5705f, v1 :: v_dual_sub_f32 v3, v3, v7
	s_delay_alu instid0(VALU_DEP_2) | instskip(SKIP_2) | instid1(VALU_DEP_4)
	v_add_f32_e32 v2, v2, v4
	v_cvt_i32_f32_e32 v4, v5
	v_cvt_i32_f32_e32 v5, v7
	v_add_f32_e32 v3, v3, v6
	s_delay_alu instid0(VALU_DEP_4) | instskip(NEXT) | instid1(VALU_DEP_1)
	v_exp_f32_e32 v2, v2
	v_exp_f32_e32 v3, v3
	s_delay_alu instid0(TRANS32_DEP_2) | instskip(NEXT) | instid1(TRANS32_DEP_1)
	v_ldexp_f32 v2, v2, v4
	v_ldexp_f32 v3, v3, v5
	s_wait_alu 0xfffd
	s_delay_alu instid0(VALU_DEP_2)
	v_cndmask_b32_e32 v2, 0, v2, vcc_lo
	v_cmp_ngt_f32_e32 vcc_lo, 0xc2ce8ed0, v1
	s_wait_alu 0xfffd
	v_cndmask_b32_e32 v3, 0, v3, vcc_lo
	v_cmp_nlt_f32_e32 vcc_lo, 0x42b17218, v0
	v_mul_lo_u32 v0, s26, v38
	s_wait_alu 0xf1ff
	s_delay_alu instid0(VALU_DEP_3)
	v_cndmask_b32_e64 v1, 0x7f800000, v3, s4
	s_wait_alu 0xfffd
	v_cndmask_b32_e32 v2, 0x7f800000, v2, vcc_lo
	v_cmp_gt_u32_e32 vcc_lo, s31, v59
	v_mul_u32_u24_e32 v3, 0xc0, v38
	v_cmp_gt_u32_e64 s4, 16, v38
	s_wait_alu 0xfffd
	v_dual_cndmask_b32 v46, 0, v2 :: v_dual_cndmask_b32 v47, 0, v1
	v_ashrrev_i32_e32 v1, 31, v0
	v_lshl_or_b32 v3, v75, 2, v3
	v_add_nc_u32_e32 v2, v66, v48
	s_delay_alu instid0(VALU_DEP_4) | instskip(SKIP_3) | instid1(VALU_DEP_3)
	v_cvt_f16_f32_e32 v4, v46
	v_cvt_f16_f32_e32 v5, v47
	v_lshlrev_b64_e32 v[36:37], 2, v[0:1]
	v_add_nc_u32_e32 v54, 0x80, v3
	v_pack_b32_f16 v4, v4, v5
	ds_store_b32 v2, v4
	s_and_saveexec_b32 s6, s4
	s_cbranch_execz .LBB59_59
; %bb.58:
	s_wait_alu 0xfffe
	v_add_co_u32 v0, vcc_lo, s8, v36
	s_wait_alu 0xfffd
	v_add_co_ci_u32_e64 v1, null, s9, v37, vcc_lo
	s_delay_alu instid0(VALU_DEP_2) | instskip(SKIP_1) | instid1(VALU_DEP_2)
	v_add_co_u32 v2, vcc_lo, v0, v39
	s_wait_alu 0xfffd
	v_add_co_ci_u32_e64 v1, null, 0, v1, vcc_lo
	v_mov_b32_e32 v0, 0
	s_delay_alu instid0(VALU_DEP_3) | instskip(SKIP_1) | instid1(VALU_DEP_3)
	v_add_co_u32 v3, vcc_lo, 0x80, v2
	s_wait_alu 0xfffd
	v_add_co_ci_u32_e64 v4, null, 0, v1, vcc_lo
	s_delay_alu instid0(VALU_DEP_3) | instskip(NEXT) | instid1(VALU_DEP_3)
	v_dual_mov_b32 v1, v0 :: v_dual_mov_b32 v2, v0
	v_cndmask_b32_e64 v3, 0, v3, s3
	s_delay_alu instid0(VALU_DEP_3)
	v_cndmask_b32_e64 v4, s5, v4, s3
	s_clause 0x1
	scratch_store_b32 off, v0, off
	scratch_store_b96 off, v[0:2], off offset:4
	flat_load_b128 v[0:3], v[3:4]
	s_wait_loadcnt_dscnt 0x0
	ds_store_b128 v54, v[0:3]
.LBB59_59:
	s_wait_alu 0xfffe
	s_or_b32 exec_lo, exec_lo, s6
	v_lshl_add_u32 v51, v70, 2, v73
	v_lshlrev_b32_e32 v53, 2, v74
	s_mov_b64 s[6:7], src_private_base
	s_delay_alu instid0(VALU_DEP_2) | instskip(SKIP_1) | instid1(VALU_DEP_3)
	v_mul_lo_u32 v0, s26, v51
	v_cmp_gt_u32_e32 vcc_lo, 16, v51
	v_mad_u32_u24 v52, 0xc0, v51, v53
	s_delay_alu instid0(VALU_DEP_3) | instskip(NEXT) | instid1(VALU_DEP_1)
	v_ashrrev_i32_e32 v1, 31, v0
	v_lshlrev_b64_e32 v[34:35], 2, v[0:1]
	s_and_saveexec_b32 s6, vcc_lo
	s_cbranch_execz .LBB59_61
; %bb.60:
	s_delay_alu instid0(VALU_DEP_1) | instskip(SKIP_1) | instid1(VALU_DEP_2)
	v_add_co_u32 v1, s3, s8, v34
	s_wait_alu 0xf1ff
	v_add_co_ci_u32_e64 v2, null, s9, v35, s3
	v_mov_b32_e32 v0, 0
	s_delay_alu instid0(VALU_DEP_3) | instskip(SKIP_1) | instid1(VALU_DEP_3)
	v_add_co_u32 v3, s3, v1, v53
	s_wait_alu 0xf1ff
	v_add_co_ci_u32_e64 v4, null, 0, v2, s3
	v_cmp_gt_i32_e64 s3, s31, v51
	v_dual_mov_b32 v1, v0 :: v_dual_mov_b32 v2, v0
	s_clause 0x1
	scratch_store_b32 off, v0, off
	scratch_store_b96 off, v[0:2], off offset:4
	s_wait_alu 0xf1fe
	v_cndmask_b32_e64 v4, s7, v4, s3
	v_cndmask_b32_e64 v3, 0, v3, s3
	flat_load_b128 v[0:3], v[3:4]
	s_wait_loadcnt_dscnt 0x0
	ds_store_b128 v52, v[0:3]
.LBB59_61:
	s_wait_alu 0xfffe
	s_or_b32 exec_lo, exec_lo, s6
	v_dual_sub_f32 v24, v49, v32 :: v_dual_sub_f32 v25, v50, v33
	s_wait_storecnt 0x0
	s_wait_loadcnt_dscnt 0x0
	s_barrier_signal -1
	s_barrier_wait -1
	v_dual_mul_f32 v0, 0x3fb8aa3b, v24 :: v_dual_mul_f32 v1, 0x3fb8aa3b, v25
	global_inv scope:SCOPE_SE
	ds_load_b128 v[8:11], v66
	ds_load_b128 v[20:23], v66 offset:16
	v_fma_f32 v2, 0x3fb8aa3b, v24, -v0
	v_rndne_f32_e32 v26, v0
	v_fma_f32 v3, 0x3fb8aa3b, v25, -v1
	v_rndne_f32_e32 v27, v1
	v_cmp_ngt_f32_e64 s3, 0xc2ce8ed0, v24
	v_fmac_f32_e32 v2, 0x32a5705f, v24
	s_delay_alu instid0(VALU_DEP_4) | instskip(NEXT) | instid1(VALU_DEP_4)
	v_dual_sub_f32 v0, v0, v26 :: v_dual_fmac_f32 v3, 0x32a5705f, v25
	v_sub_f32_e32 v1, v1, v27
	v_cvt_i32_f32_e32 v26, v26
	v_cvt_i32_f32_e32 v27, v27
	s_delay_alu instid0(VALU_DEP_4)
	v_add_f32_e32 v0, v0, v2
	ds_load_2addr_b64 v[12:15], v64 offset1:24
	v_add_f32_e32 v1, v1, v3
	ds_load_b128 v[85:88], v66 offset:32
	ds_load_b128 v[89:92], v66 offset:48
	ds_load_2addr_b64 v[16:19], v64 offset0:48 offset1:72
	v_exp_f32_e32 v28, v0
	s_or_b32 s8, s36, 16
	v_exp_f32_e32 v29, v1
	s_wait_dscnt 0x5
	v_lshrrev_b32_e32 v55, 16, v8
	v_and_b32_e32 v57, 0xffff, v8
	v_lshrrev_b32_e32 v56, 16, v9
	v_and_b32_e32 v70, 0xffff, v9
	ds_load_2addr_b64 v[4:7], v64 offset0:96 offset1:120
	ds_load_2addr_b64 v[0:3], v64 offset0:144 offset1:168
	v_lshrrev_b32_e32 v58, 16, v10
	v_and_b32_e32 v72, 0xffff, v10
	v_ldexp_f32 v8, v28, v26
	v_lshrrev_b32_e32 v73, 16, v11
	v_ldexp_f32 v9, v29, v27
	v_and_b32_e32 v75, 0xffff, v11
	s_wait_dscnt 0x6
	v_lshrrev_b32_e32 v74, 16, v20
	v_cndmask_b32_e64 v8, 0, v8, s3
	v_cmp_ngt_f32_e64 s3, 0xc2ce8ed0, v25
	v_and_b32_e32 v79, 0xffff, v20
	v_lshrrev_b32_e32 v78, 16, v21
	v_and_b32_e32 v80, 0xffff, v21
	v_lshrrev_b32_e32 v81, 16, v22
	s_wait_alu 0xf1ff
	v_cndmask_b32_e64 v9, 0, v9, s3
	v_cmp_nlt_f32_e64 s3, 0x42b17218, v24
	v_and_b32_e32 v82, 0xffff, v22
	v_lshrrev_b32_e32 v98, 16, v23
	v_and_b32_e32 v99, 0xffff, v23
	ds_load_2addr_b64 v[20:23], v64 offset0:192 offset1:216
	s_wait_alu 0xf1ff
	v_cndmask_b32_e64 v50, 0x7f800000, v8, s3
	v_cmp_nlt_f32_e64 s3, 0x42b17218, v25
	s_wait_alu 0xfffe
	s_ashr_i32 s9, s8, 31
	s_wait_dscnt 0x5
	v_lshrrev_b32_e32 v100, 16, v85
	s_wait_alu 0xfffe
	s_mul_u64 s[8:9], s[8:9], s[26:27]
	v_cvt_f16_f32_e32 v8, v50
	v_cndmask_b32_e64 v49, 0x7f800000, v9, s3
	v_and_b32_e32 v102, 0xffff, v85
	v_lshrrev_b32_e32 v101, 16, v86
	v_and_b32_e32 v103, 0xffff, v86
	v_and_b32_e32 v83, 0xffff, v8
	v_cvt_f16_f32_e32 v9, v49
	v_add_nc_u32_e32 v8, 0x400, v64
	v_lshrrev_b32_e32 v104, 16, v87
	v_and_b32_e32 v106, 0xffff, v87
	v_lshrrev_b32_e32 v105, 16, v88
	v_and_b32_e32 v84, 0xffff, v9
	v_add_nc_u32_e32 v9, 0x800, v64
	ds_load_2addr_b64 v[28:31], v8 offset0:112 offset1:136
	ds_load_2addr_b64 v[24:27], v9 offset0:32 offset1:56
	;; [unrolled: 1-line block ×3, first 2 shown]
	v_and_b32_e32 v109, 0xffff, v88
	s_wait_dscnt 0x7
	v_lshrrev_b32_e32 v107, 16, v89
	v_and_b32_e32 v110, 0xffff, v89
	v_lshrrev_b32_e32 v108, 16, v90
	v_and_b32_e32 v111, 0xffff, v90
	;; [unrolled: 2-line block ×4, first 2 shown]
	s_wait_alu 0xfffe
	s_lshl_b64 s[8:9], s[8:9], 2
	s_add_co_i32 s31, s31, -16
	s_wait_alu 0xfffe
	s_add_nc_u64 s[8:9], s[24:25], s[8:9]
	s_wait_loadcnt_dscnt 0x0
	s_barrier_signal -1
	s_barrier_wait -1
	global_inv scope:SCOPE_SE
	s_and_saveexec_b32 s6, s4
	s_cbranch_execz .LBB59_63
; %bb.62:
	s_wait_alu 0xfffe
	v_add_co_u32 v36, s3, s8, v36
	s_wait_alu 0xf1ff
	v_add_co_ci_u32_e64 v37, null, s9, v37, s3
	s_delay_alu instid0(VALU_DEP_2) | instskip(SKIP_1) | instid1(VALU_DEP_2)
	v_add_co_u32 v39, s3, v36, v39
	s_wait_alu 0xf1ff
	v_add_co_ci_u32_e64 v37, null, 0, v37, s3
	v_mov_b32_e32 v36, 0
	s_delay_alu instid0(VALU_DEP_3) | instskip(SKIP_1) | instid1(VALU_DEP_3)
	v_add_co_u32 v39, s3, 0x80, v39
	s_wait_alu 0xf1ff
	v_add_co_ci_u32_e64 v85, null, 0, v37, s3
	v_cmp_gt_i32_e64 s3, s31, v38
	v_dual_mov_b32 v37, v36 :: v_dual_mov_b32 v38, v36
	s_clause 0x1
	scratch_store_b32 off, v36, off
	scratch_store_b96 off, v[36:38], off offset:4
	s_wait_alu 0xf1ff
	v_cndmask_b32_e64 v86, s5, v85, s3
	v_cndmask_b32_e64 v85, 0, v39, s3
	flat_load_b128 v[36:39], v[85:86]
	s_wait_loadcnt_dscnt 0x0
	ds_store_b128 v54, v[36:39]
.LBB59_63:
	s_wait_alu 0xfffe
	s_or_b32 exec_lo, exec_lo, s6
	v_mul_u32_u24_e32 v97, 0x10001, v83
	v_mul_u32_u24_e32 v94, 0x10001, v84
	;; [unrolled: 1-line block ×34, first 2 shown]
	s_and_saveexec_b32 s3, vcc_lo
	s_cbranch_execz .LBB59_65
; %bb.64:
	v_add_co_u32 v34, vcc_lo, s8, v34
	s_wait_alu 0xfffd
	v_add_co_ci_u32_e64 v35, null, s9, v35, vcc_lo
	s_delay_alu instid0(VALU_DEP_2) | instskip(SKIP_1) | instid1(VALU_DEP_2)
	v_add_co_u32 v34, vcc_lo, v34, v53
	s_wait_alu 0xfffd
	v_add_co_ci_u32_e64 v35, null, 0, v35, vcc_lo
	v_cmp_gt_i32_e32 vcc_lo, s31, v51
	s_wait_alu 0xfffd
	s_delay_alu instid0(VALU_DEP_2) | instskip(NEXT) | instid1(VALU_DEP_1)
	v_dual_mov_b32 v98, 0 :: v_dual_cndmask_b32 v35, s7, v35
	v_dual_mov_b32 v99, v98 :: v_dual_mov_b32 v100, v98
	v_cndmask_b32_e32 v34, 0, v34, vcc_lo
	s_clause 0x1
	scratch_store_b32 off, v98, off
	scratch_store_b96 off, v[98:100], off offset:4
	flat_load_b128 v[98:101], v[34:35]
	s_wait_loadcnt_dscnt 0x0
	ds_store_b128 v52, v[98:101]
.LBB59_65:
	s_wait_alu 0xfffe
	s_or_b32 exec_lo, exec_lo, s3
	v_pk_mul_f16 v34, v12, v95
	v_pk_mul_f16 v35, v71, v97
	;; [unrolled: 1-line block ×4, first 2 shown]
	s_wait_storecnt 0x0
	s_wait_loadcnt_dscnt 0x0
	v_pk_fma_f16 v34, v69, v97, v34
	v_pk_fma_f16 v35, v13, v95, v35
	;; [unrolled: 1-line block ×4, first 2 shown]
	s_barrier_signal -1
	v_pk_fma_f16 v34, v14, v92, v34
	s_barrier_wait -1
	v_pk_fma_f16 v12, v14, v93, v12
	v_pk_fma_f16 v14, v15, v92, v35
	v_pk_fma_f16 v13, v15, v93, v13
	v_pk_fma_f16 v15, v16, v90, v34
	global_inv scope:SCOPE_SE
	v_pk_fma_f16 v16, v16, v91, v12
	v_pk_fma_f16 v34, v17, v90, v14
	;; [unrolled: 1-line block ×4, first 2 shown]
	ds_load_2addr_b64 v[12:15], v64 offset1:24
	v_pk_fma_f16 v51, v18, v89, v16
	v_pk_fma_f16 v34, v19, v88, v34
	v_pk_fma_f16 v52, v19, v89, v17
	v_pk_fma_f16 v35, v4, v86, v35
	ds_load_b128 v[16:19], v66 offset:64
	v_pk_fma_f16 v4, v4, v87, v51
	v_pk_fma_f16 v34, v5, v86, v34
	v_pk_fma_f16 v5, v5, v87, v52
	v_pk_fma_f16 v35, v6, v84, v35
	ds_load_b128 v[86:89], v66 offset:80
	;; [unrolled: 5-line block ×3, first 2 shown]
	v_pk_fma_f16 v0, v0, v83, v51
	v_pk_fma_f16 v34, v1, v82, v34
	;; [unrolled: 1-line block ×4, first 2 shown]
	v_fmac_f32_e32 v47, v76, v49
	v_pk_fma_f16 v0, v2, v81, v0
	v_pk_fma_f16 v2, v3, v80, v34
	;; [unrolled: 1-line block ×4, first 2 shown]
	s_wait_dscnt 0x2
	v_lshrrev_b32_e32 v34, 16, v16
	v_pk_fma_f16 v0, v20, v79, v0
	v_pk_fma_f16 v2, v21, v78, v2
	v_pk_fma_f16 v1, v21, v79, v1
	v_pk_fma_f16 v3, v22, v74, v3
	v_and_b32_e32 v16, 0xffff, v16
	v_pk_fma_f16 v0, v22, v75, v0
	v_pk_fma_f16 v2, v23, v74, v2
	v_pk_fma_f16 v1, v23, v75, v1
	v_pk_fma_f16 v3, v28, v72, v3
	v_lshrrev_b32_e32 v20, 16, v17
	v_pk_fma_f16 v0, v28, v73, v0
	v_pk_fma_f16 v2, v29, v72, v2
	v_pk_fma_f16 v1, v29, v73, v1
	v_pk_fma_f16 v3, v30, v58, v3
	v_dual_fmac_f32 v46, v77, v50 :: v_dual_and_b32 v17, 0xffff, v17
	v_pk_fma_f16 v0, v30, v70, v0
	v_pk_fma_f16 v2, v31, v58, v2
	;; [unrolled: 1-line block ×4, first 2 shown]
	v_mul_u32_u24_e32 v16, 0x10001, v16
	v_pk_fma_f16 v0, v24, v57, v0
	v_pk_fma_f16 v2, v25, v56, v2
	;; [unrolled: 1-line block ×4, first 2 shown]
	ds_load_2addr_b64 v[82:85], v64 offset0:48 offset1:72
	v_pk_fma_f16 v0, v26, v55, v0
	v_pk_fma_f16 v2, v27, v54, v2
	v_pk_fma_f16 v1, v27, v55, v1
	v_pk_fma_f16 v3, v8, v38, v3
	v_mul_u32_u24_e32 v22, 0x10001, v34
	v_pk_fma_f16 v0, v8, v39, v0
	v_pk_fma_f16 v2, v9, v38, v2
	v_pk_fma_f16 v1, v9, v39, v1
	v_pk_fma_f16 v3, v10, v36, v3
	v_mul_u32_u24_e32 v8, 0x10001, v17
	;; [unrolled: 5-line block ×3, first 2 shown]
	v_pk_fma_f16 v0, v12, v22, v0
	v_pk_fma_f16 v2, v13, v16, v2
	;; [unrolled: 1-line block ×4, first 2 shown]
	v_lshrrev_b32_e32 v3, 16, v18
	v_dual_mov_b32 v76, v47 :: v_dual_and_b32 v21, 0xffff, v18
	v_pk_fma_f16 v11, v14, v9, v0
	v_pk_fma_f16 v8, v15, v8, v2
	;; [unrolled: 1-line block ×3, first 2 shown]
	v_mul_u32_u24_e32 v13, 0x10001, v3
	ds_load_2addr_b64 v[0:3], v64 offset0:96 offset1:120
	v_mul_u32_u24_e32 v12, 0x10001, v21
	v_dual_mov_b32 v77, v46 :: v_dual_and_b32 v14, 0xffff, v19
	v_lshrrev_b32_e32 v15, 16, v19
	s_wait_dscnt 0x1
	v_pk_fma_f16 v11, v82, v13, v11
	v_pk_fma_f16 v10, v82, v12, v10
	;; [unrolled: 1-line block ×3, first 2 shown]
	v_mul_u32_u24_e32 v12, 0x10001, v14
	v_mul_u32_u24_e32 v14, 0x10001, v15
	v_pk_fma_f16 v13, v83, v13, v9
	v_dual_mov_b32 v50, v33 :: v_dual_and_b32 v9, 0xffff, v86
	v_lshrrev_b32_e32 v15, 16, v86
	v_pk_fma_f16 v16, v84, v12, v10
	v_pk_fma_f16 v17, v84, v14, v11
	;; [unrolled: 1-line block ×3, first 2 shown]
	v_mul_u32_u24_e32 v18, 0x10001, v9
	v_and_b32_e32 v19, 0xffff, v87
	ds_load_2addr_b64 v[8:11], v64 offset0:144 offset1:168
	v_mul_u32_u24_e32 v15, 0x10001, v15
	v_pk_fma_f16 v13, v85, v14, v13
	v_lshrrev_b32_e32 v14, 16, v87
	s_wait_dscnt 0x1
	v_pk_fma_f16 v16, v0, v18, v16
	v_mul_u32_u24_e32 v19, 0x10001, v19
	v_pk_fma_f16 v0, v0, v15, v17
	v_pk_fma_f16 v12, v1, v18, v12
	v_mul_u32_u24_e32 v14, 0x10001, v14
	v_pk_fma_f16 v1, v1, v15, v13
	v_pk_fma_f16 v13, v2, v19, v16
	v_and_b32_e32 v15, 0xffff, v88
	v_lshrrev_b32_e32 v16, 16, v88
	v_pk_fma_f16 v17, v2, v14, v0
	v_pk_fma_f16 v18, v3, v19, v12
	;; [unrolled: 1-line block ×3, first 2 shown]
	v_mul_u32_u24_e32 v20, 0x10001, v15
	v_mul_u32_u24_e32 v16, 0x10001, v16
	v_dual_mov_b32 v49, v32 :: v_dual_and_b32 v12, 0xffff, v89
	v_lshrrev_b32_e32 v14, 16, v89
	ds_load_2addr_b64 v[0:3], v64 offset0:192 offset1:216
	s_wait_dscnt 0x1
	v_pk_fma_f16 v21, v8, v20, v13
	v_pk_fma_f16 v8, v8, v16, v17
	v_mul_u32_u24_e32 v17, 0x10001, v12
	v_mul_u32_u24_e32 v22, 0x10001, v14
	v_pk_fma_f16 v18, v9, v20, v18
	v_pk_fma_f16 v9, v9, v16, v19
	ds_load_b128 v[12:15], v66 offset:112
	v_pk_fma_f16 v16, v10, v17, v21
	v_pk_fma_f16 v19, v10, v22, v8
	v_and_b32_e32 v8, 0xffff, v4
	v_lshrrev_b32_e32 v4, 16, v4
	v_pk_fma_f16 v17, v11, v17, v18
	v_pk_fma_f16 v18, v11, v22, v9
	v_add_nc_u32_e32 v9, 0x400, v64
	v_mul_u32_u24_e32 v20, 0x10001, v8
	v_mul_u32_u24_e32 v4, 0x10001, v4
	v_and_b32_e32 v21, 0xffff, v5
	v_lshrrev_b32_e32 v5, 16, v5
	ds_load_2addr_b64 v[8:11], v9 offset0:112 offset1:136
	s_wait_dscnt 0x2
	v_pk_fma_f16 v16, v0, v20, v16
	v_pk_fma_f16 v0, v0, v4, v19
	v_mul_u32_u24_e32 v19, 0x10001, v21
	v_mul_u32_u24_e32 v5, 0x10001, v5
	v_pk_fma_f16 v17, v1, v20, v17
	v_pk_fma_f16 v1, v1, v4, v18
	v_and_b32_e32 v20, 0xffff, v7
	v_pk_fma_f16 v4, v2, v19, v16
	v_pk_fma_f16 v16, v2, v5, v0
	v_and_b32_e32 v0, 0xffff, v6
	v_lshrrev_b32_e32 v2, 16, v6
	v_add_nc_u32_e32 v6, 0x800, v64
	v_pk_fma_f16 v17, v3, v19, v17
	v_pk_fma_f16 v5, v3, v5, v1
	v_mul_u32_u24_e32 v18, 0x10001, v0
	v_mul_u32_u24_e32 v19, 0x10001, v2
	ds_load_2addr_b64 v[0:3], v6 offset0:32 offset1:56
	v_lshrrev_b32_e32 v7, 16, v7
	s_wait_dscnt 0x1
	v_pk_fma_f16 v4, v8, v18, v4
	v_pk_fma_f16 v8, v8, v19, v16
	v_pk_fma_f16 v16, v9, v18, v17
	v_mul_u32_u24_e32 v17, 0x10001, v20
	v_mul_u32_u24_e32 v18, 0x10001, v7
	v_pk_fma_f16 v9, v9, v19, v5
	v_and_b32_e32 v5, 0xffff, v12
	v_lshrrev_b32_e32 v7, 16, v12
	v_pk_fma_f16 v12, v10, v17, v4
	v_pk_fma_f16 v8, v10, v18, v8
	;; [unrolled: 1-line block ×3, first 2 shown]
	v_mul_u32_u24_e32 v16, 0x10001, v5
	v_mul_u32_u24_e32 v17, 0x10001, v7
	ds_load_2addr_b64 v[4:7], v6 offset0:80 offset1:104
	v_pk_fma_f16 v9, v11, v18, v9
	v_and_b32_e32 v11, 0xffff, v13
	v_lshrrev_b32_e32 v13, 16, v13
	s_wait_dscnt 0x1
	v_pk_fma_f16 v12, v0, v16, v12
	v_pk_fma_f16 v0, v0, v17, v8
	;; [unrolled: 1-line block ×3, first 2 shown]
	v_mul_u32_u24_e32 v10, 0x10001, v11
	v_mul_u32_u24_e32 v11, 0x10001, v13
	v_pk_fma_f16 v1, v1, v17, v9
	v_and_b32_e32 v9, 0xffff, v14
	v_lshrrev_b32_e32 v13, 16, v14
	v_pk_fma_f16 v12, v2, v10, v12
	v_pk_fma_f16 v0, v2, v11, v0
	;; [unrolled: 1-line block ×3, first 2 shown]
	v_mul_u32_u24_e32 v8, 0x10001, v9
	v_mul_u32_u24_e32 v9, 0x10001, v13
	v_and_b32_e32 v10, 0xffff, v15
	v_lshrrev_b32_e32 v13, 16, v15
	v_pk_fma_f16 v1, v3, v11, v1
	s_wait_dscnt 0x0
	v_pk_fma_f16 v3, v4, v8, v12
	v_pk_fma_f16 v0, v4, v9, v0
	v_mul_u32_u24_e32 v4, 0x10001, v10
	v_mul_u32_u24_e32 v10, 0x10001, v13
	v_pk_fma_f16 v2, v5, v8, v2
	v_pk_fma_f16 v1, v5, v9, v1
	s_wait_loadcnt 0x0
	v_pk_fma_f16 v69, v6, v4, v3
	v_pk_fma_f16 v67, v6, v10, v0
	;; [unrolled: 1-line block ×4, first 2 shown]
	s_barrier_signal -1
	s_barrier_wait -1
	global_inv scope:SCOPE_SE
.LBB59_66:
	v_cmp_lt_i32_e32 vcc_lo, v41, v44
	s_cmp_eq_u64 s[12:13], 0
	s_cselect_b32 s3, -1, 0
	s_cmp_lg_u32 s14, 0
	s_wait_alu 0xfffd
	v_cndmask_b32_e32 v0, v65, v41, vcc_lo
	v_cmp_lt_i32_e32 vcc_lo, v40, v44
	s_cselect_b32 s4, -1, 0
	s_wait_alu 0xfffe
	s_or_b32 s3, s4, s3
	v_lshlrev_b32_e32 v0, 2, v0
	s_wait_alu 0xfffd
	v_cndmask_b32_e32 v2, v65, v40, vcc_lo
	v_cmp_lt_i32_e32 vcc_lo, v42, v44
	ds_bpermute_b32 v1, v0, v77
	s_wait_alu 0xfffd
	v_cndmask_b32_e32 v4, v65, v42, vcc_lo
	v_cmp_lt_i32_e32 vcc_lo, v43, v44
	s_wait_dscnt 0x0
	s_delay_alu instid0(VALU_DEP_2)
	v_dual_add_f32 v1, v77, v1 :: v_dual_lshlrev_b32 v4, 2, v4
	v_lshlrev_b32_e32 v2, 2, v2
	ds_bpermute_b32 v0, v0, v76
	ds_bpermute_b32 v3, v2, v1
	s_wait_dscnt 0x0
	v_dual_add_f32 v1, v1, v3 :: v_dual_add_f32 v0, v76, v0
	ds_bpermute_b32 v2, v2, v0
	s_wait_dscnt 0x0
	v_add_f32_e32 v0, v0, v2
	ds_bpermute_b32 v2, v4, v1
	ds_bpermute_b32 v3, v4, v0
	s_wait_alu 0xfffd
	v_cndmask_b32_e32 v4, v65, v43, vcc_lo
	v_cmp_lt_i32_e32 vcc_lo, v45, v44
	s_wait_dscnt 0x1
	s_delay_alu instid0(VALU_DEP_2)
	v_dual_add_f32 v1, v1, v2 :: v_dual_lshlrev_b32 v4, 2, v4
	s_wait_dscnt 0x0
	v_add_f32_e32 v0, v0, v3
	ds_bpermute_b32 v2, v4, v1
	ds_bpermute_b32 v3, v4, v0
	s_wait_alu 0xfffd
	v_cndmask_b32_e32 v4, v65, v45, vcc_lo
	s_wait_alu 0xfffe
	s_and_b32 vcc_lo, exec_lo, s3
	s_wait_dscnt 0x1
	s_delay_alu instid0(VALU_DEP_1)
	v_dual_add_f32 v1, v1, v2 :: v_dual_lshlrev_b32 v4, 2, v4
	s_wait_dscnt 0x0
	v_add_f32_e32 v2, v0, v3
	ds_bpermute_b32 v0, v4, v1
	ds_bpermute_b32 v3, v4, v2
	s_wait_dscnt 0x0
	v_dual_add_f32 v0, v1, v0 :: v_dual_add_f32 v1, v2, v3
	s_wait_alu 0xfffe
	s_cbranch_vccnz .LBB59_69
; %bb.67:
	v_dual_mov_b32 v2, 0 :: v_dual_max_num_f32 v3, v49, v49
	s_lshl_b64 s[4:5], s[28:29], 2
	s_wait_alu 0xfffe
	s_add_nc_u64 s[4:5], s[12:13], s[4:5]
	global_load_b32 v2, v2, s[4:5]
	s_wait_loadcnt 0x0
	v_max_num_f32_e32 v5, v2, v2
	s_delay_alu instid0(VALU_DEP_1) | instskip(NEXT) | instid1(VALU_DEP_1)
	v_max_num_f32_e32 v4, v3, v5
	v_dual_max_num_f32 v6, v50, v50 :: v_dual_sub_f32 v3, v49, v4
	s_delay_alu instid0(VALU_DEP_1) | instskip(SKIP_1) | instid1(VALU_DEP_3)
	v_max_num_f32_e32 v5, v6, v5
	v_sub_f32_e32 v6, v2, v4
	v_cmp_ngt_f32_e32 vcc_lo, 0xc2ce8ed0, v3
	s_delay_alu instid0(VALU_DEP_3) | instskip(NEXT) | instid1(VALU_DEP_1)
	v_sub_f32_e32 v7, v50, v5
	v_dual_mul_f32 v9, 0x3fb8aa3b, v6 :: v_dual_mul_f32 v10, 0x3fb8aa3b, v7
	v_sub_f32_e32 v8, v2, v5
	v_mul_f32_e32 v2, 0x3fb8aa3b, v3
	s_delay_alu instid0(VALU_DEP_3)
	v_fma_f32 v14, 0x3fb8aa3b, v6, -v9
	v_rndne_f32_e32 v15, v9
	v_rndne_f32_e32 v17, v10
	v_mov_b32_e32 v50, v5
	v_fma_f32 v12, 0x3fb8aa3b, v3, -v2
	v_rndne_f32_e32 v13, v2
	v_mul_f32_e32 v11, 0x3fb8aa3b, v8
	v_dual_sub_f32 v9, v9, v15 :: v_dual_fmac_f32 v14, 0x32a5705f, v6
	s_delay_alu instid0(VALU_DEP_4) | instskip(SKIP_4) | instid1(VALU_DEP_4)
	v_fmac_f32_e32 v12, 0x32a5705f, v3
	v_fma_f32 v16, 0x3fb8aa3b, v7, -v10
	v_sub_f32_e32 v2, v2, v13
	v_fma_f32 v18, 0x3fb8aa3b, v8, -v11
	v_rndne_f32_e32 v19, v11
	v_dual_add_f32 v9, v9, v14 :: v_dual_fmac_f32 v16, 0x32a5705f, v7
	s_delay_alu instid0(VALU_DEP_4) | instskip(SKIP_1) | instid1(VALU_DEP_4)
	v_add_f32_e32 v2, v2, v12
	v_cvt_i32_f32_e32 v12, v13
	v_dual_sub_f32 v11, v11, v19 :: v_dual_fmac_f32 v18, 0x32a5705f, v8
	v_sub_f32_e32 v10, v10, v17
	s_delay_alu instid0(VALU_DEP_4) | instskip(SKIP_2) | instid1(VALU_DEP_2)
	v_exp_f32_e32 v2, v2
	v_exp_f32_e32 v9, v9
	v_cvt_i32_f32_e32 v14, v17
	v_dual_add_f32 v11, v11, v18 :: v_dual_add_f32 v10, v10, v16
	v_cvt_i32_f32_e32 v13, v15
	v_cvt_i32_f32_e32 v15, v19
	v_mov_b32_e32 v49, v4
	s_delay_alu instid0(VALU_DEP_4) | instskip(SKIP_2) | instid1(TRANS32_DEP_3)
	v_exp_f32_e32 v11, v11
	v_exp_f32_e32 v10, v10
	v_ldexp_f32 v2, v2, v12
	v_ldexp_f32 v9, v9, v13
	s_wait_alu 0xfffd
	s_delay_alu instid0(VALU_DEP_2) | instskip(SKIP_1) | instid1(TRANS32_DEP_2)
	v_cndmask_b32_e32 v2, 0, v2, vcc_lo
	v_cmp_ngt_f32_e32 vcc_lo, 0xc2ce8ed0, v7
	v_ldexp_f32 v11, v11, v15
	s_delay_alu instid0(TRANS32_DEP_1) | instskip(SKIP_1) | instid1(VALU_DEP_1)
	v_ldexp_f32 v10, v10, v14
	s_wait_alu 0xfffd
	v_cndmask_b32_e32 v10, 0, v10, vcc_lo
	v_cmp_ngt_f32_e32 vcc_lo, 0xc2ce8ed0, v6
	s_wait_alu 0xfffd
	v_cndmask_b32_e32 v9, 0, v9, vcc_lo
	v_cmp_nlt_f32_e32 vcc_lo, 0x42b17218, v3
	s_wait_alu 0xfffd
	v_cndmask_b32_e32 v12, 0x7f800000, v2, vcc_lo
	v_cmp_nlt_f32_e32 vcc_lo, 0x42b17218, v7
	s_wait_alu 0xfffd
	v_cndmask_b32_e32 v7, 0x7f800000, v10, vcc_lo
	v_cmp_ngt_f32_e32 vcc_lo, 0xc2ce8ed0, v8
	v_cvt_f16_f32_e32 v10, v12
	s_wait_alu 0xfffd
	v_cndmask_b32_e32 v3, 0, v11, vcc_lo
	v_cmp_nlt_f32_e32 vcc_lo, 0x42b17218, v6
	v_cvt_f16_f32_e32 v6, v7
	s_wait_alu 0xfffd
	v_cndmask_b32_e32 v2, 0x7f800000, v9, vcc_lo
	v_cmp_nlt_f32_e32 vcc_lo, 0x42b17218, v8
	v_and_b32_e32 v8, 0xffff, v10
	v_and_b32_e32 v6, 0xffff, v6
	s_wait_alu 0xfffd
	v_dual_fmac_f32 v2, v0, v12 :: v_dual_cndmask_b32 v3, 0x7f800000, v3
	s_delay_alu instid0(VALU_DEP_2) | instskip(NEXT) | instid1(VALU_DEP_2)
	v_mul_u32_u24_e32 v6, 0x10001, v6
	v_fmac_f32_e32 v3, v1, v7
	v_mul_u32_u24_e32 v7, 0x10001, v8
	s_delay_alu instid0(VALU_DEP_4) | instskip(NEXT) | instid1(VALU_DEP_4)
	v_mov_b32_e32 v0, v2
	v_pk_mul_f16 v67, v67, v6
	v_pk_mul_f16 v68, v68, v6
	v_mov_b32_e32 v1, v3
	v_pk_mul_f16 v69, v69, v7
	v_pk_mul_f16 v71, v71, v7
	s_mov_b32 s3, exec_lo
	v_cmpx_gt_i32_e64 s22, v63
	s_cbranch_execnz .LBB59_70
.LBB59_68:
	s_nop 0
	s_sendmsg sendmsg(MSG_DEALLOC_VGPRS)
	s_endpgm
.LBB59_69:
	s_delay_alu instid0(VALU_DEP_1)
	v_dual_mov_b32 v2, v0 :: v_dual_mov_b32 v3, v1
	s_mov_b32 s3, exec_lo
	v_cmpx_gt_i32_e64 s22, v63
	s_cbranch_execz .LBB59_68
.LBB59_70:
	s_load_b32 s0, s[0:1], 0xd4
	v_mov_b32_e32 v6, 1.0
	s_wait_kmcnt 0x0
	s_cmp_lg_u32 s0, 1
	s_cselect_b32 s4, -1, 0
	s_cmp_eq_u32 s0, 1
	s_cselect_b32 s1, -1, 0
	s_wait_alu 0xfffe
	s_and_b32 vcc_lo, exec_lo, s4
	s_wait_alu 0xfffe
	s_cbranch_vccnz .LBB59_72
; %bb.71:
	v_div_scale_f32 v4, null, v2, v2, 1.0
	s_delay_alu instid0(VALU_DEP_1) | instskip(NEXT) | instid1(TRANS32_DEP_1)
	v_rcp_f32_e32 v5, v4
	v_fma_f32 v6, -v4, v5, 1.0
	s_delay_alu instid0(VALU_DEP_1) | instskip(SKIP_1) | instid1(VALU_DEP_1)
	v_fmac_f32_e32 v5, v6, v5
	v_div_scale_f32 v6, vcc_lo, 1.0, v2, 1.0
	v_mul_f32_e32 v7, v6, v5
	s_delay_alu instid0(VALU_DEP_1) | instskip(NEXT) | instid1(VALU_DEP_1)
	v_fma_f32 v8, -v4, v7, v6
	v_fmac_f32_e32 v7, v8, v5
	s_delay_alu instid0(VALU_DEP_1) | instskip(SKIP_1) | instid1(VALU_DEP_1)
	v_fma_f32 v4, -v4, v7, v6
	s_wait_alu 0xfffd
	v_div_fmas_f32 v4, v4, v5, v7
	s_delay_alu instid0(VALU_DEP_1)
	v_div_fixup_f32 v6, v4, v2, 1.0
.LBB59_72:
	s_mul_i32 s3, s30, s22
	s_wait_alu 0xfffe
	s_add_co_i32 s3, s3, s33
	s_wait_alu 0xfffe
	v_add_nc_u32_e32 v2, s3, v61
	s_delay_alu instid0(VALU_DEP_1) | instskip(NEXT) | instid1(VALU_DEP_1)
	v_mad_co_u64_u32 v[4:5], null, v2, s23, s[28:29]
	v_mad_co_u64_u32 v[4:5], null, s0, v4, s[14:15]
	s_and_saveexec_b32 s5, s2
	s_cbranch_execz .LBB59_74
; %bb.73:
	v_lshrrev_b32_e32 v2, 16, v71
	v_mad_co_u64_u32 v[7:8], null, 0x60, v4, v[48:49]
	v_lshrrev_b32_e32 v5, 16, v69
	v_cvt_f32_f16_e32 v12, v71
	s_delay_alu instid0(VALU_DEP_4) | instskip(SKIP_3) | instid1(VALU_DEP_4)
	v_cvt_f32_f16_e32 v2, v2
	v_mov_b32_e32 v8, 0
	v_cvt_f32_f16_e32 v13, v69
	v_cvt_f32_f16_e32 v5, v5
	v_mul_f32_e32 v9, v6, v2
	s_delay_alu instid0(VALU_DEP_4) | instskip(NEXT) | instid1(VALU_DEP_1)
	v_lshlrev_b64_e32 v[7:8], 2, v[7:8]
	v_add_co_u32 v10, vcc_lo, s16, v7
	s_wait_alu 0xfffd
	s_delay_alu instid0(VALU_DEP_2)
	v_add_co_ci_u32_e64 v11, null, s17, v8, vcc_lo
	v_mul_f32_e32 v8, v6, v12
	v_mul_f32_e32 v7, v6, v5
	;; [unrolled: 1-line block ×3, first 2 shown]
	global_store_b128 v[10:11], v[6:9], off
.LBB59_74:
	s_wait_alu 0xfffe
	s_or_b32 exec_lo, exec_lo, s5
	v_cmp_eq_u32_e32 vcc_lo, 0, v59
	s_and_b32 s4, vcc_lo, s4
	s_wait_alu 0xfffe
	s_and_saveexec_b32 s5, s4
	s_cbranch_execz .LBB59_76
; %bb.75:
	v_ashrrev_i32_e32 v5, 31, v4
	v_dual_mov_b32 v6, v49 :: v_dual_mov_b32 v7, v0
	s_delay_alu instid0(VALU_DEP_2) | instskip(NEXT) | instid1(VALU_DEP_1)
	v_lshlrev_b64_e32 v[4:5], 3, v[4:5]
	v_add_co_u32 v4, vcc_lo, s18, v4
	s_wait_alu 0xfffd
	s_delay_alu instid0(VALU_DEP_2)
	v_add_co_ci_u32_e64 v5, null, s19, v5, vcc_lo
	global_store_b64 v[4:5], v[6:7], off
.LBB59_76:
	s_wait_alu 0xfffe
	s_or_b32 exec_lo, exec_lo, s5
	v_cmp_gt_i32_e32 vcc_lo, s22, v62
	s_and_b32 exec_lo, exec_lo, vcc_lo
	s_cbranch_execz .LBB59_68
; %bb.77:
	v_mov_b32_e32 v0, 1.0
	s_and_not1_b32 vcc_lo, exec_lo, s1
	s_wait_alu 0xfffe
	s_cbranch_vccnz .LBB59_79
; %bb.78:
	v_div_scale_f32 v0, null, v3, v3, 1.0
	s_delay_alu instid0(VALU_DEP_1) | instskip(NEXT) | instid1(TRANS32_DEP_1)
	v_rcp_f32_e32 v2, v0
	v_fma_f32 v4, -v0, v2, 1.0
	s_delay_alu instid0(VALU_DEP_1) | instskip(SKIP_1) | instid1(VALU_DEP_1)
	v_fmac_f32_e32 v2, v4, v2
	v_div_scale_f32 v4, vcc_lo, 1.0, v3, 1.0
	v_mul_f32_e32 v5, v4, v2
	s_delay_alu instid0(VALU_DEP_1) | instskip(NEXT) | instid1(VALU_DEP_1)
	v_fma_f32 v6, -v0, v5, v4
	v_fmac_f32_e32 v5, v6, v2
	s_delay_alu instid0(VALU_DEP_1) | instskip(SKIP_1) | instid1(VALU_DEP_1)
	v_fma_f32 v0, -v0, v5, v4
	s_wait_alu 0xfffd
	v_div_fmas_f32 v0, v0, v2, v5
	s_delay_alu instid0(VALU_DEP_1)
	v_div_fixup_f32 v0, v0, v3, 1.0
.LBB59_79:
	v_add_nc_u32_e32 v2, s3, v60
	s_delay_alu instid0(VALU_DEP_1) | instskip(NEXT) | instid1(VALU_DEP_1)
	v_mad_co_u64_u32 v[2:3], null, v2, s23, s[28:29]
	v_mad_co_u64_u32 v[2:3], null, s0, v2, s[14:15]
	s_and_saveexec_b32 s0, s2
	s_cbranch_execz .LBB59_81
; %bb.80:
	v_lshrrev_b32_e32 v5, 16, v68
	v_mad_co_u64_u32 v[3:4], null, 0x60, v2, v[48:49]
	v_lshrrev_b32_e32 v6, 16, v67
	v_cvt_f32_f16_e32 v9, v68
	v_mov_b32_e32 v4, 0
	v_cvt_f32_f16_e32 v5, v5
	v_cvt_f32_f16_e32 v10, v67
	;; [unrolled: 1-line block ×3, first 2 shown]
	s_delay_alu instid0(VALU_DEP_3) | instskip(SKIP_2) | instid1(VALU_DEP_1)
	v_mul_f32_e32 v6, v0, v5
	v_mul_f32_e32 v5, v0, v9
	v_lshlrev_b64_e32 v[3:4], 2, v[3:4]
	v_add_co_u32 v7, vcc_lo, s16, v3
	s_wait_alu 0xfffd
	s_delay_alu instid0(VALU_DEP_2)
	v_add_co_ci_u32_e64 v8, null, s17, v4, vcc_lo
	v_mul_f32_e32 v4, v0, v11
	v_mul_f32_e32 v3, v0, v10
	global_store_b128 v[7:8], v[3:6], off
.LBB59_81:
	s_wait_alu 0xfffe
	s_or_b32 exec_lo, exec_lo, s0
	s_delay_alu instid0(SALU_CYCLE_1)
	s_and_b32 exec_lo, exec_lo, s4
	s_cbranch_execz .LBB59_68
; %bb.82:
	v_ashrrev_i32_e32 v3, 31, v2
	v_mov_b32_e32 v0, v50
	s_delay_alu instid0(VALU_DEP_2) | instskip(NEXT) | instid1(VALU_DEP_1)
	v_lshlrev_b64_e32 v[2:3], 3, v[2:3]
	v_add_co_u32 v2, vcc_lo, s18, v2
	s_wait_alu 0xfffd
	s_delay_alu instid0(VALU_DEP_2)
	v_add_co_ci_u32_e64 v3, null, s19, v3, vcc_lo
	global_store_b64 v[2:3], v[0:1], off
	s_nop 0
	s_sendmsg sendmsg(MSG_DEALLOC_VGPRS)
	s_endpgm
	.section	.rodata,"a",@progbits
	.p2align	6, 0x0
	.amdhsa_kernel _ZL15flash_attn_tileILi96ELi96ELi16ELi1ELb0EEvPKcS1_S1_S1_S1_PKiPfP15HIP_vector_typeIfLj2EEffffjfiS5_IjLj3EEiiiiiiiiiiiliiliiiiil
		.amdhsa_group_segment_fixed_size 7808
		.amdhsa_private_segment_fixed_size 32
		.amdhsa_kernarg_size 464
		.amdhsa_user_sgpr_count 2
		.amdhsa_user_sgpr_dispatch_ptr 0
		.amdhsa_user_sgpr_queue_ptr 0
		.amdhsa_user_sgpr_kernarg_segment_ptr 1
		.amdhsa_user_sgpr_dispatch_id 0
		.amdhsa_user_sgpr_private_segment_size 0
		.amdhsa_wavefront_size32 1
		.amdhsa_uses_dynamic_stack 0
		.amdhsa_enable_private_segment 1
		.amdhsa_system_sgpr_workgroup_id_x 1
		.amdhsa_system_sgpr_workgroup_id_y 1
		.amdhsa_system_sgpr_workgroup_id_z 1
		.amdhsa_system_sgpr_workgroup_info 0
		.amdhsa_system_vgpr_workitem_id 1
		.amdhsa_next_free_vgpr 116
		.amdhsa_next_free_sgpr 48
		.amdhsa_reserve_vcc 1
		.amdhsa_float_round_mode_32 0
		.amdhsa_float_round_mode_16_64 0
		.amdhsa_float_denorm_mode_32 3
		.amdhsa_float_denorm_mode_16_64 3
		.amdhsa_fp16_overflow 0
		.amdhsa_workgroup_processor_mode 1
		.amdhsa_memory_ordered 1
		.amdhsa_forward_progress 1
		.amdhsa_inst_pref_size 122
		.amdhsa_round_robin_scheduling 0
		.amdhsa_exception_fp_ieee_invalid_op 0
		.amdhsa_exception_fp_denorm_src 0
		.amdhsa_exception_fp_ieee_div_zero 0
		.amdhsa_exception_fp_ieee_overflow 0
		.amdhsa_exception_fp_ieee_underflow 0
		.amdhsa_exception_fp_ieee_inexact 0
		.amdhsa_exception_int_div_zero 0
	.end_amdhsa_kernel
	.section	.text._ZL15flash_attn_tileILi96ELi96ELi16ELi1ELb0EEvPKcS1_S1_S1_S1_PKiPfP15HIP_vector_typeIfLj2EEffffjfiS5_IjLj3EEiiiiiiiiiiiliiliiiiil,"axG",@progbits,_ZL15flash_attn_tileILi96ELi96ELi16ELi1ELb0EEvPKcS1_S1_S1_S1_PKiPfP15HIP_vector_typeIfLj2EEffffjfiS5_IjLj3EEiiiiiiiiiiiliiliiiiil,comdat
.Lfunc_end59:
	.size	_ZL15flash_attn_tileILi96ELi96ELi16ELi1ELb0EEvPKcS1_S1_S1_S1_PKiPfP15HIP_vector_typeIfLj2EEffffjfiS5_IjLj3EEiiiiiiiiiiiliiliiiiil, .Lfunc_end59-_ZL15flash_attn_tileILi96ELi96ELi16ELi1ELb0EEvPKcS1_S1_S1_S1_PKiPfP15HIP_vector_typeIfLj2EEffffjfiS5_IjLj3EEiiiiiiiiiiiliiliiiiil
                                        ; -- End function
	.set _ZL15flash_attn_tileILi96ELi96ELi16ELi1ELb0EEvPKcS1_S1_S1_S1_PKiPfP15HIP_vector_typeIfLj2EEffffjfiS5_IjLj3EEiiiiiiiiiiiliiliiiiil.num_vgpr, 116
	.set _ZL15flash_attn_tileILi96ELi96ELi16ELi1ELb0EEvPKcS1_S1_S1_S1_PKiPfP15HIP_vector_typeIfLj2EEffffjfiS5_IjLj3EEiiiiiiiiiiiliiliiiiil.num_agpr, 0
	.set _ZL15flash_attn_tileILi96ELi96ELi16ELi1ELb0EEvPKcS1_S1_S1_S1_PKiPfP15HIP_vector_typeIfLj2EEffffjfiS5_IjLj3EEiiiiiiiiiiiliiliiiiil.numbered_sgpr, 48
	.set _ZL15flash_attn_tileILi96ELi96ELi16ELi1ELb0EEvPKcS1_S1_S1_S1_PKiPfP15HIP_vector_typeIfLj2EEffffjfiS5_IjLj3EEiiiiiiiiiiiliiliiiiil.num_named_barrier, 0
	.set _ZL15flash_attn_tileILi96ELi96ELi16ELi1ELb0EEvPKcS1_S1_S1_S1_PKiPfP15HIP_vector_typeIfLj2EEffffjfiS5_IjLj3EEiiiiiiiiiiiliiliiiiil.private_seg_size, 32
	.set _ZL15flash_attn_tileILi96ELi96ELi16ELi1ELb0EEvPKcS1_S1_S1_S1_PKiPfP15HIP_vector_typeIfLj2EEffffjfiS5_IjLj3EEiiiiiiiiiiiliiliiiiil.uses_vcc, 1
	.set _ZL15flash_attn_tileILi96ELi96ELi16ELi1ELb0EEvPKcS1_S1_S1_S1_PKiPfP15HIP_vector_typeIfLj2EEffffjfiS5_IjLj3EEiiiiiiiiiiiliiliiiiil.uses_flat_scratch, 1
	.set _ZL15flash_attn_tileILi96ELi96ELi16ELi1ELb0EEvPKcS1_S1_S1_S1_PKiPfP15HIP_vector_typeIfLj2EEffffjfiS5_IjLj3EEiiiiiiiiiiiliiliiiiil.has_dyn_sized_stack, 0
	.set _ZL15flash_attn_tileILi96ELi96ELi16ELi1ELb0EEvPKcS1_S1_S1_S1_PKiPfP15HIP_vector_typeIfLj2EEffffjfiS5_IjLj3EEiiiiiiiiiiiliiliiiiil.has_recursion, 0
	.set _ZL15flash_attn_tileILi96ELi96ELi16ELi1ELb0EEvPKcS1_S1_S1_S1_PKiPfP15HIP_vector_typeIfLj2EEffffjfiS5_IjLj3EEiiiiiiiiiiiliiliiiiil.has_indirect_call, 0
	.section	.AMDGPU.csdata,"",@progbits
; Kernel info:
; codeLenInByte = 15572
; TotalNumSgprs: 50
; NumVgprs: 116
; ScratchSize: 32
; MemoryBound: 0
; FloatMode: 240
; IeeeMode: 1
; LDSByteSize: 7808 bytes/workgroup (compile time only)
; SGPRBlocks: 0
; VGPRBlocks: 14
; NumSGPRsForWavesPerEU: 50
; NumVGPRsForWavesPerEU: 116
; Occupancy: 12
; WaveLimiterHint : 1
; COMPUTE_PGM_RSRC2:SCRATCH_EN: 1
; COMPUTE_PGM_RSRC2:USER_SGPR: 2
; COMPUTE_PGM_RSRC2:TRAP_HANDLER: 0
; COMPUTE_PGM_RSRC2:TGID_X_EN: 1
; COMPUTE_PGM_RSRC2:TGID_Y_EN: 1
; COMPUTE_PGM_RSRC2:TGID_Z_EN: 1
; COMPUTE_PGM_RSRC2:TIDIG_COMP_CNT: 1
	.section	.text._ZL33flash_attn_stream_k_fixup_uniformILi96ELi16ELi1EEvPfPK15HIP_vector_typeIfLj2EEiiiiiiS1_IjLj3EES5_S5_,"axG",@progbits,_ZL33flash_attn_stream_k_fixup_uniformILi96ELi16ELi1EEvPfPK15HIP_vector_typeIfLj2EEiiiiiiS1_IjLj3EES5_S5_,comdat
	.globl	_ZL33flash_attn_stream_k_fixup_uniformILi96ELi16ELi1EEvPfPK15HIP_vector_typeIfLj2EEiiiiiiS1_IjLj3EES5_S5_ ; -- Begin function _ZL33flash_attn_stream_k_fixup_uniformILi96ELi16ELi1EEvPfPK15HIP_vector_typeIfLj2EEiiiiiiS1_IjLj3EES5_S5_
	.p2align	8
	.type	_ZL33flash_attn_stream_k_fixup_uniformILi96ELi16ELi1EEvPfPK15HIP_vector_typeIfLj2EEiiiiiiS1_IjLj3EES5_S5_,@function
_ZL33flash_attn_stream_k_fixup_uniformILi96ELi16ELi1EEvPfPK15HIP_vector_typeIfLj2EEiiiiiiS1_IjLj3EES5_S5_: ; @_ZL33flash_attn_stream_k_fixup_uniformILi96ELi16ELi1EEvPfPK15HIP_vector_typeIfLj2EEiiiiiiS1_IjLj3EES5_S5_
; %bb.0:
	s_clause 0x1
	s_load_b256 s[4:11], s[0:1], 0x1c
	s_load_b128 s[12:15], s[0:1], 0x3c
	s_wait_kmcnt 0x0
	s_mul_hi_u32 s2, s7, ttmp9
	s_delay_alu instid0(SALU_CYCLE_1) | instskip(NEXT) | instid1(SALU_CYCLE_1)
	s_add_co_i32 s2, ttmp9, s2
	s_lshr_b32 s2, s2, s8
	s_delay_alu instid0(SALU_CYCLE_1) | instskip(SKIP_2) | instid1(SALU_CYCLE_1)
	s_mul_i32 s3, s2, s9
	s_load_b64 s[8:9], s[0:1], 0x10
	s_sub_co_i32 s3, ttmp9, s3
	s_mul_hi_u32 s7, s3, s10
	s_delay_alu instid0(SALU_CYCLE_1) | instskip(NEXT) | instid1(SALU_CYCLE_1)
	s_add_co_i32 s7, s3, s7
	s_lshr_b32 s7, s7, s11
	s_lshr_b32 s11, ttmp7, 16
	s_mul_i32 s10, s7, s12
	s_delay_alu instid0(SALU_CYCLE_1) | instskip(NEXT) | instid1(SALU_CYCLE_1)
	s_sub_co_i32 s3, s3, s10
	s_mul_hi_u32 s10, s3, s13
	s_delay_alu instid0(SALU_CYCLE_1) | instskip(NEXT) | instid1(SALU_CYCLE_1)
	s_add_co_i32 s10, s3, s10
	s_lshr_b32 s13, s10, s14
	s_delay_alu instid0(SALU_CYCLE_1) | instskip(NEXT) | instid1(SALU_CYCLE_1)
	s_mul_i32 s10, s13, s15
	s_sub_co_i32 s12, s3, s10
	s_and_b32 s10, ttmp7, 0xffff
	s_lshl_b32 s3, s12, 4
	s_delay_alu instid0(SALU_CYCLE_1) | instskip(SKIP_4) | instid1(SALU_CYCLE_1)
	s_add_co_i32 s3, s3, s10
	s_wait_kmcnt 0x0
	s_cmp_lt_i32 s3, s8
	s_cselect_b32 s3, -1, 0
	s_add_co_i32 s13, s13, s11
	s_cmp_lt_i32 s13, s5
	s_cselect_b32 s14, -1, 0
	s_delay_alu instid0(SALU_CYCLE_1) | instskip(NEXT) | instid1(SALU_CYCLE_1)
	s_and_b32 s3, s3, s14
	s_and_not1_b32 vcc_lo, exec_lo, s3
	s_cbranch_vccnz .LBB60_6
; %bb.1:
	s_mul_i32 s8, s2, s8
	s_mul_i32 s7, s7, s5
	s_add_co_i32 s8, s8, s10
	s_add_co_i32 s5, s13, s7
	s_mul_i32 s8, s8, s9
	s_load_b128 s[0:3], s[0:1], 0x0
	s_mul_i32 s7, s9, s12
	s_add_co_i32 s5, s5, s8
	s_mulk_i32 s7, 0x600
	s_mulk_i32 s5, 0x60
	s_add_co_i32 s10, s10, s11
	v_add3_u32 v1, s5, s7, v0
	s_mul_i32 s7, s6, ttmp9
	s_wait_alu 0xfffe
	s_add_co_i32 s5, s7, s6
	s_delay_alu instid0(VALU_DEP_1) | instskip(SKIP_2) | instid1(VALU_DEP_1)
	v_ashrrev_i32_e32 v2, 31, v1
	s_wait_alu 0xfffe
	s_add_co_i32 s8, s5, -2
	v_lshlrev_b64_e32 v[1:2], 2, v[1:2]
	s_wait_kmcnt 0x0
	s_delay_alu instid0(VALU_DEP_1) | instskip(NEXT) | instid1(VALU_DEP_1)
	v_add_co_u32 v1, vcc_lo, s0, v1
	v_add_co_ci_u32_e64 v2, null, s1, v2, vcc_lo
	s_lshl_b32 s0, s5, 4
	s_wait_alu 0xfffe
	s_add_co_i32 s0, s10, s0
	global_load_b32 v5, v[1:2], off
	s_wait_alu 0xfffe
	s_add_co_i32 s0, s0, -16
	s_wait_alu 0xfffe
	s_ashr_i32 s1, s0, 31
	s_wait_alu 0xfffe
	s_lshl_b64 s[0:1], s[0:1], 3
	s_cmp_lt_i32 s8, s7
	s_wait_alu 0xfffe
	s_add_nc_u64 s[0:1], s[2:3], s[0:1]
	s_load_b32 s11, s[0:1], 0x4
	s_cbranch_scc1 .LBB60_4
; %bb.2:
	s_load_b32 s0, s[0:1], 0x0
	s_add_co_i32 s1, ttmp9, 1
	s_lshl_b32 s8, s4, 6
	s_wait_alu 0xfffe
	s_mul_i32 s1, s6, s1
	s_mul_i32 s6, s10, 0x60
	s_wait_alu 0xfffe
	s_lshl_b32 s12, s1, 4
	s_mulk_i32 s1, 0x600
	s_ashr_i32 s9, s8, 31
	s_wait_alu 0xfffe
	s_add_co_i32 s6, s6, s1
	s_add_co_i32 s10, s10, s12
	s_lshl_b32 s1, s4, 4
	s_wait_alu 0xfffe
	v_add3_u32 v3, s6, v0, 0xfffff400
	s_wait_kmcnt 0x0
	v_mov_b32_e32 v6, s11
	s_lshl_b64 s[8:9], s[8:9], 2
	s_add_co_i32 s10, s10, s1
	s_add_nc_u64 s[8:9], s[2:3], s[8:9]
	s_add_co_i32 s1, s5, -1
	s_wait_alu 0xfffe
	s_sub_co_i32 s4, s10, 32
.LBB60_3:                               ; =>This Inner Loop Header: Depth=1
	v_ashrrev_i32_e32 v4, 31, v3
	s_wait_alu 0xfffe
	s_ashr_i32 s5, s4, 31
	v_mov_b32_e32 v10, v6
	s_wait_alu 0xfffe
	s_lshl_b64 s[10:11], s[4:5], 3
	s_wait_loadcnt 0x0
	v_mov_b32_e32 v9, v5
	v_lshlrev_b64_e32 v[7:8], 2, v[3:4]
	s_wait_alu 0xfffe
	s_add_nc_u64 s[10:11], s[2:3], s[10:11]
	v_max_num_f32_e64 v4, s0, s0
	s_load_b64 s[10:11], s[10:11], 0x0
	v_add_nc_u32_e32 v3, 0xfffffa00, v3
	v_add_co_u32 v7, vcc_lo, s8, v7
	s_wait_alu 0xfffd
	v_add_co_ci_u32_e64 v8, null, s9, v8, vcc_lo
	v_readfirstlane_b32 s5, v4
	global_load_b32 v0, v[7:8], off
	s_wait_kmcnt 0x0
	v_max_num_f32_e64 v4, s10, s10
	s_delay_alu instid0(VALU_DEP_1) | instskip(SKIP_2) | instid1(SALU_CYCLE_2)
	v_readfirstlane_b32 s6, v4
	s_max_num_f32 s5, s5, s6
	s_wait_alu 0xfffe
	s_sub_f32 s0, s0, s5
	s_sub_f32 s6, s10, s5
	s_wait_alu 0xfffe
	s_delay_alu instid0(SALU_CYCLE_1) | instskip(NEXT) | instid1(SALU_CYCLE_1)
	s_mul_f32 s10, s0, 0x3fb8aa3b
	s_mul_f32 s12, s6, 0x3fb8aa3b
	s_wait_alu 0xfffe
	s_delay_alu instid0(SALU_CYCLE_1)
	s_xor_b32 s13, s10, 0x80000000
	s_rndne_f32 s14, s10
	s_fmamk_f32 s13, s0, 0x3fb8aa3b, s13
	s_cmp_nlt_f32 s0, 0xc2ce8ed0
	s_rndne_f32 s15, s12
	s_wait_alu 0xfffe
	s_sub_f32 s10, s10, s14
	s_fmamk_f32 s13, s0, 0x32a5705f, s13
	s_cvt_i32_f32 s14, s14
	s_cselect_b32 vcc_lo, -1, 0
	s_cmp_ngt_f32 s0, 0x42b17218
	s_wait_alu 0xfffe
	s_add_f32 s10, s10, s13
	s_sub_f32 s13, s12, s15
	s_wait_alu 0xfffe
	s_delay_alu instid0(SALU_CYCLE_1) | instskip(SKIP_1) | instid1(TRANS32_DEP_1)
	v_s_exp_f32 s10, s10
	s_wait_alu 0xf1ff
	v_ldexp_f32 v4, s10, s14
	s_cvt_i32_f32 s10, s15
	s_delay_alu instid0(VALU_DEP_1) | instskip(SKIP_3) | instid1(VALU_DEP_1)
	v_cndmask_b32_e32 v4, 0, v4, vcc_lo
	s_cselect_b32 vcc_lo, -1, 0
	s_cmp_ge_f32 s0, 0xc1a00000
	s_wait_alu 0xfffe
	v_cndmask_b32_e32 v4, 0x7f800000, v4, vcc_lo
	s_cselect_b32 vcc_lo, -1, 0
	s_xor_b32 s0, s12, 0x80000000
	s_cmp_nlt_f32 s6, 0xc2ce8ed0
	s_wait_alu 0xfffe
	s_fmamk_f32 s0, s6, 0x3fb8aa3b, s0
	s_wait_alu 0xfffe
	s_delay_alu instid0(SALU_CYCLE_2) | instskip(SKIP_1) | instid1(SALU_CYCLE_2)
	s_fmamk_f32 s0, s6, 0x32a5705f, s0
	s_wait_alu 0xfffe
	s_add_f32 s0, s13, s0
	s_wait_alu 0xfffe
	s_delay_alu instid0(SALU_CYCLE_2) | instskip(SKIP_1) | instid1(TRANS32_DEP_1)
	v_s_exp_f32 s0, s0
	s_wait_alu 0xf1ff
	v_ldexp_f32 v7, s0, s10
	s_cselect_b32 s0, -1, 0
	s_cmp_ngt_f32 s6, 0x42b17218
	s_wait_alu 0xfffe
	s_delay_alu instid0(VALU_DEP_1) | instskip(SKIP_3) | instid1(VALU_DEP_1)
	v_cndmask_b32_e64 v7, 0, v7, s0
	s_cselect_b32 s0, -1, 0
	s_cmp_ge_f32 s6, 0xc1a00000
	s_wait_alu 0xfffe
	v_cndmask_b32_e64 v7, 0x7f800000, v7, s0
	s_cselect_b32 s0, -1, 0
	s_add_co_i32 s1, s1, -1
	s_add_co_i32 s4, s4, -16
	s_wait_alu 0xfffe
	s_cmp_le_i32 s1, s7
	v_cndmask_b32_e64 v7, 0, v7, s0
	s_mov_b32 s0, s5
	s_wait_loadcnt 0x0
	s_delay_alu instid0(VALU_DEP_1) | instskip(NEXT) | instid1(VALU_DEP_1)
	v_dual_mul_f32 v5, v0, v7 :: v_dual_cndmask_b32 v4, 0, v4
	v_dual_mul_f32 v8, s11, v7 :: v_dual_fmac_f32 v5, v9, v4
	s_delay_alu instid0(VALU_DEP_1) | instskip(NEXT) | instid1(VALU_DEP_1)
	v_mov_b32_e32 v6, v8
	v_fmac_f32_e32 v6, v10, v4
	s_cbranch_scc0 .LBB60_3
	s_branch .LBB60_5
.LBB60_4:
	s_wait_kmcnt 0x0
	v_mov_b32_e32 v6, s11
.LBB60_5:
	s_wait_loadcnt 0x0
	s_delay_alu instid0(VALU_DEP_1) | instskip(NEXT) | instid1(VALU_DEP_1)
	v_div_scale_f32 v0, null, v6, v6, v5
	v_rcp_f32_e32 v3, v0
	s_delay_alu instid0(TRANS32_DEP_1) | instskip(NEXT) | instid1(VALU_DEP_1)
	v_fma_f32 v4, -v0, v3, 1.0
	v_fmac_f32_e32 v3, v4, v3
	v_div_scale_f32 v4, vcc_lo, v5, v6, v5
	s_delay_alu instid0(VALU_DEP_1) | instskip(NEXT) | instid1(VALU_DEP_1)
	v_mul_f32_e32 v7, v4, v3
	v_fma_f32 v8, -v0, v7, v4
	s_delay_alu instid0(VALU_DEP_1) | instskip(NEXT) | instid1(VALU_DEP_1)
	v_fmac_f32_e32 v7, v8, v3
	v_fma_f32 v0, -v0, v7, v4
	s_wait_alu 0xfffd
	s_delay_alu instid0(VALU_DEP_1) | instskip(NEXT) | instid1(VALU_DEP_1)
	v_div_fmas_f32 v0, v0, v3, v7
	v_div_fixup_f32 v0, v0, v6, v5
	global_store_b32 v[1:2], v0, off
.LBB60_6:
	s_endpgm
	.section	.rodata,"a",@progbits
	.p2align	6, 0x0
	.amdhsa_kernel _ZL33flash_attn_stream_k_fixup_uniformILi96ELi16ELi1EEvPfPK15HIP_vector_typeIfLj2EEiiiiiiS1_IjLj3EES5_S5_
		.amdhsa_group_segment_fixed_size 0
		.amdhsa_private_segment_fixed_size 0
		.amdhsa_kernarg_size 76
		.amdhsa_user_sgpr_count 2
		.amdhsa_user_sgpr_dispatch_ptr 0
		.amdhsa_user_sgpr_queue_ptr 0
		.amdhsa_user_sgpr_kernarg_segment_ptr 1
		.amdhsa_user_sgpr_dispatch_id 0
		.amdhsa_user_sgpr_private_segment_size 0
		.amdhsa_wavefront_size32 1
		.amdhsa_uses_dynamic_stack 0
		.amdhsa_enable_private_segment 0
		.amdhsa_system_sgpr_workgroup_id_x 1
		.amdhsa_system_sgpr_workgroup_id_y 1
		.amdhsa_system_sgpr_workgroup_id_z 1
		.amdhsa_system_sgpr_workgroup_info 0
		.amdhsa_system_vgpr_workitem_id 0
		.amdhsa_next_free_vgpr 11
		.amdhsa_next_free_sgpr 16
		.amdhsa_reserve_vcc 1
		.amdhsa_float_round_mode_32 0
		.amdhsa_float_round_mode_16_64 0
		.amdhsa_float_denorm_mode_32 3
		.amdhsa_float_denorm_mode_16_64 3
		.amdhsa_fp16_overflow 0
		.amdhsa_workgroup_processor_mode 1
		.amdhsa_memory_ordered 1
		.amdhsa_forward_progress 1
		.amdhsa_inst_pref_size 9
		.amdhsa_round_robin_scheduling 0
		.amdhsa_exception_fp_ieee_invalid_op 0
		.amdhsa_exception_fp_denorm_src 0
		.amdhsa_exception_fp_ieee_div_zero 0
		.amdhsa_exception_fp_ieee_overflow 0
		.amdhsa_exception_fp_ieee_underflow 0
		.amdhsa_exception_fp_ieee_inexact 0
		.amdhsa_exception_int_div_zero 0
	.end_amdhsa_kernel
	.section	.text._ZL33flash_attn_stream_k_fixup_uniformILi96ELi16ELi1EEvPfPK15HIP_vector_typeIfLj2EEiiiiiiS1_IjLj3EES5_S5_,"axG",@progbits,_ZL33flash_attn_stream_k_fixup_uniformILi96ELi16ELi1EEvPfPK15HIP_vector_typeIfLj2EEiiiiiiS1_IjLj3EES5_S5_,comdat
.Lfunc_end60:
	.size	_ZL33flash_attn_stream_k_fixup_uniformILi96ELi16ELi1EEvPfPK15HIP_vector_typeIfLj2EEiiiiiiS1_IjLj3EES5_S5_, .Lfunc_end60-_ZL33flash_attn_stream_k_fixup_uniformILi96ELi16ELi1EEvPfPK15HIP_vector_typeIfLj2EEiiiiiiS1_IjLj3EES5_S5_
                                        ; -- End function
	.set _ZL33flash_attn_stream_k_fixup_uniformILi96ELi16ELi1EEvPfPK15HIP_vector_typeIfLj2EEiiiiiiS1_IjLj3EES5_S5_.num_vgpr, 11
	.set _ZL33flash_attn_stream_k_fixup_uniformILi96ELi16ELi1EEvPfPK15HIP_vector_typeIfLj2EEiiiiiiS1_IjLj3EES5_S5_.num_agpr, 0
	.set _ZL33flash_attn_stream_k_fixup_uniformILi96ELi16ELi1EEvPfPK15HIP_vector_typeIfLj2EEiiiiiiS1_IjLj3EES5_S5_.numbered_sgpr, 16
	.set _ZL33flash_attn_stream_k_fixup_uniformILi96ELi16ELi1EEvPfPK15HIP_vector_typeIfLj2EEiiiiiiS1_IjLj3EES5_S5_.num_named_barrier, 0
	.set _ZL33flash_attn_stream_k_fixup_uniformILi96ELi16ELi1EEvPfPK15HIP_vector_typeIfLj2EEiiiiiiS1_IjLj3EES5_S5_.private_seg_size, 0
	.set _ZL33flash_attn_stream_k_fixup_uniformILi96ELi16ELi1EEvPfPK15HIP_vector_typeIfLj2EEiiiiiiS1_IjLj3EES5_S5_.uses_vcc, 1
	.set _ZL33flash_attn_stream_k_fixup_uniformILi96ELi16ELi1EEvPfPK15HIP_vector_typeIfLj2EEiiiiiiS1_IjLj3EES5_S5_.uses_flat_scratch, 0
	.set _ZL33flash_attn_stream_k_fixup_uniformILi96ELi16ELi1EEvPfPK15HIP_vector_typeIfLj2EEiiiiiiS1_IjLj3EES5_S5_.has_dyn_sized_stack, 0
	.set _ZL33flash_attn_stream_k_fixup_uniformILi96ELi16ELi1EEvPfPK15HIP_vector_typeIfLj2EEiiiiiiS1_IjLj3EES5_S5_.has_recursion, 0
	.set _ZL33flash_attn_stream_k_fixup_uniformILi96ELi16ELi1EEvPfPK15HIP_vector_typeIfLj2EEiiiiiiS1_IjLj3EES5_S5_.has_indirect_call, 0
	.section	.AMDGPU.csdata,"",@progbits
; Kernel info:
; codeLenInByte = 1128
; TotalNumSgprs: 18
; NumVgprs: 11
; ScratchSize: 0
; MemoryBound: 0
; FloatMode: 240
; IeeeMode: 1
; LDSByteSize: 0 bytes/workgroup (compile time only)
; SGPRBlocks: 0
; VGPRBlocks: 1
; NumSGPRsForWavesPerEU: 18
; NumVGPRsForWavesPerEU: 11
; Occupancy: 16
; WaveLimiterHint : 0
; COMPUTE_PGM_RSRC2:SCRATCH_EN: 0
; COMPUTE_PGM_RSRC2:USER_SGPR: 2
; COMPUTE_PGM_RSRC2:TRAP_HANDLER: 0
; COMPUTE_PGM_RSRC2:TGID_X_EN: 1
; COMPUTE_PGM_RSRC2:TGID_Y_EN: 1
; COMPUTE_PGM_RSRC2:TGID_Z_EN: 1
; COMPUTE_PGM_RSRC2:TIDIG_COMP_CNT: 0
	.section	.text._ZL33flash_attn_stream_k_fixup_generalILi96ELi16ELi1EEvPfPK15HIP_vector_typeIfLj2EEiiiiS1_IjLj3EES5_S5_S5_,"axG",@progbits,_ZL33flash_attn_stream_k_fixup_generalILi96ELi16ELi1EEvPfPK15HIP_vector_typeIfLj2EEiiiiS1_IjLj3EES5_S5_S5_,comdat
	.globl	_ZL33flash_attn_stream_k_fixup_generalILi96ELi16ELi1EEvPfPK15HIP_vector_typeIfLj2EEiiiiS1_IjLj3EES5_S5_S5_ ; -- Begin function _ZL33flash_attn_stream_k_fixup_generalILi96ELi16ELi1EEvPfPK15HIP_vector_typeIfLj2EEiiiiS1_IjLj3EES5_S5_S5_
	.p2align	8
	.type	_ZL33flash_attn_stream_k_fixup_generalILi96ELi16ELi1EEvPfPK15HIP_vector_typeIfLj2EEiiiiS1_IjLj3EES5_S5_S5_,@function
_ZL33flash_attn_stream_k_fixup_generalILi96ELi16ELi1EEvPfPK15HIP_vector_typeIfLj2EEiiiiS1_IjLj3EES5_S5_S5_: ; @_ZL33flash_attn_stream_k_fixup_generalILi96ELi16ELi1EEvPfPK15HIP_vector_typeIfLj2EEiiiiS1_IjLj3EES5_S5_S5_
; %bb.0:
	s_clause 0x1
	s_load_b128 s[4:7], s[0:1], 0x10
	s_load_b32 s16, s[0:1], 0x50
	s_mov_b32 s2, ttmp9
	s_ashr_i32 s3, ttmp9, 31
	s_mov_b32 s17, 0
	s_delay_alu instid0(SALU_CYCLE_1) | instskip(SKIP_3) | instid1(SALU_CYCLE_1)
	s_mov_b32 s8, s17
	s_wait_kmcnt 0x0
	s_ashr_i32 s19, s7, 31
	s_mov_b32 s18, s7
	s_mul_u64 s[2:3], s[18:19], s[2:3]
	s_delay_alu instid0(SALU_CYCLE_1) | instskip(NEXT) | instid1(SALU_CYCLE_1)
	s_mov_b32 s9, s3
	s_cmp_lg_u64 s[8:9], 0
	s_cbranch_scc0 .LBB61_21
; %bb.1:
	s_add_nc_u64 s[8:9], s[16:17], 0
	s_mov_b32 s15, s17
	s_xor_b64 s[8:9], s[8:9], 0
	s_mov_b32 s23, s17
	s_cvt_f32_u32 s7, s8
	s_cvt_f32_u32 s10, s9
	s_sub_nc_u64 s[12:13], 0, s[8:9]
	s_delay_alu instid0(SALU_CYCLE_2) | instskip(NEXT) | instid1(SALU_CYCLE_3)
	s_fmamk_f32 s7, s10, 0x4f800000, s7
	v_s_rcp_f32 s7, s7
	s_delay_alu instid0(TRANS32_DEP_1) | instskip(SKIP_1) | instid1(SALU_CYCLE_2)
	s_mul_f32 s7, s7, 0x5f7ffffc
	s_wait_alu 0xfffe
	s_mul_f32 s10, s7, 0x2f800000
	s_delay_alu instid0(SALU_CYCLE_3) | instskip(NEXT) | instid1(SALU_CYCLE_3)
	s_trunc_f32 s10, s10
	s_fmamk_f32 s7, s10, 0xcf800000, s7
	s_cvt_u32_f32 s11, s10
	s_wait_alu 0xfffe
	s_delay_alu instid0(SALU_CYCLE_1) | instskip(NEXT) | instid1(SALU_CYCLE_3)
	s_cvt_u32_f32 s10, s7
	s_mul_u64 s[20:21], s[12:13], s[10:11]
	s_delay_alu instid0(SALU_CYCLE_1)
	s_mul_hi_u32 s25, s10, s21
	s_mul_i32 s24, s10, s21
	s_mul_hi_u32 s14, s10, s20
	s_mul_i32 s22, s11, s20
	s_add_nc_u64 s[14:15], s[14:15], s[24:25]
	s_mul_hi_u32 s7, s11, s20
	s_mul_hi_u32 s26, s11, s21
	s_add_co_u32 s14, s14, s22
	s_wait_alu 0xfffe
	s_add_co_ci_u32 s22, s15, s7
	s_mul_i32 s20, s11, s21
	s_add_co_ci_u32 s21, s26, 0
	s_delay_alu instid0(SALU_CYCLE_1)
	s_add_nc_u64 s[14:15], s[22:23], s[20:21]
	s_mov_b32 s21, s17
	s_add_co_u32 s10, s10, s14
	s_cselect_b32 s7, -1, 0
	s_wait_alu 0xfffe
	s_cmp_lg_u32 s7, 0
	s_add_co_ci_u32 s11, s11, s15
	s_mov_b32 s15, s17
	s_mul_u64 s[12:13], s[12:13], s[10:11]
	s_delay_alu instid0(SALU_CYCLE_1)
	s_mul_hi_u32 s23, s10, s13
	s_mul_i32 s22, s10, s13
	s_mul_hi_u32 s14, s10, s12
	s_mul_i32 s20, s11, s12
	s_add_nc_u64 s[14:15], s[14:15], s[22:23]
	s_mul_hi_u32 s7, s11, s12
	s_mul_hi_u32 s24, s11, s13
	s_mul_i32 s12, s11, s13
	s_add_co_u32 s13, s14, s20
	s_wait_alu 0xfffe
	s_add_co_ci_u32 s20, s15, s7
	s_add_co_ci_u32 s13, s24, 0
	s_mov_b32 s15, s17
	s_add_nc_u64 s[12:13], s[20:21], s[12:13]
	s_delay_alu instid0(SALU_CYCLE_1) | instskip(SKIP_1) | instid1(SALU_CYCLE_1)
	s_add_co_u32 s7, s10, s12
	s_cselect_b32 s10, -1, 0
	s_cmp_lg_u32 s10, 0
	s_add_co_ci_u32 s20, s11, s13
	s_ashr_i32 s10, s3, 31
	s_delay_alu instid0(SALU_CYCLE_1) | instskip(NEXT) | instid1(SALU_CYCLE_1)
	s_mov_b32 s11, s10
	s_add_nc_u64 s[12:13], s[2:3], s[10:11]
	s_delay_alu instid0(SALU_CYCLE_1) | instskip(NEXT) | instid1(SALU_CYCLE_1)
	s_xor_b64 s[12:13], s[12:13], s[10:11]
	s_mul_hi_u32 s23, s12, s20
	s_mul_i32 s22, s12, s20
	s_wait_alu 0xfffe
	s_mul_hi_u32 s14, s12, s7
	s_mul_hi_u32 s24, s13, s7
	s_mul_i32 s7, s13, s7
	s_add_nc_u64 s[14:15], s[14:15], s[22:23]
	s_mul_hi_u32 s3, s13, s20
	s_wait_alu 0xfffe
	s_add_co_u32 s7, s14, s7
	s_mul_i32 s22, s13, s20
	s_add_co_ci_u32 s20, s15, s24
	s_add_co_ci_u32 s23, s3, 0
	s_delay_alu instid0(SALU_CYCLE_1) | instskip(NEXT) | instid1(SALU_CYCLE_1)
	s_add_nc_u64 s[14:15], s[20:21], s[22:23]
	s_mul_u64 s[20:21], s[8:9], s[14:15]
	s_delay_alu instid0(SALU_CYCLE_1)
	s_sub_co_u32 s3, s12, s20
	s_cselect_b32 s7, -1, 0
	s_sub_co_i32 s12, s13, s21
	s_wait_alu 0xfffe
	s_cmp_lg_u32 s7, 0
	s_sub_co_ci_u32 s12, s12, s9
	s_sub_co_u32 s20, s3, s8
	s_cselect_b32 s22, -1, 0
	s_delay_alu instid0(SALU_CYCLE_1) | instskip(SKIP_2) | instid1(SALU_CYCLE_1)
	s_cmp_lg_u32 s22, 0
	s_add_nc_u64 s[22:23], s[14:15], 1
	s_sub_co_ci_u32 s12, s12, 0
	s_cmp_ge_u32 s12, s9
	s_cselect_b32 s24, -1, 0
	s_cmp_ge_u32 s20, s8
	s_cselect_b32 s20, -1, 0
	s_cmp_eq_u32 s12, s9
	s_cselect_b32 s12, s20, s24
	s_add_nc_u64 s[24:25], s[14:15], 2
	s_cmp_lg_u32 s12, 0
	s_cselect_b32 s12, s24, s22
	s_cselect_b32 s20, s25, s23
	s_cmp_lg_u32 s7, 0
	s_sub_co_ci_u32 s7, s13, s21
	s_wait_alu 0xfffe
	s_cmp_ge_u32 s7, s9
	s_cselect_b32 s13, -1, 0
	s_cmp_ge_u32 s3, s8
	s_cselect_b32 s3, -1, 0
	s_cmp_eq_u32 s7, s9
	s_cselect_b32 s3, s3, s13
	s_delay_alu instid0(SALU_CYCLE_1) | instskip(SKIP_4) | instid1(SALU_CYCLE_1)
	s_cmp_lg_u32 s3, 0
	s_mov_b32 s3, s17
	s_cselect_b32 s9, s20, s15
	s_cselect_b32 s8, s12, s14
	s_xor_b64 s[10:11], s[10:11], 0
	s_xor_b64 s[8:9], s[8:9], s[10:11]
	s_delay_alu instid0(SALU_CYCLE_1)
	s_sub_nc_u64 s[20:21], s[8:9], s[10:11]
	s_and_not1_b32 vcc_lo, exec_lo, s3
	s_cbranch_vccnz .LBB61_3
.LBB61_2:
	v_cvt_f32_u32_e32 v1, s16
	s_sub_co_i32 s7, 0, s16
	s_delay_alu instid0(VALU_DEP_1) | instskip(NEXT) | instid1(TRANS32_DEP_1)
	v_rcp_iflag_f32_e32 v1, v1
	v_mul_f32_e32 v1, 0x4f7ffffe, v1
	s_delay_alu instid0(VALU_DEP_1) | instskip(NEXT) | instid1(VALU_DEP_1)
	v_cvt_u32_f32_e32 v1, v1
	v_readfirstlane_b32 s3, v1
	s_wait_alu 0xfffe
	s_mul_i32 s7, s7, s3
	s_wait_alu 0xfffe
	s_mul_hi_u32 s7, s3, s7
	s_wait_alu 0xfffe
	s_add_co_i32 s3, s3, s7
	s_delay_alu instid0(SALU_CYCLE_1) | instskip(NEXT) | instid1(SALU_CYCLE_1)
	s_mul_hi_u32 s3, s2, s3
	s_mul_i32 s7, s3, s16
	s_wait_alu 0xfffe
	s_sub_co_i32 s2, s2, s7
	s_add_co_i32 s7, s3, 1
	s_sub_co_i32 s8, s2, s16
	s_cmp_ge_u32 s2, s16
	s_wait_alu 0xfffe
	s_cselect_b32 s3, s7, s3
	s_cselect_b32 s2, s8, s2
	s_add_co_i32 s7, s3, 1
	s_cmp_ge_u32 s2, s16
	s_wait_alu 0xfffe
	s_cselect_b32 s20, s7, s3
.LBB61_3:
	s_add_co_i32 s2, ttmp9, 1
	s_mov_b32 s8, 0
	s_ashr_i32 s3, s2, 31
	s_delay_alu instid0(SALU_CYCLE_1) | instskip(NEXT) | instid1(SALU_CYCLE_1)
	s_mul_u64 s[2:3], s[18:19], s[2:3]
	s_mov_b32 s9, s3
	s_delay_alu instid0(SALU_CYCLE_1)
	s_cmp_lg_u64 s[8:9], 0
	s_cbranch_scc0 .LBB61_22
; %bb.4:
	s_add_nc_u64 s[10:11], s[16:17], 0
	s_mov_b32 s23, s8
	s_xor_b64 s[10:11], s[10:11], 0
	s_mov_b32 s27, s8
	s_cvt_f32_u32 s7, s10
	s_cvt_f32_u32 s9, s11
	s_sub_nc_u64 s[14:15], 0, s[10:11]
	s_wait_alu 0xfffe
	s_delay_alu instid0(SALU_CYCLE_1) | instskip(SKIP_1) | instid1(SALU_CYCLE_2)
	s_fmamk_f32 s7, s9, 0x4f800000, s7
	s_wait_alu 0xfffe
	v_s_rcp_f32 s7, s7
	s_delay_alu instid0(TRANS32_DEP_1) | instskip(SKIP_1) | instid1(SALU_CYCLE_2)
	s_mul_f32 s7, s7, 0x5f7ffffc
	s_wait_alu 0xfffe
	s_mul_f32 s9, s7, 0x2f800000
	s_delay_alu instid0(SALU_CYCLE_3) | instskip(NEXT) | instid1(SALU_CYCLE_3)
	s_trunc_f32 s9, s9
	s_fmamk_f32 s7, s9, 0xcf800000, s7
	s_cvt_u32_f32 s13, s9
	s_wait_alu 0xfffe
	s_delay_alu instid0(SALU_CYCLE_1) | instskip(NEXT) | instid1(SALU_CYCLE_3)
	s_cvt_u32_f32 s12, s7
	s_mul_u64 s[24:25], s[14:15], s[12:13]
	s_delay_alu instid0(SALU_CYCLE_1)
	s_mul_hi_u32 s29, s12, s25
	s_mul_i32 s28, s12, s25
	s_mul_hi_u32 s22, s12, s24
	s_mul_i32 s9, s13, s24
	s_add_nc_u64 s[22:23], s[22:23], s[28:29]
	s_mul_hi_u32 s7, s13, s24
	s_mul_hi_u32 s21, s13, s25
	s_add_co_u32 s9, s22, s9
	s_wait_alu 0xfffe
	s_add_co_ci_u32 s26, s23, s7
	s_mul_i32 s24, s13, s25
	s_add_co_ci_u32 s25, s21, 0
	s_delay_alu instid0(SALU_CYCLE_1)
	s_add_nc_u64 s[22:23], s[26:27], s[24:25]
	s_mov_b32 s25, s8
	s_add_co_u32 s12, s12, s22
	s_cselect_b32 s7, -1, 0
	s_wait_alu 0xfffe
	s_cmp_lg_u32 s7, 0
	s_add_co_ci_u32 s13, s13, s23
	s_mov_b32 s23, s8
	s_mul_u64 s[14:15], s[14:15], s[12:13]
	s_delay_alu instid0(SALU_CYCLE_1)
	s_mul_hi_u32 s27, s12, s15
	s_mul_i32 s26, s12, s15
	s_mul_hi_u32 s22, s12, s14
	s_mul_i32 s9, s13, s14
	s_add_nc_u64 s[22:23], s[22:23], s[26:27]
	s_mul_hi_u32 s7, s13, s14
	s_mul_hi_u32 s21, s13, s15
	s_add_co_u32 s9, s22, s9
	s_wait_alu 0xfffe
	s_add_co_ci_u32 s24, s23, s7
	s_mul_i32 s14, s13, s15
	s_add_co_ci_u32 s15, s21, 0
	s_mov_b32 s23, s8
	s_add_nc_u64 s[14:15], s[24:25], s[14:15]
	s_delay_alu instid0(SALU_CYCLE_1) | instskip(SKIP_1) | instid1(SALU_CYCLE_1)
	s_add_co_u32 s7, s12, s14
	s_cselect_b32 s9, -1, 0
	s_cmp_lg_u32 s9, 0
	s_add_co_ci_u32 s9, s13, s15
	s_ashr_i32 s12, s3, 31
	s_delay_alu instid0(SALU_CYCLE_1) | instskip(NEXT) | instid1(SALU_CYCLE_1)
	s_mov_b32 s13, s12
	s_add_nc_u64 s[14:15], s[2:3], s[12:13]
	s_delay_alu instid0(SALU_CYCLE_1) | instskip(NEXT) | instid1(SALU_CYCLE_1)
	s_xor_b64 s[14:15], s[14:15], s[12:13]
	s_mul_hi_u32 s27, s14, s9
	s_mul_i32 s26, s14, s9
	s_wait_alu 0xfffe
	s_mul_hi_u32 s22, s14, s7
	s_mul_hi_u32 s21, s15, s7
	s_mul_i32 s7, s15, s7
	s_add_nc_u64 s[22:23], s[22:23], s[26:27]
	s_mul_hi_u32 s3, s15, s9
	s_wait_alu 0xfffe
	s_add_co_u32 s7, s22, s7
	s_add_co_ci_u32 s24, s23, s21
	s_mul_i32 s26, s15, s9
	s_add_co_ci_u32 s27, s3, 0
	s_delay_alu instid0(SALU_CYCLE_1) | instskip(NEXT) | instid1(SALU_CYCLE_1)
	s_add_nc_u64 s[22:23], s[24:25], s[26:27]
	s_mul_u64 s[24:25], s[10:11], s[22:23]
	s_add_nc_u64 s[26:27], s[22:23], 1
	s_sub_co_u32 s3, s14, s24
	s_cselect_b32 s7, -1, 0
	s_sub_co_i32 s9, s15, s25
	s_wait_alu 0xfffe
	s_cmp_lg_u32 s7, 0
	s_add_nc_u64 s[28:29], s[22:23], 2
	s_sub_co_ci_u32 s9, s9, s11
	s_sub_co_u32 s14, s3, s10
	s_cselect_b32 s21, -1, 0
	s_delay_alu instid0(SALU_CYCLE_1) | instskip(SKIP_1) | instid1(SALU_CYCLE_1)
	s_cmp_lg_u32 s21, 0
	s_sub_co_ci_u32 s9, s9, 0
	s_cmp_ge_u32 s9, s11
	s_cselect_b32 s21, -1, 0
	s_cmp_ge_u32 s14, s10
	s_cselect_b32 s14, -1, 0
	s_cmp_eq_u32 s9, s11
	s_cselect_b32 s9, s14, s21
	s_delay_alu instid0(SALU_CYCLE_1)
	s_cmp_lg_u32 s9, 0
	s_cselect_b32 s9, s28, s26
	s_cselect_b32 s14, s29, s27
	s_cmp_lg_u32 s7, 0
	s_sub_co_ci_u32 s7, s15, s25
	s_wait_alu 0xfffe
	s_cmp_ge_u32 s7, s11
	s_cselect_b32 s15, -1, 0
	s_cmp_ge_u32 s3, s10
	s_cselect_b32 s3, -1, 0
	s_cmp_eq_u32 s7, s11
	s_cselect_b32 s3, s3, s15
	s_delay_alu instid0(SALU_CYCLE_1) | instskip(SKIP_3) | instid1(SALU_CYCLE_1)
	s_cmp_lg_u32 s3, 0
	s_cselect_b32 s11, s14, s23
	s_cselect_b32 s10, s9, s22
	s_xor_b64 s[12:13], s[12:13], 0
	s_xor_b64 s[10:11], s[10:11], s[12:13]
	s_delay_alu instid0(SALU_CYCLE_1)
	s_sub_nc_u64 s[10:11], s[10:11], s[12:13]
	s_load_b96 s[12:14], s[0:1], 0x44
	s_and_not1_b32 vcc_lo, exec_lo, s8
	s_cbranch_vccnz .LBB61_6
.LBB61_5:
	v_cvt_f32_u32_e32 v1, s16
	s_sub_co_i32 s7, 0, s16
	s_delay_alu instid0(VALU_DEP_1) | instskip(NEXT) | instid1(TRANS32_DEP_1)
	v_rcp_iflag_f32_e32 v1, v1
	v_mul_f32_e32 v1, 0x4f7ffffe, v1
	s_delay_alu instid0(VALU_DEP_1) | instskip(NEXT) | instid1(VALU_DEP_1)
	v_cvt_u32_f32_e32 v1, v1
	v_readfirstlane_b32 s3, v1
	s_wait_alu 0xfffe
	s_mul_i32 s7, s7, s3
	s_wait_alu 0xfffe
	s_mul_hi_u32 s7, s3, s7
	s_wait_alu 0xfffe
	s_add_co_i32 s3, s3, s7
	s_delay_alu instid0(SALU_CYCLE_1) | instskip(NEXT) | instid1(SALU_CYCLE_1)
	s_mul_hi_u32 s3, s2, s3
	s_mul_i32 s7, s3, s16
	s_wait_alu 0xfffe
	s_sub_co_i32 s2, s2, s7
	s_add_co_i32 s7, s3, 1
	s_sub_co_i32 s8, s2, s16
	s_cmp_ge_u32 s2, s16
	s_wait_alu 0xfffe
	s_cselect_b32 s3, s7, s3
	s_cselect_b32 s2, s8, s2
	s_add_co_i32 s7, s3, 1
	s_cmp_ge_u32 s2, s16
	s_wait_alu 0xfffe
	s_cselect_b32 s10, s7, s3
.LBB61_6:
	s_mov_b32 s21, 0
	s_wait_kmcnt 0x0
	s_mov_b32 s22, s12
	s_mov_b32 s23, s21
	s_cmp_eq_u32 s20, s10
	s_mul_u64 s[2:3], s[20:21], s[22:23]
	s_cselect_b32 s7, -1, 0
	s_add_co_i32 s2, s3, s20
	s_mov_b32 s11, s21
	s_lshr_b32 s12, s2, s13
	s_mul_u64 s[2:3], s[10:11], s[22:23]
	s_mul_i32 s2, s12, s14
	s_delay_alu instid0(SALU_CYCLE_1) | instskip(SKIP_2) | instid1(SALU_CYCLE_1)
	s_cmp_eq_u32 s2, s20
	s_cselect_b32 s2, -1, 0
	s_add_co_i32 s3, s3, s10
	s_lshr_b32 s3, s3, s13
	s_delay_alu instid0(SALU_CYCLE_1)
	s_cmp_eq_u32 s12, s3
	s_mul_i32 s3, s3, s14
	s_cselect_b32 s8, -1, 0
	s_cmp_lg_u32 s3, s10
	s_cselect_b32 s3, -1, 0
	s_wait_alu 0xfffe
	s_or_b32 s2, s7, s2
	s_and_b32 s3, s8, s3
	s_delay_alu instid0(SALU_CYCLE_1) | instskip(NEXT) | instid1(SALU_CYCLE_1)
	s_or_b32 s2, s2, s3
	s_and_b32 vcc_lo, exec_lo, s2
	s_cbranch_vccnz .LBB61_24
; %bb.7:
	s_load_b256 s[24:31], s[0:1], 0x20
	s_mov_b32 s3, s21
	s_and_b32 s15, ttmp7, 0xffff
	s_wait_kmcnt 0x0
	s_mov_b32 s2, s24
	s_delay_alu instid0(SALU_CYCLE_1) | instskip(NEXT) | instid1(SALU_CYCLE_1)
	s_mul_u64 s[2:3], s[20:21], s[2:3]
	s_add_co_i32 s2, s3, s20
	s_delay_alu instid0(SALU_CYCLE_1) | instskip(SKIP_4) | instid1(SALU_CYCLE_1)
	s_lshr_b32 s3, s2, s25
	s_load_b32 s2, s[0:1], 0x40
	s_mul_i32 s7, s3, s26
	s_wait_alu 0xfffe
	s_sub_co_i32 s8, s20, s7
	s_mul_hi_u32 s7, s8, s27
	s_wait_alu 0xfffe
	s_add_co_i32 s7, s8, s7
	s_wait_alu 0xfffe
	s_lshr_b32 s7, s7, s28
	s_wait_alu 0xfffe
	s_mul_i32 s9, s7, s29
	s_delay_alu instid0(SALU_CYCLE_1) | instskip(NEXT) | instid1(SALU_CYCLE_1)
	s_sub_co_i32 s8, s8, s9
	s_mul_hi_u32 s9, s8, s30
	s_delay_alu instid0(SALU_CYCLE_1) | instskip(NEXT) | instid1(SALU_CYCLE_1)
	s_add_co_i32 s9, s8, s9
	s_lshr_b32 s24, s9, s31
	s_mov_b32 s9, s21
	s_wait_kmcnt 0x0
	s_mul_i32 s2, s24, s2
	s_delay_alu instid0(SALU_CYCLE_1) | instskip(NEXT) | instid1(SALU_CYCLE_1)
	s_sub_co_i32 s8, s8, s2
	s_mul_u64 s[10:11], s[8:9], s[22:23]
	s_delay_alu instid0(SALU_CYCLE_1) | instskip(NEXT) | instid1(SALU_CYCLE_1)
	s_add_co_i32 s2, s8, s11
	s_lshr_b32 s21, s2, s13
	s_delay_alu instid0(SALU_CYCLE_1) | instskip(NEXT) | instid1(SALU_CYCLE_1)
	s_lshl_b32 s2, s21, 4
	s_add_co_i32 s8, s2, s15
	s_lshr_b32 s2, ttmp7, 16
	s_cmp_lt_i32 s8, s4
	s_cselect_b32 s8, -1, 0
	s_add_co_i32 s24, s24, s2
	s_delay_alu instid0(SALU_CYCLE_1) | instskip(SKIP_1) | instid1(SALU_CYCLE_1)
	s_cmp_lt_i32 s24, s6
	s_cselect_b32 s9, -1, 0
	s_and_b32 s8, s8, s9
	s_delay_alu instid0(SALU_CYCLE_1)
	s_and_not1_b32 vcc_lo, exec_lo, s8
	s_cbranch_vccnz .LBB61_24
; %bb.8:
	s_mul_i32 s3, s3, s4
	s_load_b128 s[8:11], s[0:1], 0x0
	s_add_co_i32 s0, s3, s15
	s_mul_i32 s7, s7, s6
	s_mul_i32 s0, s0, s5
	s_wait_alu 0xfffe
	s_add_co_i32 s1, s24, s7
	s_mul_i32 s3, s5, s21
	s_add_co_i32 s0, s1, s0
	s_mulk_i32 s3, 0x600
	s_mulk_i32 s0, 0x60
	s_add_co_i32 s15, s15, s2
	v_add3_u32 v1, s3, s0, v0
	s_add_nc_u64 s[0:1], s[16:17], 0
	v_cvt_f32_u32_e32 v3, s16
	s_wait_alu 0xfffe
	s_xor_b64 s[6:7], s[0:1], 0
	s_lshl_b32 s0, ttmp9, 4
	v_ashrrev_i32_e32 v2, 31, v1
	s_wait_alu 0xfffe
	s_cvt_f32_u32 s1, s6
	s_cvt_f32_u32 s2, s7
	s_add_co_i32 s0, s0, s15
	v_rcp_iflag_f32_e32 v3, v3
	v_lshlrev_b64_e32 v[1:2], 2, v[1:2]
	s_wait_alu 0xfffe
	s_fmamk_f32 s2, s2, 0x4f800000, s1
	s_ashr_i32 s1, s0, 31
	s_add_co_i32 s34, ttmp9, -1
	s_wait_alu 0xfffe
	s_lshl_b64 s[0:1], s[0:1], 3
	v_s_rcp_f32 s2, s2
	s_wait_kmcnt 0x0
	v_add_co_u32 v1, vcc_lo, s8, v1
	s_delay_alu instid0(VALU_DEP_1)
	v_add_co_ci_u32_e64 v2, null, s9, v2, vcc_lo
	s_wait_alu 0xfffe
	s_add_nc_u64 s[0:1], s[10:11], s[0:1]
	s_mov_b32 s8, 0
	s_load_b64 s[26:27], s[0:1], 0x0
	global_load_b32 v5, v[1:2], off
	s_mul_f32 s2, s2, 0x5f7ffffc
	s_lshl_b32 s0, s16, 6
	s_mov_b32 s1, s8
	v_mul_f32_e32 v6, 0x4f7ffffe, v3
	s_wait_alu 0xfffe
	s_mul_f32 s3, s2, 0x2f800000
	s_lshl_b64 s[0:1], s[0:1], 2
	v_mad_co_u64_u32 v[3:4], null, 0x60, s15, v[0:1]
	s_wait_alu 0xfffe
	s_trunc_f32 s3, s3
	s_add_nc_u64 s[24:25], s[10:11], s[0:1]
	v_cvt_u32_f32_e32 v0, v6
	s_sub_nc_u64 s[30:31], 0, s[6:7]
	s_wait_alu 0xfffe
	s_fmamk_f32 s0, s3, 0xcf800000, s2
	s_cvt_u32_f32 s29, s3
	s_wait_alu 0xfffe
	s_delay_alu instid0(SALU_CYCLE_1)
	s_cvt_u32_f32 s28, s0
	s_wait_kmcnt 0x0
	v_mov_b32_e32 v4, s27
.LBB61_9:                               ; =>This Inner Loop Header: Depth=1
	s_wait_alu 0xfffe
	s_ashr_i32 s35, s34, 31
	s_mov_b32 s2, -1
	s_wait_alu 0xfffe
	s_mul_u64 s[0:1], s[34:35], s[18:19]
                                        ; implicit-def: $sgpr38_sgpr39
	s_wait_alu 0xfffe
	s_mov_b32 s9, s1
	s_wait_alu 0xfffe
	s_cmp_lg_u64 s[8:9], 0
	s_cbranch_scc0 .LBB61_11
; %bb.10:                               ;   in Loop: Header=BB61_9 Depth=1
	s_mul_u64 s[2:3], s[30:31], s[28:29]
	s_mov_b32 s37, s8
	s_wait_alu 0xfffe
	s_mul_hi_u32 s5, s28, s3
	s_mul_i32 s4, s28, s3
	s_mul_hi_u32 s36, s28, s2
	s_mul_hi_u32 s9, s29, s2
	s_wait_alu 0xfffe
	s_add_nc_u64 s[4:5], s[36:37], s[4:5]
	s_mul_i32 s2, s29, s2
	s_mul_hi_u32 s17, s29, s3
	s_wait_alu 0xfffe
	s_add_co_u32 s2, s4, s2
	s_add_co_ci_u32 s2, s5, s9
	s_add_co_ci_u32 s5, s17, 0
	s_mul_i32 s4, s29, s3
	s_mov_b32 s3, s8
	s_mov_b32 s39, s8
	s_wait_alu 0xfffe
	s_add_nc_u64 s[2:3], s[2:3], s[4:5]
	s_wait_alu 0xfffe
	s_add_co_u32 s2, s28, s2
	s_cselect_b32 s4, -1, 0
	s_wait_alu 0xfffe
	s_cmp_lg_u32 s4, 0
	s_add_co_ci_u32 s3, s29, s3
	s_wait_alu 0xfffe
	s_mul_u64 s[4:5], s[30:31], s[2:3]
	s_wait_alu 0xfffe
	s_mul_hi_u32 s37, s2, s5
	s_mul_i32 s36, s2, s5
	s_mul_hi_u32 s38, s2, s4
	s_mul_hi_u32 s9, s3, s4
	s_mul_i32 s4, s3, s4
	s_wait_alu 0xfffe
	s_add_nc_u64 s[36:37], s[38:39], s[36:37]
	s_mul_hi_u32 s17, s3, s5
	s_wait_alu 0xfffe
	s_add_co_u32 s4, s36, s4
	s_add_co_ci_u32 s4, s37, s9
	s_add_co_ci_u32 s37, s17, 0
	s_mul_i32 s36, s3, s5
	s_mov_b32 s5, s8
	s_wait_alu 0xfffe
	s_add_nc_u64 s[4:5], s[4:5], s[36:37]
	s_mov_b32 s37, s8
	s_wait_alu 0xfffe
	s_add_co_u32 s9, s2, s4
	s_cselect_b32 s2, -1, 0
	s_wait_alu 0xfffe
	s_cmp_lg_u32 s2, 0
	s_add_co_ci_u32 s17, s3, s5
	s_ashr_i32 s2, s1, 31
	s_wait_alu 0xfffe
	s_mov_b32 s3, s2
	s_wait_alu 0xfffe
	s_add_nc_u64 s[4:5], s[0:1], s[2:3]
	s_wait_alu 0xfffe
	s_xor_b64 s[4:5], s[4:5], s[2:3]
	s_wait_alu 0xfffe
	s_mul_hi_u32 s39, s4, s17
	s_mul_i32 s38, s4, s17
	s_mul_hi_u32 s36, s4, s9
	s_mul_i32 s21, s5, s9
	s_wait_alu 0xfffe
	s_add_nc_u64 s[36:37], s[36:37], s[38:39]
	s_mul_hi_u32 s9, s5, s9
	s_mul_hi_u32 s1, s5, s17
	s_wait_alu 0xfffe
	s_add_co_u32 s21, s36, s21
	s_add_co_ci_u32 s36, s37, s9
	s_add_co_ci_u32 s39, s1, 0
	s_mul_i32 s38, s5, s17
	s_mov_b32 s37, s8
	s_wait_alu 0xfffe
	s_add_nc_u64 s[36:37], s[36:37], s[38:39]
	s_wait_alu 0xfffe
	s_mul_u64 s[38:39], s[6:7], s[36:37]
	s_add_nc_u64 s[40:41], s[36:37], 1
	s_sub_co_u32 s1, s4, s38
	s_cselect_b32 s4, -1, 0
	s_sub_co_i32 s9, s5, s39
	s_wait_alu 0xfffe
	s_cmp_lg_u32 s4, 0
	s_add_nc_u64 s[42:43], s[36:37], 2
	s_sub_co_ci_u32 s9, s9, s7
	s_sub_co_u32 s17, s1, s6
	s_cselect_b32 s21, -1, 0
	s_delay_alu instid0(SALU_CYCLE_1)
	s_cmp_lg_u32 s21, 0
	s_wait_alu 0xfffe
	s_sub_co_ci_u32 s9, s9, 0
	s_wait_alu 0xfffe
	s_cmp_ge_u32 s9, s7
	s_cselect_b32 s21, -1, 0
	s_cmp_ge_u32 s17, s6
	s_cselect_b32 s17, -1, 0
	s_cmp_eq_u32 s9, s7
	s_wait_alu 0xfffe
	s_cselect_b32 s9, s17, s21
	s_wait_alu 0xfffe
	s_cmp_lg_u32 s9, 0
	s_cselect_b32 s9, s42, s40
	s_cselect_b32 s17, s43, s41
	s_cmp_lg_u32 s4, 0
	s_sub_co_ci_u32 s4, s5, s39
	s_wait_alu 0xfffe
	s_cmp_ge_u32 s4, s7
	s_cselect_b32 s5, -1, 0
	s_cmp_ge_u32 s1, s6
	s_cselect_b32 s1, -1, 0
	s_cmp_eq_u32 s4, s7
	s_wait_alu 0xfffe
	s_cselect_b32 s1, s1, s5
	s_wait_alu 0xfffe
	s_cmp_lg_u32 s1, 0
	s_cselect_b32 s5, s17, s37
	s_cselect_b32 s4, s9, s36
	s_xor_b64 s[2:3], s[2:3], 0
	s_wait_alu 0xfffe
	s_xor_b64 s[4:5], s[4:5], s[2:3]
	s_wait_alu 0xfffe
	s_sub_nc_u64 s[38:39], s[4:5], s[2:3]
	s_mov_b32 s2, 0
.LBB61_11:                              ;   in Loop: Header=BB61_9 Depth=1
	s_wait_alu 0xfffe
	s_and_not1_b32 vcc_lo, exec_lo, s2
	s_wait_alu 0xfffe
	s_cbranch_vccnz .LBB61_13
; %bb.12:                               ;   in Loop: Header=BB61_9 Depth=1
	v_readfirstlane_b32 s1, v0
	s_sub_co_i32 s2, 0, s16
	s_wait_alu 0xfffe
	s_mul_i32 s2, s2, s1
	s_wait_alu 0xfffe
	s_mul_hi_u32 s2, s1, s2
	s_wait_alu 0xfffe
	s_add_co_i32 s1, s1, s2
	s_wait_alu 0xfffe
	s_mul_hi_u32 s1, s0, s1
	s_wait_alu 0xfffe
	s_mul_i32 s2, s1, s16
	s_wait_alu 0xfffe
	s_sub_co_i32 s0, s0, s2
	s_add_co_i32 s2, s1, 1
	s_wait_alu 0xfffe
	s_sub_co_i32 s3, s0, s16
	s_cmp_ge_u32 s0, s16
	s_cselect_b32 s1, s2, s1
	s_wait_alu 0xfffe
	s_cselect_b32 s0, s3, s0
	s_add_co_i32 s2, s1, 1
	s_wait_alu 0xfffe
	s_cmp_ge_u32 s0, s16
	s_cselect_b32 s38, s2, s1
.LBB61_13:                              ;   in Loop: Header=BB61_9 Depth=1
	v_readfirstlane_b32 s9, v0
	s_cmp_lg_u32 s20, s38
	s_mov_b32 s0, -1
                                        ; implicit-def: $sgpr21
                                        ; implicit-def: $vgpr6
                                        ; implicit-def: $vgpr7
                                        ; implicit-def: $sgpr17
                                        ; implicit-def: $sgpr27
	s_cbranch_scc1 .LBB61_16
; %bb.14:                               ;   in Loop: Header=BB61_9 Depth=1
	s_wait_alu 0xfffe
	s_and_not1_b32 vcc_lo, exec_lo, s0
	s_wait_alu 0xfffe
	s_cbranch_vccz .LBB61_19
.LBB61_15:                              ;   in Loop: Header=BB61_9 Depth=1
	s_and_not1_b32 vcc_lo, exec_lo, s21
	s_wait_alu 0xfffe
	s_cbranch_vccnz .LBB61_20
	s_branch .LBB61_23
.LBB61_16:                              ;   in Loop: Header=BB61_9 Depth=1
	s_add_co_i32 s0, s34, s16
	s_mov_b32 s1, s8
	s_wait_alu 0xfffe
	s_lshl_b32 s0, s0, 4
	v_max_num_f32_e64 v6, s26, s26
	s_wait_alu 0xfffe
	s_add_co_i32 s0, s0, s15
	s_mov_b32 s39, s8
	s_wait_alu 0xfffe
	s_lshl_b64 s[0:1], s[0:1], 3
	s_mul_u64 s[40:41], s[38:39], s[22:23]
	s_wait_alu 0xfffe
	s_add_nc_u64 s[0:1], s[10:11], s[0:1]
	s_mov_b32 s27, s20
	s_load_b64 s[36:37], s[0:1], 0x0
	v_readfirstlane_b32 s0, v6
	s_wait_kmcnt 0x0
	v_max_num_f32_e64 v7, s36, s36
	s_delay_alu instid0(VALU_DEP_1) | instskip(SKIP_2) | instid1(SALU_CYCLE_2)
	v_readfirstlane_b32 s1, v7
	s_max_num_f32 s9, s0, s1
	s_wait_alu 0xfffe
	s_sub_f32 s33, s26, s9
	s_sub_f32 s35, s36, s9
	s_wait_alu 0xfffe
	s_delay_alu instid0(SALU_CYCLE_1)
	s_cmp_nlt_f32 s33, 0xc2ce8ed0
	s_cselect_b32 s0, -1, 0
	s_cmp_ngt_f32 s33, 0x42b17218
	s_cselect_b32 s1, -1, 0
	s_cmp_ge_f32 s33, 0xc1a00000
	s_cselect_b32 s2, -1, 0
	s_cmp_nlt_f32 s35, 0xc2ce8ed0
	s_cselect_b32 s3, -1, 0
	s_cmp_ngt_f32 s35, 0x42b17218
	s_cselect_b32 s4, -1, 0
	s_cmp_ge_f32 s35, 0xc1a00000
	s_cselect_b32 s5, -1, 0
	s_add_co_i32 s17, s41, s38
	s_wait_alu 0xfffe
	s_lshr_b32 s17, s17, s13
	s_wait_alu 0xfffe
	s_mul_i32 s21, s17, s14
	s_delay_alu instid0(SALU_CYCLE_1)
	s_cmp_eq_u32 s21, s38
	s_cselect_b32 s21, -1, 0
	s_cmp_lt_u32 s17, s12
	s_cselect_b32 s17, -1, 0
	s_wait_alu 0xfffe
	s_or_b32 s17, s17, s21
	s_mov_b32 s21, -1
	s_wait_alu 0xfffe
	s_and_b32 vcc_lo, exec_lo, s17
	s_mov_b32 s17, s34
	s_wait_alu 0xfffe
	s_cbranch_vccnz .LBB61_18
; %bb.17:                               ;   in Loop: Header=BB61_9 Depth=1
	s_add_co_i32 s17, s34, -1
	s_mov_b32 s21, 0
	s_mov_b32 s27, s38
.LBB61_18:                              ;   in Loop: Header=BB61_9 Depth=1
	v_mad_co_u64_u32 v[6:7], null, 0x600, s34, v[3:4]
	s_mul_f32 s36, s35, 0x3fb8aa3b
	s_mul_f32 s38, s33, 0x3fb8aa3b
	s_wait_alu 0xfffe
	s_delay_alu instid0(SALU_CYCLE_1)
	s_xor_b32 s39, s36, 0x80000000
	s_rndne_f32 s40, s36
	v_ashrrev_i32_e32 v7, 31, v6
	s_fmamk_f32 s39, s35, 0x3fb8aa3b, s39
	s_xor_b32 s41, s38, 0x80000000
	s_sub_f32 s36, s36, s40
	s_rndne_f32 s42, s38
	v_lshlrev_b64_e32 v[6:7], 2, v[6:7]
	s_fmamk_f32 s35, s35, 0x32a5705f, s39
	s_fmamk_f32 s39, s33, 0x3fb8aa3b, s41
	s_sub_f32 s38, s38, s42
	s_wait_alu 0xfffe
	s_add_f32 s35, s36, s35
	v_add_co_u32 v6, vcc_lo, s24, v6
	s_wait_alu 0xfffd
	v_add_co_ci_u32_e64 v7, null, s25, v7, vcc_lo
	s_fmamk_f32 s33, s33, 0x32a5705f, s39
	s_wait_alu 0xfffe
	v_s_exp_f32 s35, s35
	s_cvt_i32_f32 s36, s40
	global_load_b32 v6, v[6:7], off
	s_add_f32 s33, s38, s33
	s_wait_alu 0xfffe
	s_delay_alu instid0(SALU_CYCLE_2) | instskip(SKIP_2) | instid1(VALU_DEP_1)
	v_s_exp_f32 s33, s33
	v_ldexp_f32 v7, s35, s36
	s_cvt_i32_f32 s35, s42
	v_cndmask_b32_e64 v7, 0, v7, s3
	s_wait_alu 0xf1fe
	s_delay_alu instid0(TRANS32_DEP_1) | instid1(SALU_CYCLE_1)
	v_ldexp_f32 v8, s33, s35
	s_delay_alu instid0(VALU_DEP_2) | instskip(NEXT) | instid1(VALU_DEP_2)
	v_cndmask_b32_e64 v7, 0x7f800000, v7, s4
	v_cndmask_b32_e64 v8, 0, v8, s0
	s_delay_alu instid0(VALU_DEP_2) | instskip(NEXT) | instid1(VALU_DEP_2)
	v_cndmask_b32_e64 v7, 0, v7, s5
	v_cndmask_b32_e64 v8, 0x7f800000, v8, s1
	s_delay_alu instid0(VALU_DEP_1) | instskip(SKIP_1) | instid1(VALU_DEP_3)
	v_cndmask_b32_e64 v8, 0, v8, s2
	s_wait_loadcnt 0x0
	v_mul_f32_e32 v6, v6, v7
	v_mul_f32_e32 v7, s37, v7
	s_delay_alu instid0(VALU_DEP_1) | instskip(NEXT) | instid1(VALU_DEP_3)
	v_fmac_f32_e32 v7, v4, v8
	v_fmac_f32_e32 v6, v5, v8
	s_cbranch_execnz .LBB61_15
.LBB61_19:                              ;   in Loop: Header=BB61_9 Depth=1
	s_wait_loadcnt 0x0
	v_dual_mov_b32 v7, v4 :: v_dual_mov_b32 v6, v5
	s_add_co_i32 s17, s34, -1
	s_mov_b32 s27, s20
	s_mov_b32 s9, s26
	s_cbranch_execz .LBB61_23
.LBB61_20:                              ;   in Loop: Header=BB61_9 Depth=1
	s_wait_loadcnt 0x0
	v_dual_mov_b32 v4, v7 :: v_dual_mov_b32 v5, v6
	s_wait_alu 0xfffe
	s_mov_b32 s20, s27
	s_mov_b32 s34, s17
	;; [unrolled: 1-line block ×3, first 2 shown]
	s_branch .LBB61_9
.LBB61_21:
                                        ; implicit-def: $sgpr20_sgpr21
	s_branch .LBB61_2
.LBB61_22:
                                        ; implicit-def: $sgpr10_sgpr11
	s_load_b96 s[12:14], s[0:1], 0x44
	s_branch .LBB61_5
.LBB61_23:
	v_div_scale_f32 v0, null, v7, v7, v6
	s_delay_alu instid0(VALU_DEP_1) | instskip(NEXT) | instid1(TRANS32_DEP_1)
	v_rcp_f32_e32 v3, v0
	v_fma_f32 v4, -v0, v3, 1.0
	s_delay_alu instid0(VALU_DEP_1) | instskip(SKIP_2) | instid1(VALU_DEP_1)
	v_fmac_f32_e32 v3, v4, v3
	v_div_scale_f32 v4, vcc_lo, v6, v7, v6
	s_wait_loadcnt 0x0
	v_mul_f32_e32 v5, v4, v3
	s_delay_alu instid0(VALU_DEP_1) | instskip(NEXT) | instid1(VALU_DEP_1)
	v_fma_f32 v8, -v0, v5, v4
	v_fmac_f32_e32 v5, v8, v3
	s_delay_alu instid0(VALU_DEP_1) | instskip(SKIP_1) | instid1(VALU_DEP_1)
	v_fma_f32 v0, -v0, v5, v4
	s_wait_alu 0xfffd
	v_div_fmas_f32 v0, v0, v3, v5
	s_delay_alu instid0(VALU_DEP_1)
	v_div_fixup_f32 v0, v0, v7, v6
	global_store_b32 v[1:2], v0, off
.LBB61_24:
	s_endpgm
	.section	.rodata,"a",@progbits
	.p2align	6, 0x0
	.amdhsa_kernel _ZL33flash_attn_stream_k_fixup_generalILi96ELi16ELi1EEvPfPK15HIP_vector_typeIfLj2EEiiiiS1_IjLj3EES5_S5_S5_
		.amdhsa_group_segment_fixed_size 0
		.amdhsa_private_segment_fixed_size 0
		.amdhsa_kernarg_size 336
		.amdhsa_user_sgpr_count 2
		.amdhsa_user_sgpr_dispatch_ptr 0
		.amdhsa_user_sgpr_queue_ptr 0
		.amdhsa_user_sgpr_kernarg_segment_ptr 1
		.amdhsa_user_sgpr_dispatch_id 0
		.amdhsa_user_sgpr_private_segment_size 0
		.amdhsa_wavefront_size32 1
		.amdhsa_uses_dynamic_stack 0
		.amdhsa_enable_private_segment 0
		.amdhsa_system_sgpr_workgroup_id_x 1
		.amdhsa_system_sgpr_workgroup_id_y 1
		.amdhsa_system_sgpr_workgroup_id_z 1
		.amdhsa_system_sgpr_workgroup_info 0
		.amdhsa_system_vgpr_workitem_id 0
		.amdhsa_next_free_vgpr 9
		.amdhsa_next_free_sgpr 44
		.amdhsa_reserve_vcc 1
		.amdhsa_float_round_mode_32 0
		.amdhsa_float_round_mode_16_64 0
		.amdhsa_float_denorm_mode_32 3
		.amdhsa_float_denorm_mode_16_64 3
		.amdhsa_fp16_overflow 0
		.amdhsa_workgroup_processor_mode 1
		.amdhsa_memory_ordered 1
		.amdhsa_forward_progress 1
		.amdhsa_inst_pref_size 28
		.amdhsa_round_robin_scheduling 0
		.amdhsa_exception_fp_ieee_invalid_op 0
		.amdhsa_exception_fp_denorm_src 0
		.amdhsa_exception_fp_ieee_div_zero 0
		.amdhsa_exception_fp_ieee_overflow 0
		.amdhsa_exception_fp_ieee_underflow 0
		.amdhsa_exception_fp_ieee_inexact 0
		.amdhsa_exception_int_div_zero 0
	.end_amdhsa_kernel
	.section	.text._ZL33flash_attn_stream_k_fixup_generalILi96ELi16ELi1EEvPfPK15HIP_vector_typeIfLj2EEiiiiS1_IjLj3EES5_S5_S5_,"axG",@progbits,_ZL33flash_attn_stream_k_fixup_generalILi96ELi16ELi1EEvPfPK15HIP_vector_typeIfLj2EEiiiiS1_IjLj3EES5_S5_S5_,comdat
.Lfunc_end61:
	.size	_ZL33flash_attn_stream_k_fixup_generalILi96ELi16ELi1EEvPfPK15HIP_vector_typeIfLj2EEiiiiS1_IjLj3EES5_S5_S5_, .Lfunc_end61-_ZL33flash_attn_stream_k_fixup_generalILi96ELi16ELi1EEvPfPK15HIP_vector_typeIfLj2EEiiiiS1_IjLj3EES5_S5_S5_
                                        ; -- End function
	.set _ZL33flash_attn_stream_k_fixup_generalILi96ELi16ELi1EEvPfPK15HIP_vector_typeIfLj2EEiiiiS1_IjLj3EES5_S5_S5_.num_vgpr, 9
	.set _ZL33flash_attn_stream_k_fixup_generalILi96ELi16ELi1EEvPfPK15HIP_vector_typeIfLj2EEiiiiS1_IjLj3EES5_S5_S5_.num_agpr, 0
	.set _ZL33flash_attn_stream_k_fixup_generalILi96ELi16ELi1EEvPfPK15HIP_vector_typeIfLj2EEiiiiS1_IjLj3EES5_S5_S5_.numbered_sgpr, 44
	.set _ZL33flash_attn_stream_k_fixup_generalILi96ELi16ELi1EEvPfPK15HIP_vector_typeIfLj2EEiiiiS1_IjLj3EES5_S5_S5_.num_named_barrier, 0
	.set _ZL33flash_attn_stream_k_fixup_generalILi96ELi16ELi1EEvPfPK15HIP_vector_typeIfLj2EEiiiiS1_IjLj3EES5_S5_S5_.private_seg_size, 0
	.set _ZL33flash_attn_stream_k_fixup_generalILi96ELi16ELi1EEvPfPK15HIP_vector_typeIfLj2EEiiiiS1_IjLj3EES5_S5_S5_.uses_vcc, 1
	.set _ZL33flash_attn_stream_k_fixup_generalILi96ELi16ELi1EEvPfPK15HIP_vector_typeIfLj2EEiiiiS1_IjLj3EES5_S5_S5_.uses_flat_scratch, 0
	.set _ZL33flash_attn_stream_k_fixup_generalILi96ELi16ELi1EEvPfPK15HIP_vector_typeIfLj2EEiiiiS1_IjLj3EES5_S5_S5_.has_dyn_sized_stack, 0
	.set _ZL33flash_attn_stream_k_fixup_generalILi96ELi16ELi1EEvPfPK15HIP_vector_typeIfLj2EEiiiiS1_IjLj3EES5_S5_S5_.has_recursion, 0
	.set _ZL33flash_attn_stream_k_fixup_generalILi96ELi16ELi1EEvPfPK15HIP_vector_typeIfLj2EEiiiiS1_IjLj3EES5_S5_S5_.has_indirect_call, 0
	.section	.AMDGPU.csdata,"",@progbits
; Kernel info:
; codeLenInByte = 3552
; TotalNumSgprs: 46
; NumVgprs: 9
; ScratchSize: 0
; MemoryBound: 0
; FloatMode: 240
; IeeeMode: 1
; LDSByteSize: 0 bytes/workgroup (compile time only)
; SGPRBlocks: 0
; VGPRBlocks: 1
; NumSGPRsForWavesPerEU: 46
; NumVGPRsForWavesPerEU: 9
; Occupancy: 16
; WaveLimiterHint : 0
; COMPUTE_PGM_RSRC2:SCRATCH_EN: 0
; COMPUTE_PGM_RSRC2:USER_SGPR: 2
; COMPUTE_PGM_RSRC2:TRAP_HANDLER: 0
; COMPUTE_PGM_RSRC2:TGID_X_EN: 1
; COMPUTE_PGM_RSRC2:TGID_Y_EN: 1
; COMPUTE_PGM_RSRC2:TGID_Z_EN: 1
; COMPUTE_PGM_RSRC2:TIDIG_COMP_CNT: 0
	.section	.text._ZL15flash_attn_tileILi96ELi96ELi8ELi1ELb0EEvPKcS1_S1_S1_S1_PKiPfP15HIP_vector_typeIfLj2EEffffjfiS5_IjLj3EEiiiiiiiiiiiliiliiiiil,"axG",@progbits,_ZL15flash_attn_tileILi96ELi96ELi8ELi1ELb0EEvPKcS1_S1_S1_S1_PKiPfP15HIP_vector_typeIfLj2EEffffjfiS5_IjLj3EEiiiiiiiiiiiliiliiiiil,comdat
	.globl	_ZL15flash_attn_tileILi96ELi96ELi8ELi1ELb0EEvPKcS1_S1_S1_S1_PKiPfP15HIP_vector_typeIfLj2EEffffjfiS5_IjLj3EEiiiiiiiiiiiliiliiiiil ; -- Begin function _ZL15flash_attn_tileILi96ELi96ELi8ELi1ELb0EEvPKcS1_S1_S1_S1_PKiPfP15HIP_vector_typeIfLj2EEffffjfiS5_IjLj3EEiiiiiiiiiiiliiliiiiil
	.p2align	8
	.type	_ZL15flash_attn_tileILi96ELi96ELi8ELi1ELb0EEvPKcS1_S1_S1_S1_PKiPfP15HIP_vector_typeIfLj2EEffffjfiS5_IjLj3EEiiiiiiiiiiiliiliiiiil,@function
_ZL15flash_attn_tileILi96ELi96ELi8ELi1ELb0EEvPKcS1_S1_S1_S1_PKiPfP15HIP_vector_typeIfLj2EEffffjfiS5_IjLj3EEiiiiiiiiiiiliiliiiiil: ; @_ZL15flash_attn_tileILi96ELi96ELi8ELi1ELb0EEvPKcS1_S1_S1_S1_PKiPfP15HIP_vector_typeIfLj2EEffffjfiS5_IjLj3EEiiiiiiiiiiiliiliiiiil
; %bb.0:
	s_clause 0x1
	s_load_b128 s[20:23], s[0:1], 0x5c
	s_load_b64 s[36:37], s[0:1], 0x80
	s_lshr_b32 s4, ttmp7, 16
	s_mov_b32 s39, 0
	s_mov_b64 s[34:35], 0
	s_wait_kmcnt 0x0
	s_cvt_f32_u32 s2, s23
	s_sub_co_i32 s3, 0, s23
	s_delay_alu instid0(SALU_CYCLE_2) | instskip(NEXT) | instid1(TRANS32_DEP_1)
	v_rcp_iflag_f32_e32 v1, s2
	v_readfirstlane_b32 s2, v1
	s_mul_f32 s2, s2, 0x4f7ffffe
	s_wait_alu 0xfffe
	s_delay_alu instid0(SALU_CYCLE_2) | instskip(SKIP_1) | instid1(SALU_CYCLE_2)
	s_cvt_u32_f32 s2, s2
	s_wait_alu 0xfffe
	s_mul_i32 s3, s3, s2
	s_wait_alu 0xfffe
	s_mul_hi_u32 s3, s2, s3
	s_wait_alu 0xfffe
	s_add_co_i32 s2, s2, s3
	s_wait_alu 0xfffe
	s_mul_hi_u32 s2, s4, s2
	s_wait_alu 0xfffe
	s_mul_i32 s3, s2, s23
	s_add_co_i32 s5, s2, 1
	s_wait_alu 0xfffe
	s_sub_co_i32 s3, s4, s3
	s_wait_alu 0xfffe
	s_sub_co_i32 s6, s3, s23
	s_cmp_ge_u32 s3, s23
	s_cselect_b32 s2, s5, s2
	s_cselect_b32 s3, s6, s3
	s_wait_alu 0xfffe
	s_add_co_i32 s5, s2, 1
	s_cmp_ge_u32 s3, s23
	s_cselect_b32 s28, s5, s2
	s_abs_i32 s2, s37
	s_abs_i32 s7, s23
	s_wait_alu 0xfffe
	s_cvt_f32_u32 s3, s2
	s_sub_co_i32 s5, 0, s2
	s_xor_b32 s6, s23, s37
	s_wait_alu 0xfffe
	v_rcp_iflag_f32_e32 v1, s3
	s_ashr_i32 s6, s6, 31
	s_delay_alu instid0(TRANS32_DEP_1) | instskip(SKIP_2) | instid1(SALU_CYCLE_2)
	v_readfirstlane_b32 s3, v1
	s_mul_f32 s3, s3, 0x4f7ffffe
	s_wait_alu 0xfffe
	s_cvt_u32_f32 s3, s3
	s_wait_alu 0xfffe
	s_delay_alu instid0(SALU_CYCLE_2) | instskip(NEXT) | instid1(SALU_CYCLE_1)
	s_mul_i32 s5, s5, s3
	s_mul_hi_u32 s5, s3, s5
	s_delay_alu instid0(SALU_CYCLE_1)
	s_add_co_i32 s3, s3, s5
	s_mul_i32 s5, s28, s23
	s_wait_alu 0xfffe
	s_mul_hi_u32 s3, s7, s3
	s_sub_co_i32 s30, s4, s5
	s_wait_alu 0xfffe
	s_mul_i32 s8, s3, s2
	s_add_co_i32 s5, s3, 1
	s_sub_co_i32 s4, s7, s8
	s_delay_alu instid0(SALU_CYCLE_1)
	s_sub_co_i32 s7, s4, s2
	s_cmp_ge_u32 s4, s2
	s_cselect_b32 s3, s5, s3
	s_cselect_b32 s4, s7, s4
	s_wait_alu 0xfffe
	s_add_co_i32 s5, s3, 1
	s_cmp_ge_u32 s4, s2
	s_cselect_b32 s2, s5, s3
	s_wait_alu 0xfffe
	s_xor_b32 s2, s2, s6
	s_wait_alu 0xfffe
	s_sub_co_i32 s29, s2, s6
	s_delay_alu instid0(SALU_CYCLE_1) | instskip(NEXT) | instid1(SALU_CYCLE_1)
	s_abs_i32 s33, s29
	s_cvt_f32_u32 s2, s33
	s_wait_alu 0xfffe
	s_delay_alu instid0(SALU_CYCLE_2) | instskip(SKIP_3) | instid1(TRANS32_DEP_1)
	v_rcp_iflag_f32_e32 v1, s2
	s_clause 0x1
	s_load_b512 s[4:19], s[0:1], 0x0
	s_load_b64 s[2:3], s[0:1], 0xb8
	v_readfirstlane_b32 s24, v1
	s_mul_f32 s24, s24, 0x4f7ffffe
	s_delay_alu instid0(SALU_CYCLE_3) | instskip(SKIP_4) | instid1(SALU_CYCLE_1)
	s_cvt_u32_f32 s31, s24
	s_sub_co_i32 s24, 0, s33
	s_wait_kmcnt 0x0
	s_cmp_eq_u64 s[10:11], 0
	s_mul_i32 s24, s24, s31
	s_mul_hi_u32 s37, s31, s24
	s_cbranch_scc1 .LBB62_2
; %bb.1:
	s_abs_i32 s2, s2
	s_wait_alu 0xfffe
	s_cvt_f32_u32 s24, s2
	s_delay_alu instid0(SALU_CYCLE_3) | instskip(NEXT) | instid1(TRANS32_DEP_1)
	v_rcp_iflag_f32_e32 v1, s24
	v_readfirstlane_b32 s24, v1
	s_mul_f32 s24, s24, 0x4f7ffffe
	s_wait_alu 0xfffe
	s_delay_alu instid0(SALU_CYCLE_2) | instskip(SKIP_2) | instid1(SALU_CYCLE_1)
	s_cvt_u32_f32 s26, s24
	s_sub_co_i32 s24, 0, s2
	s_wait_alu 0xfffe
	s_mul_i32 s24, s24, s26
	s_wait_alu 0xfffe
	s_mul_hi_u32 s27, s26, s24
	s_load_b64 s[24:25], s[0:1], 0xc8
	s_add_co_i32 s26, s26, s27
	s_delay_alu instid0(SALU_CYCLE_1) | instskip(NEXT) | instid1(SALU_CYCLE_1)
	s_mul_hi_u32 s26, s28, s26
	s_mul_i32 s26, s26, s2
	s_delay_alu instid0(SALU_CYCLE_1) | instskip(NEXT) | instid1(SALU_CYCLE_1)
	s_sub_co_i32 s26, s28, s26
	s_sub_co_i32 s27, s26, s2
	s_cmp_ge_u32 s26, s2
	s_cselect_b32 s26, s27, s26
	s_delay_alu instid0(SALU_CYCLE_1) | instskip(SKIP_2) | instid1(SALU_CYCLE_1)
	s_sub_co_i32 s27, s26, s2
	s_cmp_ge_u32 s26, s2
	s_cselect_b32 s26, s27, s26
	s_ashr_i32 s27, s26, 31
	s_wait_kmcnt 0x0
	s_mul_u64 s[24:25], s[24:25], s[26:27]
	s_wait_alu 0xfffe
	s_add_nc_u64 s[34:35], s[10:11], s[24:25]
.LBB62_2:
	s_clause 0x1
	s_load_b128 s[24:27], s[0:1], 0x40
	s_load_b32 s2, s[0:1], 0x50
	s_abs_i32 s38, s30
	s_add_co_i32 s10, s31, s37
	v_mov_b32_e32 v57, 1.0
	s_wait_kmcnt 0x0
	s_cmp_le_f32 s25, 0
	s_cbranch_scc1 .LBB62_4
; %bb.3:
	v_sub_co_u32 v1, s2, s30, s2
	s_and_b32 s25, s2, exec_lo
	s_cselect_b32 s25, s26, s27
	s_add_co_i32 s26, s30, 1
	v_readfirstlane_b32 s11, v1
	s_lshl_b32 s11, s11, 1
	s_delay_alu instid0(SALU_CYCLE_1)
	s_or_b32 s11, s11, 1
	s_and_b32 s2, s2, exec_lo
	s_cselect_b32 s2, s26, s11
	s_wait_alu 0xfffe
	s_cmp_neq_f32 s25, 1.0
	s_cvt_f32_i32 s2, s2
	s_wait_alu 0xfffe
	s_delay_alu instid0(SALU_CYCLE_2) | instskip(NEXT) | instid1(SALU_CYCLE_1)
	s_cselect_b32 s11, s2, 1.0
	s_cmp_neq_f32 s11, 0
	s_cselect_b32 s2, s25, 1.0
	s_wait_alu 0xfffe
	v_frexp_mant_f32_e64 v1, |s2|
	s_delay_alu instid0(VALU_DEP_1) | instskip(SKIP_3) | instid1(SALU_CYCLE_1)
	v_readfirstlane_b32 s25, v1
	v_cvt_f64_f32_e64 v[1:2], |s2|
	s_cmp_lt_f32 s25, 0x3f2aaaab
	s_cselect_b32 s26, -1, 0
	s_and_b32 s27, s26, exec_lo
	s_cselect_b32 s27, 2.0, 1.0
	s_delay_alu instid0(SALU_CYCLE_1) | instskip(SKIP_1) | instid1(SALU_CYCLE_2)
	s_mul_f32 s25, s25, s27
	s_wait_alu 0xfffe
	s_add_f32 s27, s25, 1.0
	s_add_f32 s37, s25, -1.0
	s_delay_alu instid0(SALU_CYCLE_2) | instskip(SKIP_1) | instid1(SALU_CYCLE_3)
	v_s_rcp_f32 s31, s27
	s_add_f32 s42, s27, -1.0
	s_sub_f32 s25, s25, s42
	s_delay_alu instid0(TRANS32_DEP_1) | instskip(NEXT) | instid1(SALU_CYCLE_3)
	s_mul_f32 s40, s37, s31
	s_mul_f32 s41, s27, s40
	s_delay_alu instid0(SALU_CYCLE_3) | instskip(NEXT) | instid1(VALU_DEP_1)
	s_xor_b32 s43, s41, 0x80000000
	v_frexp_exp_i32_f64_e32 v1, v[1:2]
	s_fmac_f32 s43, s40, s27
	s_wait_alu 0xfffe
	s_delay_alu instid0(SALU_CYCLE_2) | instskip(NEXT) | instid1(SALU_CYCLE_3)
	s_fmac_f32 s43, s40, s25
	s_add_f32 s25, s41, s43
	s_wait_alu 0xfffe
	s_delay_alu instid0(SALU_CYCLE_2) | instskip(SKIP_2) | instid1(SALU_CYCLE_1)
	s_sub_f32 s27, s37, s25
	s_sub_f32 s41, s25, s41
	s_wait_alu 0xfffe
	s_sub_f32 s37, s37, s27
	s_delay_alu instid0(SALU_CYCLE_1) | instskip(NEXT) | instid1(SALU_CYCLE_2)
	s_sub_f32 s41, s41, s43
	s_sub_f32 s25, s37, s25
	s_wait_alu 0xfffe
	s_delay_alu instid0(SALU_CYCLE_2) | instskip(SKIP_2) | instid1(SALU_CYCLE_1)
	s_add_f32 s25, s41, s25
	s_mov_b32 s41, 0x3e76c4e1
	s_wait_alu 0xfffe
	s_add_f32 s25, s27, s25
	s_wait_alu 0xfffe
	s_delay_alu instid0(SALU_CYCLE_2) | instskip(SKIP_1) | instid1(SALU_CYCLE_2)
	s_mul_f32 s25, s31, s25
	s_wait_alu 0xfffe
	s_add_f32 s27, s40, s25
	s_wait_alu 0xfffe
	s_delay_alu instid0(SALU_CYCLE_2) | instskip(SKIP_2) | instid1(SALU_CYCLE_1)
	s_sub_f32 s31, s27, s40
	s_mul_f32 s37, s27, s27
	s_wait_alu 0xfffe
	s_sub_f32 s25, s25, s31
	s_delay_alu instid0(SALU_CYCLE_1) | instskip(SKIP_4) | instid1(SALU_CYCLE_2)
	s_xor_b32 s31, s37, 0x80000000
	s_wait_alu 0xfffe
	s_fmac_f32 s31, s27, s27
	s_add_f32 s40, s25, s25
	s_wait_alu 0xfffe
	s_fmac_f32 s31, s27, s40
	s_wait_alu 0xfffe
	s_delay_alu instid0(SALU_CYCLE_2) | instskip(NEXT) | instid1(SALU_CYCLE_3)
	s_add_f32 s40, s37, s31
	s_fmaak_f32 s41, s40, s41, 0x3e91f4c4
	s_sub_f32 s37, s40, s37
	s_delay_alu instid0(SALU_CYCLE_2) | instskip(NEXT) | instid1(SALU_CYCLE_2)
	s_fmaak_f32 s41, s40, s41, 0x3ecccdef
	s_sub_f32 s31, s31, s37
	s_mul_f32 s37, s27, s40
	s_delay_alu instid0(SALU_CYCLE_1) | instskip(NEXT) | instid1(SALU_CYCLE_2)
	s_mul_f32 s42, s40, s41
	s_xor_b32 s44, s37, 0x80000000
	s_delay_alu instid0(SALU_CYCLE_2) | instskip(SKIP_2) | instid1(SALU_CYCLE_2)
	s_xor_b32 s43, s42, 0x80000000
	s_fmac_f32 s44, s40, s27
	s_fmac_f32 s43, s40, s41
	;; [unrolled: 1-line block ×3, first 2 shown]
	s_wait_alu 0xfffe
	s_delay_alu instid0(SALU_CYCLE_1) | instskip(NEXT) | instid1(SALU_CYCLE_1)
	s_fmac_f32 s43, s31, s41
	s_fmac_f32 s44, s31, s27
	s_delay_alu instid0(SALU_CYCLE_2) | instskip(NEXT) | instid1(SALU_CYCLE_3)
	s_add_f32 s41, s42, s43
	s_sub_f32 s42, s41, s42
	s_add_f32 s45, s41, 0x3f2aaaaa
	s_delay_alu instid0(SALU_CYCLE_2) | instskip(NEXT) | instid1(SALU_CYCLE_2)
	s_sub_f32 s42, s43, s42
	s_add_f32 s43, s45, 0xbf2aaaaa
	s_delay_alu instid0(SALU_CYCLE_2) | instskip(NEXT) | instid1(SALU_CYCLE_2)
	s_add_f32 s40, s42, 0x31739010
	s_sub_f32 s41, s41, s43
	s_delay_alu instid0(SALU_CYCLE_3) | instskip(SKIP_2) | instid1(SALU_CYCLE_1)
	s_add_f32 s31, s40, s41
	s_add_f32 s40, s37, s44
	s_wait_alu 0xfffe
	s_add_f32 s41, s45, s31
	s_delay_alu instid0(SALU_CYCLE_1) | instskip(NEXT) | instid1(SALU_CYCLE_2)
	s_sub_f32 s37, s40, s37
	s_mul_f32 s42, s40, s41
	s_sub_f32 s43, s45, s41
	s_delay_alu instid0(SALU_CYCLE_1) | instskip(NEXT) | instid1(SALU_CYCLE_1)
	s_sub_f32 s37, s44, s37
	s_xor_b32 s45, s42, 0x80000000
	s_delay_alu instid0(SALU_CYCLE_1)
	s_add_f32 s31, s31, s43
	s_fmac_f32 s45, s40, s41
	v_readfirstlane_b32 s43, v1
	v_ldexp_f32 v1, s27, 1
	s_cmp_lg_u32 s26, 0
	s_wait_alu 0xfffe
	s_fmac_f32 s45, s40, s31
	s_sub_co_ci_u32 s26, s43, 0
	v_readfirstlane_b32 s27, v1
	s_delay_alu instid0(SALU_CYCLE_1)
	s_fmac_f32 s45, s37, s41
	s_wait_alu 0xfffe
	s_cvt_f32_i32 s26, s26
	v_ldexp_f32 v1, s25, 1
	s_add_f32 s31, s42, s45
	s_wait_alu 0xfffe
	s_mul_f32 s25, s26, 0x3f317218
	s_delay_alu instid0(VALU_DEP_1)
	v_readfirstlane_b32 s41, v1
	s_add_f32 s37, s27, s31
	s_sub_f32 s40, s31, s42
	s_wait_alu 0xfffe
	s_xor_b32 s42, s25, 0x80000000
	s_sub_f32 s27, s37, s27
	s_sub_f32 s40, s45, s40
	s_fmamk_f32 s42, s26, 0x3f317218, s42
	s_wait_alu 0xfffe
	s_sub_f32 s27, s31, s27
	s_add_f32 s31, s41, s40
	s_fmamk_f32 s26, s26, 0xb102e308, s42
	s_wait_alu 0xfffe
	s_delay_alu instid0(SALU_CYCLE_1) | instskip(NEXT) | instid1(SALU_CYCLE_1)
	s_add_f32 s27, s31, s27
	s_add_f32 s31, s25, s26
	s_wait_alu 0xfffe
	s_delay_alu instid0(SALU_CYCLE_1) | instskip(NEXT) | instid1(SALU_CYCLE_1)
	s_add_f32 s40, s37, s27
	s_sub_f32 s25, s31, s25
	s_delay_alu instid0(SALU_CYCLE_2)
	s_add_f32 s41, s31, s40
	s_sub_f32 s37, s40, s37
	s_wait_alu 0xfffe
	s_sub_f32 s25, s26, s25
	s_sub_f32 s42, s41, s31
	;; [unrolled: 1-line block ×3, first 2 shown]
	s_delay_alu instid0(SALU_CYCLE_2)
	s_sub_f32 s43, s41, s42
	s_sub_f32 s27, s40, s42
	s_wait_alu 0xfffe
	s_add_f32 s37, s25, s26
	s_sub_f32 s31, s31, s43
	s_wait_alu 0xfffe
	s_delay_alu instid0(SALU_CYCLE_2) | instskip(SKIP_2) | instid1(SALU_CYCLE_1)
	s_add_f32 s27, s27, s31
	s_sub_f32 s31, s37, s25
	s_wait_alu 0xfffe
	s_add_f32 s27, s37, s27
	s_delay_alu instid0(SALU_CYCLE_1) | instskip(SKIP_4) | instid1(SALU_CYCLE_2)
	s_sub_f32 s37, s37, s31
	s_sub_f32 s26, s26, s31
	s_wait_alu 0xfffe
	s_add_f32 s40, s41, s27
	s_sub_f32 s25, s25, s37
	s_sub_f32 s31, s40, s41
	s_wait_alu 0xfffe
	s_delay_alu instid0(SALU_CYCLE_1) | instskip(NEXT) | instid1(SALU_CYCLE_1)
	s_add_f32 s25, s26, s25
	s_sub_f32 s26, s27, s31
	s_wait_alu 0xfffe
	s_delay_alu instid0(SALU_CYCLE_2) | instskip(SKIP_1) | instid1(SALU_CYCLE_2)
	s_add_f32 s25, s25, s26
	s_wait_alu 0xfffe
	s_add_f32 s26, s40, s25
	s_wait_alu 0xfffe
	s_delay_alu instid0(SALU_CYCLE_2) | instskip(SKIP_2) | instid1(SALU_CYCLE_1)
	s_mul_f32 s27, s11, s26
	s_sub_f32 s31, s26, s40
	s_wait_alu 0xfffe
	s_xor_b32 s37, s27, 0x80000000
	s_delay_alu instid0(SALU_CYCLE_1) | instskip(SKIP_2) | instid1(SALU_CYCLE_2)
	s_sub_f32 s25, s25, s31
	s_fmac_f32 s37, s11, s26
	s_wait_alu 0xfffe
	s_fmac_f32 s37, s11, s25
	v_cmp_class_f32_e64 s25, s27, 0x204
	s_delay_alu instid0(SALU_CYCLE_2) | instskip(SKIP_2) | instid1(SALU_CYCLE_1)
	s_add_f32 s26, s27, s37
	s_and_b32 s25, s25, exec_lo
	s_wait_alu 0xfffe
	s_sub_f32 s25, s26, s27
	s_cselect_b32 s26, s27, s26
	s_wait_alu 0xfffe
	s_and_b32 s27, s26, 0x7fffffff
	s_sub_f32 s25, s37, s25
	s_wait_alu 0xfffe
	s_cmp_neq_f32 s27, 0x7f800000
	s_delay_alu instid0(SALU_CYCLE_1)
	s_cselect_b32 s25, s25, 0
	s_cmp_eq_f32 s26, 0x42b17218
	s_cselect_b32 s27, 0x37000000, 0
	s_wait_alu 0xfffe
	s_sub_f32 s26, s26, s27
	s_add_f32 s25, s27, s25
	s_wait_alu 0xfffe
	s_delay_alu instid0(SALU_CYCLE_1) | instskip(SKIP_1) | instid1(SALU_CYCLE_2)
	s_mul_f32 s31, s26, 0x3fb8aa3b
	s_wait_alu 0xfffe
	s_xor_b32 s37, s31, 0x80000000
	s_rndne_f32 s40, s31
	s_fmamk_f32 s37, s26, 0x3fb8aa3b, s37
	s_cmp_nlt_f32 s26, 0xc2ce8ed0
	s_delay_alu instid0(SALU_CYCLE_1) | instskip(NEXT) | instid1(SALU_CYCLE_1)
	s_sub_f32 s31, s31, s40
	s_fmamk_f32 s37, s26, 0x32a5705f, s37
	s_cselect_b32 vcc_lo, -1, 0
	s_cmp_ngt_f32 s26, 0x42b17218
	s_trunc_f32 s26, s11
	s_wait_alu 0xfffe
	s_add_f32 s31, s31, s37
	s_cvt_i32_f32 s37, s40
	s_wait_alu 0xfffe
	s_delay_alu instid0(SALU_CYCLE_1) | instskip(SKIP_1) | instid1(TRANS32_DEP_1)
	v_s_exp_f32 s31, s31
	s_wait_alu 0xf1ff
	v_ldexp_f32 v1, s31, s37
	s_mul_f32 s31, s11, 0.5
	s_delay_alu instid0(VALU_DEP_1)
	v_cndmask_b32_e32 v1, 0, v1, vcc_lo
	s_cselect_b32 vcc_lo, -1, 0
	s_cmp_eq_f32 s26, s11
	s_wait_alu 0xfffe
	s_trunc_f32 s37, s31
	v_cndmask_b32_e32 v1, 0x7f800000, v1, vcc_lo
	s_cselect_b32 s40, -1, 0
	s_wait_alu 0xfffe
	s_cmp_neq_f32 s37, s31
	s_delay_alu instid0(VALU_DEP_1)
	v_fma_f32 v2, s25, v1, v1
	v_cmp_class_f32_e64 vcc_lo, v1, 0x204
	s_cselect_b32 s27, -1, 0
	s_wait_alu 0xfffe
	s_and_b32 s25, s40, s27
	s_wait_alu 0xfffd
	v_cndmask_b32_e32 v1, v2, v1, vcc_lo
	s_wait_alu 0xfffe
	s_and_b32 s27, s25, exec_lo
	s_cselect_b32 s27, s2, 1.0
	s_cmp_eq_f32 s26, s11
	v_cmp_class_f32_e64 s26, s2, 0x204
	s_wait_alu 0xfffe
	v_bfi_b32 v1, 0x7fffffff, v1, s27
	s_cselect_b32 vcc_lo, -1, 0
	s_cmp_lt_f32 s2, 0
	s_wait_alu 0xfffe
	s_delay_alu instid0(VALU_DEP_1) | instskip(SKIP_3) | instid1(VALU_DEP_1)
	v_cndmask_b32_e32 v2, 0x7fc00000, v1, vcc_lo
	s_cselect_b32 vcc_lo, -1, 0
	s_cmp_eq_f32 s2, 0
	s_wait_alu 0xfffe
	v_cndmask_b32_e32 v1, v1, v2, vcc_lo
	s_cselect_b32 s27, -1, 0
	s_wait_alu 0xfffe
	s_or_b32 vcc_lo, s27, s26
	s_cmp_lt_f32 s11, 0
	s_cselect_b32 s11, -1, 0
	s_delay_alu instid0(SALU_CYCLE_1) | instskip(NEXT) | instid1(SALU_CYCLE_1)
	s_xor_b32 s11, s11, s27
	s_and_b32 s11, s11, exec_lo
	s_cselect_b32 s11, 0, 0x7f800000
	s_and_b32 s25, s25, exec_lo
	s_cselect_b32 s25, s2, 0
	s_cmp_o_f32 s2, s2
	s_wait_alu 0xfffe
	v_mov_b32_e32 v2, s25
	s_delay_alu instid0(VALU_DEP_1) | instskip(NEXT) | instid1(VALU_DEP_1)
	v_bfi_b32 v2, 0x7fffffff, s11, v2
	v_cndmask_b32_e32 v1, v1, v2, vcc_lo
	s_cselect_b32 vcc_lo, -1, 0
	s_wait_alu 0xfffe
	s_delay_alu instid0(VALU_DEP_1)
	v_cndmask_b32_e32 v57, 0x7fc00000, v1, vcc_lo
.LBB62_4:
	v_and_b32_e32 v40, 0x3ff, v0
	v_bfe_u32 v55, v0, 10, 10
	s_lshl_b32 s11, ttmp9, 3
	s_movk_i32 s25, 0xc0
	s_delay_alu instid0(VALU_DEP_2)
	v_cmp_gt_u32_e64 s2, 24, v40
	s_wait_alu 0xfffe
	v_mad_u32_u24 v61, v55, s25, 0xe80
	v_lshlrev_b32_e32 v51, 3, v40
	v_add_nc_u32_e32 v41, s11, v55
	s_mov_b32 s11, s39
	s_and_saveexec_b32 s25, s2
	s_cbranch_execz .LBB62_6
; %bb.5:
	s_delay_alu instid0(VALU_DEP_1) | instskip(SKIP_2) | instid1(VALU_DEP_2)
	v_mul_hi_u32 v0, s20, v41
	s_load_b96 s[40:42], s[0:1], 0x70
	v_add_nc_u32_e32 v4, v61, v51
	v_add_nc_u32_e32 v0, v41, v0
	s_delay_alu instid0(VALU_DEP_1) | instskip(NEXT) | instid1(VALU_DEP_1)
	v_lshrrev_b32_e32 v0, s21, v0
	v_mul_lo_u32 v0, v0, s22
	s_wait_kmcnt 0x0
	s_mul_i32 s26, s30, s41
	s_ashr_i32 s41, s40, 31
	s_delay_alu instid0(SALU_CYCLE_1) | instskip(SKIP_1) | instid1(VALU_DEP_1)
	s_lshr_b64 s[44:45], s[40:41], 2
	s_lshr_b32 s27, s41, 2
	v_sub_nc_u32_e32 v2, v41, v0
	s_mul_i32 s40, s28, s42
	s_delay_alu instid0(SALU_CYCLE_1) | instskip(NEXT) | instid1(SALU_CYCLE_1)
	s_ashr_i32 s41, s40, 31
	s_add_nc_u64 s[4:5], s[4:5], s[40:41]
	s_delay_alu instid0(VALU_DEP_1) | instskip(SKIP_1) | instid1(VALU_DEP_1)
	v_mad_co_u64_u32 v[0:1], null, s44, v2, 0
	s_wait_alu 0xfffe
	v_mad_co_u64_u32 v[1:2], null, s27, v2, v[1:2]
	s_ashr_i32 s27, s26, 31
	v_lshlrev_b32_e32 v2, 4, v40
	s_wait_alu 0xfffe
	s_add_nc_u64 s[4:5], s[4:5], s[26:27]
	v_lshlrev_b64_e32 v[0:1], 2, v[0:1]
	s_delay_alu instid0(VALU_DEP_1) | instskip(SKIP_1) | instid1(VALU_DEP_2)
	v_add_co_u32 v0, vcc_lo, s4, v0
	s_wait_alu 0xfffd
	v_add_co_ci_u32_e64 v1, null, s5, v1, vcc_lo
	s_delay_alu instid0(VALU_DEP_2) | instskip(SKIP_1) | instid1(VALU_DEP_2)
	v_add_co_u32 v0, vcc_lo, v0, v2
	s_wait_alu 0xfffd
	v_add_co_ci_u32_e64 v1, null, 0, v1, vcc_lo
	global_load_b128 v[0:3], v[0:1], off
	s_wait_loadcnt 0x0
	v_fma_mixlo_f16 v1, s24, v1, 0
	v_fma_mixlo_f16 v0, s24, v0, 0
	;; [unrolled: 1-line block ×4, first 2 shown]
	s_delay_alu instid0(VALU_DEP_4) | instskip(NEXT) | instid1(VALU_DEP_4)
	v_lshlrev_b32_e32 v1, 16, v1
	v_and_b32_e32 v0, 0xffff, v0
	s_delay_alu instid0(VALU_DEP_4) | instskip(NEXT) | instid1(VALU_DEP_4)
	v_and_b32_e32 v2, 0xffff, v2
	v_lshlrev_b32_e32 v3, 16, v3
	s_delay_alu instid0(VALU_DEP_3) | instskip(NEXT) | instid1(VALU_DEP_2)
	v_or_b32_e32 v0, v1, v0
	v_or3_b32 v1, v3, v2, 0
	s_delay_alu instid0(VALU_DEP_2)
	v_or3_b32 v0, 0, 0, v0
	ds_store_b64 v4, v[0:1]
.LBB62_6:
	s_wait_alu 0xfffe
	s_or_b32 exec_lo, exec_lo, s25
	s_ashr_i32 s31, s30, 31
	s_ashr_i32 s37, s29, 31
	s_mul_u64 s[4:5], s[38:39], s[10:11]
	s_cmp_eq_u64 s[14:15], 0
	s_wait_dscnt 0x0
	s_barrier_signal -1
	s_barrier_wait -1
	global_inv scope:SCOPE_SE
	s_cbranch_scc1 .LBB62_8
; %bb.7:
	s_load_b32 s4, s[0:1], 0xd0
	s_mov_b32 s11, 0
	s_wait_kmcnt 0x0
	s_mul_i32 s4, s4, s28
	s_wait_alu 0xfffe
	s_add_co_i32 s10, s4, ttmp9
	s_wait_alu 0xfffe
	s_lshl_b64 s[10:11], s[10:11], 2
	s_wait_alu 0xfffe
	s_add_nc_u64 s[10:11], s[14:15], s[10:11]
	s_load_b32 s36, s[10:11], 0x0
.LBB62_8:
	s_clause 0x2
	s_load_b64 s[14:15], s[0:1], 0x8c
	s_load_b128 s[24:27], s[0:1], 0x98
	s_load_b64 s[40:41], s[0:1], 0xa8
	s_mul_i32 s4, s5, s33
	s_ashr_i32 s11, s3, 1
	s_wait_alu 0xfffe
	s_sub_co_i32 s4, s38, s4
	s_xor_b32 s3, s31, s37
	s_add_co_i32 s10, s5, 1
	s_wait_alu 0xfffe
	s_sub_co_i32 s37, s4, s33
	s_mov_b32 s29, 0
	v_lshrrev_b32_e32 v65, 1, v40
	v_lshrrev_b32_e32 v64, 2, v40
	v_mul_u32_u24_e32 v62, 0x70, v40
	v_lshlrev_b32_e32 v58, 2, v40
	v_lshl_add_u32 v53, v55, 6, 0x1480
	v_lshrrev_b32_e32 v59, 3, v40
	v_mbcnt_lo_u32_b32 v52, -1, 0
	s_wait_kmcnt 0x0
	s_ashr_i32 s38, s14, 2
	s_ashr_i32 s26, s26, 2
	s_cmp_ge_u32 s4, s33
	s_mul_u64 s[40:41], s[40:41], s[28:29]
	s_cselect_b32 s10, s10, s5
	s_wait_alu 0xfffe
	s_cselect_b32 s4, s37, s4
	s_add_co_i32 s14, s10, 1
	s_wait_alu 0xfffe
	s_cmp_ge_u32 s4, s33
	s_add_nc_u64 s[4:5], s[8:9], s[40:41]
	s_cselect_b32 s8, s14, s10
	s_mul_u64 s[24:25], s[24:25], s[28:29]
	s_xor_b32 s8, s8, s3
	s_and_b32 s10, ttmp7, 0xffff
	s_sub_co_i32 s3, s8, s3
	s_wait_alu 0xfffe
	s_add_nc_u64 s[6:7], s[6:7], s[24:25]
	s_mul_i32 s8, s3, s15
	s_mul_i32 s14, s3, s27
	s_sub_co_i32 s29, s36, 32
	s_lshl_b32 s24, s10, 5
	s_ashr_i32 s9, s8, 31
	s_ashr_i32 s15, s14, 31
	s_add_nc_u64 s[40:41], s[6:7], s[8:9]
	s_wait_alu 0xfffe
	s_cmp_ge_i32 s24, s29
	s_add_nc_u64 s[14:15], s[4:5], s[14:15]
	s_cbranch_scc1 .LBB62_31
; %bb.9:
	v_mul_hi_u32 v0, s20, v41
	v_lshl_add_u32 v1, v55, 4, v65
	v_dual_mov_b32 v79, 0 :: v_dual_and_b32 v8, 4, v58
	v_lshl_add_u32 v5, v55, 3, v64
	v_lshl_add_u32 v7, v55, 2, v59
	s_delay_alu instid0(VALU_DEP_4)
	v_cmp_gt_u32_e64 s3, 32, v1
	v_mul_u32_u24_e32 v3, 0x70, v1
	v_add_nc_u32_e32 v0, v41, v0
	v_lshlrev_b32_e32 v10, 2, v8
	v_dual_mov_b32 v54, 0 :: v_dual_and_b32 v9, 12, v58
	v_dual_mov_b32 v80, 0xfeffffff :: v_dual_and_b32 v67, 28, v58
	s_delay_alu instid0(VALU_DEP_4)
	v_lshrrev_b32_e32 v2, s21, v0
	v_mul_lo_u32 v0, s38, v1
	v_add3_u32 v68, v3, v10, 64
	v_mul_lo_u32 v4, s26, v5
	v_mul_lo_u32 v6, s26, v7
	;; [unrolled: 1-line block ×4, first 2 shown]
	v_dual_mov_b32 v56, 0 :: v_dual_lshlrev_b32 v11, 2, v9
	v_mul_u32_u24_e32 v12, 0xc0, v5
	v_cmp_gt_u32_e64 s4, 32, v5
	v_cmp_gt_u32_e64 s5, 16, v5
	s_delay_alu instid0(VALU_DEP_4)
	v_mad_u32_u24 v69, 0x70, v5, v11
	v_sub_nc_u32_e32 v10, v41, v1
	v_ashrrev_i32_e32 v1, 31, v0
	v_ashrrev_i32_e32 v3, 31, v2
	v_cmp_gt_u32_e64 s6, 16, v7
	v_ashrrev_i32_e32 v5, 31, v4
	v_mad_co_u64_u32 v[42:43], null, v10, s11, v[40:41]
	v_lshlrev_b32_e32 v10, 2, v67
	v_or_b32_e32 v11, v12, v11
	v_mbcnt_lo_u32_b32 v72, -1, 0
	v_lshlrev_b64_e32 v[43:44], 2, v[0:1]
	v_lshlrev_b64_e32 v[45:46], 2, v[2:3]
	v_mad_u32_u24 v71, 0xc0, v7, v10
	v_ashrrev_i32_e32 v7, 31, v6
	v_lshlrev_b64_e32 v[47:48], 2, v[4:5]
	s_ashr_i32 s39, s38, 31
	v_lshl_add_u32 v66, v40, 1, v53
	v_add_nc_u32_e32 v70, 0x80, v11
	v_lshlrev_b64_e32 v[49:50], 2, v[6:7]
	v_lshlrev_b32_e32 v73, 2, v8
	v_lshlrev_b32_e32 v74, 2, v9
	v_xor_b32_e32 v75, 16, v72
	v_xor_b32_e32 v76, 8, v72
	;; [unrolled: 1-line block ×4, first 2 shown]
	s_cmp_lg_u64 s[34:35], 0
	s_add_nc_u64 s[42:43], s[0:1], 0xd0
	s_cselect_b32 s33, -1, 0
	s_ashr_i32 s27, s26, 31
.LBB62_10:                              ; =>This Inner Loop Header: Depth=1
	s_ashr_i32 s25, s24, 31
	s_wait_alu 0xfffe
	s_mul_u64 s[8:9], s[24:25], s[38:39]
	s_wait_alu 0xfffe
	s_lshl_b64 s[8:9], s[8:9], 2
	s_wait_alu 0xfffe
	s_add_nc_u64 s[8:9], s[40:41], s[8:9]
	s_and_saveexec_b32 s7, s3
	s_cbranch_execz .LBB62_12
; %bb.11:                               ;   in Loop: Header=BB62_10 Depth=1
	s_wait_alu 0xfffe
	v_add_co_u32 v0, vcc_lo, s8, v43
	s_wait_alu 0xfffd
	v_add_co_ci_u32_e64 v1, null, s9, v44, vcc_lo
	s_delay_alu instid0(VALU_DEP_2) | instskip(SKIP_1) | instid1(VALU_DEP_2)
	v_add_co_u32 v0, vcc_lo, v0, v73
	s_wait_alu 0xfffd
	v_add_co_ci_u32_e64 v1, null, 0, v1, vcc_lo
	global_load_b128 v[0:3], v[0:1], off offset:64
	s_wait_loadcnt 0x0
	ds_store_b128 v68, v[0:3]
.LBB62_12:                              ;   in Loop: Header=BB62_10 Depth=1
	s_wait_alu 0xfffe
	s_or_b32 exec_lo, exec_lo, s7
	s_and_saveexec_b32 s7, s4
	s_cbranch_execz .LBB62_14
; %bb.13:                               ;   in Loop: Header=BB62_10 Depth=1
	v_add_co_u32 v0, vcc_lo, s8, v45
	s_wait_alu 0xfffd
	v_add_co_ci_u32_e64 v1, null, s9, v46, vcc_lo
	s_delay_alu instid0(VALU_DEP_2) | instskip(SKIP_1) | instid1(VALU_DEP_2)
	v_add_co_u32 v0, vcc_lo, v0, v74
	s_wait_alu 0xfffd
	v_add_co_ci_u32_e64 v1, null, 0, v1, vcc_lo
	global_load_b128 v[0:3], v[0:1], off
	s_wait_loadcnt 0x0
	ds_store_b128 v69, v[0:3]
.LBB62_14:                              ;   in Loop: Header=BB62_10 Depth=1
	s_wait_alu 0xfffe
	s_or_b32 exec_lo, exec_lo, s7
	s_wait_loadcnt_dscnt 0x0
	s_barrier_signal -1
	s_barrier_wait -1
	global_inv scope:SCOPE_SE
	ds_load_b128 v[1:4], v62
	ds_load_b128 v[5:8], v61
	v_mov_b32_e32 v0, 0
	s_wait_dscnt 0x0
	;;#ASMSTART
	v_dot2_f32_f16 v0, v1, v5, v0
	;;#ASMEND
	;;#ASMSTART
	v_dot2_f32_f16 v0, v2, v6, v0
	;;#ASMEND
	;;#ASMSTART
	v_dot2_f32_f16 v0, v3, v7, v0
	;;#ASMEND
	;;#ASMSTART
	v_dot2_f32_f16 v0, v4, v8, v0
	;;#ASMEND
	ds_load_b128 v[1:4], v62 offset:16
	ds_load_b128 v[5:8], v61 offset:16
	s_wait_dscnt 0x0
	;;#ASMSTART
	v_dot2_f32_f16 v0, v1, v5, v0
	;;#ASMEND
	;;#ASMSTART
	v_dot2_f32_f16 v0, v2, v6, v0
	;;#ASMEND
	;;#ASMSTART
	v_dot2_f32_f16 v0, v3, v7, v0
	;;#ASMEND
	;;#ASMSTART
	v_dot2_f32_f16 v0, v4, v8, v0
	;;#ASMEND
	ds_load_b128 v[1:4], v62 offset:32
	ds_load_b128 v[5:8], v61 offset:32
	;; [unrolled: 15-line block ×5, first 2 shown]
	s_wait_dscnt 0x0
	;;#ASMSTART
	v_dot2_f32_f16 v0, v1, v5, v0
	;;#ASMEND
	;;#ASMSTART
	v_dot2_f32_f16 v0, v2, v6, v0
	;;#ASMEND
	;; [unrolled: 3-line block ×4, first 2 shown]
	s_wait_loadcnt 0x0
	s_barrier_signal -1
	s_barrier_wait -1
	global_inv scope:SCOPE_SE
	s_and_saveexec_b32 s7, s3
	s_cbranch_execz .LBB62_16
; %bb.15:                               ;   in Loop: Header=BB62_10 Depth=1
	v_add_co_u32 v1, vcc_lo, s8, v43
	s_wait_alu 0xfffd
	v_add_co_ci_u32_e64 v2, null, s9, v44, vcc_lo
	s_delay_alu instid0(VALU_DEP_2) | instskip(SKIP_1) | instid1(VALU_DEP_2)
	v_add_co_u32 v1, vcc_lo, v1, v73
	s_wait_alu 0xfffd
	v_add_co_ci_u32_e64 v2, null, 0, v2, vcc_lo
	global_load_b128 v[1:4], v[1:2], off offset:160
	s_wait_loadcnt 0x0
	ds_store_b128 v68, v[1:4]
.LBB62_16:                              ;   in Loop: Header=BB62_10 Depth=1
	s_wait_alu 0xfffe
	s_or_b32 exec_lo, exec_lo, s7
	s_and_saveexec_b32 s7, s4
	s_cbranch_execz .LBB62_18
; %bb.17:                               ;   in Loop: Header=BB62_10 Depth=1
	v_add_co_u32 v1, vcc_lo, s8, v45
	s_wait_alu 0xfffd
	v_add_co_ci_u32_e64 v2, null, s9, v46, vcc_lo
	s_delay_alu instid0(VALU_DEP_2) | instskip(SKIP_1) | instid1(VALU_DEP_2)
	v_add_co_u32 v1, vcc_lo, v1, v74
	s_wait_alu 0xfffd
	v_add_co_ci_u32_e64 v2, null, 0, v2, vcc_lo
	global_load_b128 v[1:4], v[1:2], off offset:96
	s_wait_loadcnt 0x0
	ds_store_b128 v69, v[1:4]
.LBB62_18:                              ;   in Loop: Header=BB62_10 Depth=1
	s_wait_alu 0xfffe
	s_or_b32 exec_lo, exec_lo, s7
	s_wait_loadcnt_dscnt 0x0
	s_barrier_signal -1
	s_barrier_wait -1
	global_inv scope:SCOPE_SE
	ds_load_b128 v[1:4], v62
	ds_load_b128 v[5:8], v61 offset:96
	s_and_not1_b32 vcc_lo, exec_lo, s33
	s_wait_dscnt 0x0
	;;#ASMSTART
	v_dot2_f32_f16 v0, v1, v5, v0
	;;#ASMEND
	;;#ASMSTART
	v_dot2_f32_f16 v0, v2, v6, v0
	;;#ASMEND
	;;#ASMSTART
	v_dot2_f32_f16 v0, v3, v7, v0
	;;#ASMEND
	;;#ASMSTART
	v_dot2_f32_f16 v0, v4, v8, v0
	;;#ASMEND
	ds_load_b128 v[1:4], v62 offset:16
	ds_load_b128 v[5:8], v61 offset:112
	s_wait_dscnt 0x0
	;;#ASMSTART
	v_dot2_f32_f16 v0, v1, v5, v0
	;;#ASMEND
	;;#ASMSTART
	v_dot2_f32_f16 v0, v2, v6, v0
	;;#ASMEND
	;;#ASMSTART
	v_dot2_f32_f16 v0, v3, v7, v0
	;;#ASMEND
	;;#ASMSTART
	v_dot2_f32_f16 v0, v4, v8, v0
	;;#ASMEND
	ds_load_b128 v[1:4], v62 offset:32
	ds_load_b128 v[5:8], v61 offset:128
	;; [unrolled: 15-line block ×5, first 2 shown]
	s_wait_dscnt 0x0
	;;#ASMSTART
	v_dot2_f32_f16 v0, v1, v5, v0
	;;#ASMEND
	;;#ASMSTART
	v_dot2_f32_f16 v0, v2, v6, v0
	;;#ASMEND
	;; [unrolled: 3-line block ×4, first 2 shown]
	s_wait_alu 0xfffe
	s_cbranch_vccnz .LBB62_20
; %bb.19:                               ;   in Loop: Header=BB62_10 Depth=1
	v_add_nc_u32_e32 v1, s24, v42
	s_delay_alu instid0(VALU_DEP_1) | instskip(NEXT) | instid1(VALU_DEP_1)
	v_ashrrev_i32_e32 v2, 31, v1
	v_lshlrev_b64_e32 v[1:2], 1, v[1:2]
	s_delay_alu instid0(VALU_DEP_1) | instskip(SKIP_1) | instid1(VALU_DEP_2)
	v_add_co_u32 v1, vcc_lo, s34, v1
	s_wait_alu 0xfffd
	v_add_co_ci_u32_e64 v2, null, s35, v2, vcc_lo
	global_load_u16 v1, v[1:2], off
	s_wait_loadcnt 0x0
	v_cvt_f32_f16_e32 v1, v1
	s_delay_alu instid0(VALU_DEP_1)
	v_mul_f32_e32 v1, v57, v1
	s_branch .LBB62_21
.LBB62_20:                              ;   in Loop: Header=BB62_10 Depth=1
	v_mov_b32_e32 v1, 0
.LBB62_21:                              ;   in Loop: Header=BB62_10 Depth=1
	s_delay_alu instid0(VALU_DEP_1)
	v_add_f32_e32 v0, v0, v1
	v_cmp_gt_i32_e32 vcc_lo, 32, v75
	s_mul_u64 s[8:9], s[24:25], s[26:27]
	s_wait_loadcnt 0x0
	s_wait_alu 0xfffe
	s_lshl_b64 s[8:9], s[8:9], 2
	v_add_f32_e32 v3, 0x40051340, v0
	s_wait_alu 0xfffd
	v_cndmask_b32_e32 v1, v72, v75, vcc_lo
	v_max_num_f32_e32 v2, v80, v80
	v_cmp_gt_i32_e32 vcc_lo, 32, v76
	s_wait_alu 0xfffe
	s_add_nc_u64 s[8:9], s[14:15], s[8:9]
	s_barrier_signal -1
	v_dual_max_num_f32 v2, v2, v3 :: v_dual_lshlrev_b32 v1, 2, v1
	s_wait_alu 0xfffd
	v_cndmask_b32_e32 v3, v72, v76, vcc_lo
	v_cmp_gt_i32_e32 vcc_lo, 32, v77
	s_barrier_wait -1
	global_inv scope:SCOPE_SE
	ds_bpermute_b32 v1, v1, v2
	v_lshlrev_b32_e32 v3, 2, v3
	s_wait_dscnt 0x0
	v_max_num_f32_e32 v1, v1, v1
	s_delay_alu instid0(VALU_DEP_1)
	v_max_num_f32_e32 v1, v2, v1
	ds_bpermute_b32 v2, v3, v1
	s_wait_alu 0xfffd
	v_cndmask_b32_e32 v3, v72, v77, vcc_lo
	v_cmp_gt_i32_e32 vcc_lo, 32, v78
	s_wait_dscnt 0x0
	s_delay_alu instid0(VALU_DEP_2) | instskip(NEXT) | instid1(VALU_DEP_1)
	v_dual_max_num_f32 v2, v2, v2 :: v_dual_lshlrev_b32 v3, 2, v3
	v_max_num_f32_e32 v1, v1, v2
	ds_bpermute_b32 v2, v3, v1
	s_wait_alu 0xfffd
	v_cndmask_b32_e32 v3, v72, v78, vcc_lo
	s_wait_dscnt 0x0
	s_delay_alu instid0(VALU_DEP_1) | instskip(NEXT) | instid1(VALU_DEP_1)
	v_dual_max_num_f32 v2, v2, v2 :: v_dual_lshlrev_b32 v3, 2, v3
	v_max_num_f32_e32 v1, v1, v2
	ds_bpermute_b32 v2, v3, v1
	v_xor_b32_e32 v3, 1, v72
	s_delay_alu instid0(VALU_DEP_1) | instskip(SKIP_3) | instid1(VALU_DEP_1)
	v_cmp_gt_i32_e32 vcc_lo, 32, v3
	s_wait_alu 0xfffd
	v_cndmask_b32_e32 v3, v72, v3, vcc_lo
	s_wait_dscnt 0x0
	v_dual_max_num_f32 v2, v2, v2 :: v_dual_lshlrev_b32 v3, 2, v3
	s_delay_alu instid0(VALU_DEP_1) | instskip(SKIP_3) | instid1(VALU_DEP_1)
	v_max_num_f32_e32 v1, v1, v2
	ds_bpermute_b32 v2, v3, v1
	s_wait_dscnt 0x0
	v_max_num_f32_e32 v2, v2, v2
	v_max_num_f32_e32 v63, v1, v2
	s_delay_alu instid0(VALU_DEP_1) | instskip(NEXT) | instid1(VALU_DEP_1)
	v_sub_f32_e32 v0, v0, v63
	v_mul_f32_e32 v1, 0x3fb8aa3b, v0
	v_cmp_ngt_f32_e32 vcc_lo, 0xc2ce8ed0, v0
	s_delay_alu instid0(VALU_DEP_2) | instskip(SKIP_1) | instid1(VALU_DEP_1)
	v_fma_f32 v2, 0x3fb8aa3b, v0, -v1
	v_rndne_f32_e32 v3, v1
	v_dual_fmac_f32 v2, 0x32a5705f, v0 :: v_dual_sub_f32 v1, v1, v3
	s_delay_alu instid0(VALU_DEP_1) | instskip(SKIP_1) | instid1(VALU_DEP_2)
	v_add_f32_e32 v1, v1, v2
	v_cvt_i32_f32_e32 v2, v3
	v_exp_f32_e32 v1, v1
	s_delay_alu instid0(TRANS32_DEP_1) | instskip(SKIP_1) | instid1(VALU_DEP_1)
	v_ldexp_f32 v1, v1, v2
	s_wait_alu 0xfffd
	v_cndmask_b32_e32 v1, 0, v1, vcc_lo
	v_cmp_nlt_f32_e32 vcc_lo, 0x42b17218, v0
	s_wait_alu 0xfffd
	s_delay_alu instid0(VALU_DEP_2) | instskip(NEXT) | instid1(VALU_DEP_1)
	v_cndmask_b32_e32 v60, 0x7f800000, v1, vcc_lo
	v_cvt_f16_f32_e32 v0, v60
	ds_store_b16 v66, v0
	s_and_saveexec_b32 s7, s5
	s_cbranch_execz .LBB62_23
; %bb.22:                               ;   in Loop: Header=BB62_10 Depth=1
	s_wait_alu 0xfffe
	v_add_co_u32 v0, vcc_lo, s8, v47
	s_wait_alu 0xfffd
	v_add_co_ci_u32_e64 v1, null, s9, v48, vcc_lo
	s_delay_alu instid0(VALU_DEP_2) | instskip(SKIP_1) | instid1(VALU_DEP_2)
	v_add_co_u32 v0, vcc_lo, v0, v74
	s_wait_alu 0xfffd
	v_add_co_ci_u32_e64 v1, null, 0, v1, vcc_lo
	global_load_b128 v[0:3], v[0:1], off offset:128
	s_wait_loadcnt 0x0
	ds_store_b128 v70, v[0:3]
.LBB62_23:                              ;   in Loop: Header=BB62_10 Depth=1
	s_wait_alu 0xfffe
	s_or_b32 exec_lo, exec_lo, s7
	v_lshlrev_b32_e32 v83, 2, v67
	s_and_saveexec_b32 s7, s6
	s_cbranch_execz .LBB62_25
; %bb.24:                               ;   in Loop: Header=BB62_10 Depth=1
	v_add_co_u32 v0, vcc_lo, s8, v49
	s_wait_alu 0xfffd
	v_add_co_ci_u32_e64 v1, null, s9, v50, vcc_lo
	s_delay_alu instid0(VALU_DEP_2) | instskip(SKIP_1) | instid1(VALU_DEP_2)
	v_add_co_u32 v0, vcc_lo, v0, v83
	s_wait_alu 0xfffd
	v_add_co_ci_u32_e64 v1, null, 0, v1, vcc_lo
	global_load_b128 v[0:3], v[0:1], off
	s_wait_loadcnt 0x0
	ds_store_b128 v71, v[0:3]
.LBB62_25:                              ;   in Loop: Header=BB62_10 Depth=1
	s_wait_alu 0xfffe
	s_or_b32 exec_lo, exec_lo, s7
	v_add_nc_u32_e32 v82, 0x400, v51
	v_add_nc_u32_e32 v81, 0x800, v51
	s_wait_loadcnt_dscnt 0x0
	s_barrier_signal -1
	s_barrier_wait -1
	global_inv scope:SCOPE_SE
	ds_load_2addr_b64 v[32:35], v51 offset1:24
	ds_load_b128 v[20:23], v53
	ds_load_b128 v[0:3], v53 offset:16
	ds_load_2addr_b64 v[24:27], v51 offset0:48 offset1:72
	ds_load_2addr_b64 v[36:39], v51 offset0:96 offset1:120
	ds_load_2addr_b64 v[28:31], v51 offset0:144 offset1:168
	ds_load_2addr_b64 v[16:19], v51 offset0:192 offset1:216
	ds_load_2addr_b64 v[12:15], v82 offset0:112 offset1:136
	ds_load_2addr_b64 v[8:11], v81 offset0:32 offset1:56
	ds_load_2addr_b64 v[4:7], v81 offset0:80 offset1:104
	v_sub_f32_e32 v80, v80, v63
	s_or_b32 s8, s24, 16
	s_wait_loadcnt_dscnt 0x0
	s_wait_alu 0xfffe
	s_ashr_i32 s9, s8, 31
	s_barrier_signal -1
	s_wait_alu 0xfffe
	s_mul_u64 s[8:9], s[8:9], s[26:27]
	v_cmp_nlt_f32_e64 s7, 0x42b17218, v80
	s_wait_alu 0xfffe
	s_lshl_b64 s[8:9], s[8:9], 2
	v_cmp_ngt_f32_e32 vcc_lo, 0xc2ce8ed0, v80
	s_wait_alu 0xfffe
	s_add_nc_u64 s[44:45], s[14:15], s[8:9]
	s_barrier_wait -1
	global_inv scope:SCOPE_SE
	s_and_saveexec_b32 s9, s5
	s_cbranch_execz .LBB62_27
; %bb.26:                               ;   in Loop: Header=BB62_10 Depth=1
	s_wait_alu 0xfffe
	v_add_co_u32 v84, s8, s44, v47
	s_wait_alu 0xf1ff
	v_add_co_ci_u32_e64 v85, null, s45, v48, s8
	s_delay_alu instid0(VALU_DEP_2) | instskip(SKIP_1) | instid1(VALU_DEP_2)
	v_add_co_u32 v84, s8, v84, v74
	s_wait_alu 0xf1ff
	v_add_co_ci_u32_e64 v85, null, 0, v85, s8
	global_load_b128 v[84:87], v[84:85], off offset:128
	s_wait_loadcnt 0x0
	ds_store_b128 v70, v[84:87]
.LBB62_27:                              ;   in Loop: Header=BB62_10 Depth=1
	s_wait_alu 0xfffe
	s_or_b32 exec_lo, exec_lo, s9
	s_and_saveexec_b32 s9, s6
	s_cbranch_execz .LBB62_29
; %bb.28:                               ;   in Loop: Header=BB62_10 Depth=1
	v_add_co_u32 v84, s8, s44, v49
	s_wait_alu 0xf1ff
	v_add_co_ci_u32_e64 v85, null, s45, v50, s8
	s_delay_alu instid0(VALU_DEP_2) | instskip(SKIP_1) | instid1(VALU_DEP_2)
	v_add_co_u32 v83, s8, v84, v83
	s_wait_alu 0xf1ff
	v_add_co_ci_u32_e64 v84, null, 0, v85, s8
	global_load_b128 v[83:86], v[83:84], off
	s_wait_loadcnt 0x0
	ds_store_b128 v71, v[83:86]
.LBB62_29:                              ;   in Loop: Header=BB62_10 Depth=1
	s_wait_alu 0xfffe
	s_or_b32 exec_lo, exec_lo, s9
	v_mul_f32_e32 v83, 0x3fb8aa3b, v80
	s_wait_loadcnt_dscnt 0x0
	s_barrier_signal -1
	s_barrier_wait -1
	global_inv scope:SCOPE_SE
	v_fma_f32 v84, 0x3fb8aa3b, v80, -v83
	v_rndne_f32_e32 v85, v83
	s_delay_alu instid0(VALU_DEP_2) | instskip(NEXT) | instid1(VALU_DEP_2)
	v_fmac_f32_e32 v84, 0x32a5705f, v80
	v_sub_f32_e32 v80, v83, v85
	v_cvt_i32_f32_e32 v83, v85
	s_delay_alu instid0(VALU_DEP_2) | instskip(NEXT) | instid1(VALU_DEP_1)
	v_add_f32_e32 v80, v80, v84
	v_exp_f32_e32 v80, v80
	s_delay_alu instid0(TRANS32_DEP_1) | instskip(SKIP_3) | instid1(VALU_DEP_3)
	v_ldexp_f32 v80, v80, v83
	v_and_b32_e32 v83, 0xffff, v20
	v_lshrrev_b32_e32 v20, 16, v20
	s_wait_alu 0xfffd
	v_cndmask_b32_e32 v80, 0, v80, vcc_lo
	s_delay_alu instid0(VALU_DEP_3) | instskip(NEXT) | instid1(VALU_DEP_3)
	v_mul_u32_u24_e32 v83, 0x10001, v83
	v_mul_u32_u24_e32 v20, 0x10001, v20
	s_delay_alu instid0(VALU_DEP_3) | instskip(NEXT) | instid1(VALU_DEP_3)
	v_cndmask_b32_e64 v80, 0x7f800000, v80, s7
	v_pk_mul_f16 v32, v32, v83
	v_pk_mul_f16 v33, v33, v83
	v_and_b32_e32 v83, 0xffff, v21
	v_lshrrev_b32_e32 v21, 16, v21
	v_cvt_f16_f32_e32 v84, v80
	v_fmac_f32_e32 v60, v79, v80
	s_delay_alu instid0(VALU_DEP_3) | instskip(NEXT) | instid1(VALU_DEP_3)
	v_mul_u32_u24_e32 v21, 0x10001, v21
	v_and_b32_e32 v84, 0xffff, v84
	s_delay_alu instid0(VALU_DEP_1) | instskip(NEXT) | instid1(VALU_DEP_1)
	v_mul_u32_u24_e32 v84, 0x10001, v84
	v_pk_fma_f16 v32, v54, v84, v32
	v_pk_fma_f16 v33, v56, v84, v33
	v_mul_u32_u24_e32 v54, 0x10001, v83
	s_delay_alu instid0(VALU_DEP_3) | instskip(NEXT) | instid1(VALU_DEP_3)
	v_pk_fma_f16 v32, v34, v20, v32
	v_pk_fma_f16 v20, v35, v20, v33
	v_and_b32_e32 v33, 0xffff, v22
	v_lshrrev_b32_e32 v22, 16, v22
	s_delay_alu instid0(VALU_DEP_4) | instskip(NEXT) | instid1(VALU_DEP_4)
	v_pk_fma_f16 v24, v24, v54, v32
	v_pk_fma_f16 v20, v25, v54, v20
	s_delay_alu instid0(VALU_DEP_4) | instskip(NEXT) | instid1(VALU_DEP_4)
	v_mul_u32_u24_e32 v25, 0x10001, v33
	v_mul_u32_u24_e32 v22, 0x10001, v22
	s_delay_alu instid0(VALU_DEP_4) | instskip(NEXT) | instid1(VALU_DEP_4)
	v_pk_fma_f16 v24, v26, v21, v24
	v_pk_fma_f16 v20, v27, v21, v20
	v_and_b32_e32 v21, 0xffff, v23
	v_lshrrev_b32_e32 v23, 16, v23
	s_delay_alu instid0(VALU_DEP_4) | instskip(NEXT) | instid1(VALU_DEP_4)
	v_pk_fma_f16 v24, v36, v25, v24
	v_pk_fma_f16 v20, v37, v25, v20
	s_delay_alu instid0(VALU_DEP_4) | instskip(NEXT) | instid1(VALU_DEP_4)
	v_mul_u32_u24_e32 v21, 0x10001, v21
	v_mul_u32_u24_e32 v23, 0x10001, v23
	s_delay_alu instid0(VALU_DEP_4) | instskip(NEXT) | instid1(VALU_DEP_4)
	v_pk_fma_f16 v24, v38, v22, v24
	v_pk_fma_f16 v20, v39, v22, v20
	v_lshrrev_b32_e32 v22, 16, v0
	v_and_b32_e32 v0, 0xffff, v0
	s_delay_alu instid0(VALU_DEP_4) | instskip(NEXT) | instid1(VALU_DEP_4)
	v_pk_fma_f16 v24, v28, v21, v24
	v_pk_fma_f16 v20, v29, v21, v20
	v_lshrrev_b32_e32 v21, 16, v1
	s_delay_alu instid0(VALU_DEP_4)
	v_mul_u32_u24_e32 v0, 0x10001, v0
	v_and_b32_e32 v1, 0xffff, v1
	v_pk_fma_f16 v24, v30, v23, v24
	v_pk_fma_f16 v20, v31, v23, v20
	v_mul_u32_u24_e32 v22, 0x10001, v22
	v_and_b32_e32 v23, 0xffff, v2
	v_mul_u32_u24_e32 v1, 0x10001, v1
	v_pk_fma_f16 v16, v16, v0, v24
	v_pk_fma_f16 v0, v17, v0, v20
	v_mul_u32_u24_e32 v21, 0x10001, v21
	s_delay_alu instid0(VALU_DEP_3) | instskip(NEXT) | instid1(VALU_DEP_3)
	v_pk_fma_f16 v20, v18, v22, v16
	v_pk_fma_f16 v0, v19, v22, v0
	ds_load_b128 v[16:19], v53 offset:32
	v_pk_fma_f16 v12, v12, v1, v20
	v_pk_fma_f16 v0, v13, v1, v0
	v_lshrrev_b32_e32 v1, 16, v2
	v_mul_u32_u24_e32 v2, 0x10001, v23
	s_delay_alu instid0(VALU_DEP_4) | instskip(NEXT) | instid1(VALU_DEP_4)
	v_pk_fma_f16 v20, v14, v21, v12
	v_pk_fma_f16 v0, v15, v21, v0
	v_and_b32_e32 v21, 0xffff, v3
	ds_load_2addr_b64 v[12:15], v51 offset1:24
	v_mul_u32_u24_e32 v22, 0x10001, v1
	v_pk_fma_f16 v8, v8, v2, v20
	v_pk_fma_f16 v9, v9, v2, v0
	v_lshrrev_b32_e32 v20, 16, v3
	v_mul_u32_u24_e32 v21, 0x10001, v21
	ds_load_b128 v[0:3], v53 offset:48
	v_pk_fma_f16 v23, v10, v22, v8
	v_pk_fma_f16 v22, v11, v22, v9
	ds_load_2addr_b64 v[8:11], v51 offset0:48 offset1:72
	v_mul_u32_u24_e32 v20, 0x10001, v20
	s_wait_dscnt 0x3
	v_and_b32_e32 v24, 0xffff, v16
	v_pk_fma_f16 v4, v4, v21, v23
	v_pk_fma_f16 v5, v5, v21, v22
	v_lshrrev_b32_e32 v16, 16, v16
	v_and_b32_e32 v23, 0xffff, v17
	v_mul_u32_u24_e32 v21, 0x10001, v24
	v_pk_fma_f16 v22, v6, v20, v4
	v_pk_fma_f16 v20, v7, v20, v5
	ds_load_2addr_b64 v[4:7], v51 offset0:96 offset1:120
	v_mul_u32_u24_e32 v16, 0x10001, v16
	v_lshrrev_b32_e32 v17, 16, v17
	s_wait_dscnt 0x3
	v_pk_fma_f16 v12, v12, v21, v22
	v_pk_fma_f16 v13, v13, v21, v20
	v_mul_u32_u24_e32 v20, 0x10001, v23
	v_and_b32_e32 v24, 0xffff, v18
	v_mul_u32_u24_e32 v17, 0x10001, v17
	v_pk_fma_f16 v21, v14, v16, v12
	v_pk_fma_f16 v16, v15, v16, v13
	ds_load_2addr_b64 v[12:15], v51 offset0:144 offset1:168
	v_and_b32_e32 v28, 0xffff, v19
	s_wait_dscnt 0x2
	v_pk_fma_f16 v8, v8, v20, v21
	v_pk_fma_f16 v9, v9, v20, v16
	v_lshrrev_b32_e32 v16, 16, v18
	v_mul_u32_u24_e32 v18, 0x10001, v24
	ds_load_2addr_b64 v[20:23], v51 offset0:192 offset1:216
	v_pk_fma_f16 v24, v10, v17, v8
	v_pk_fma_f16 v17, v11, v17, v9
	v_mul_u32_u24_e32 v16, 0x10001, v16
	ds_load_2addr_b64 v[8:11], v82 offset0:112 offset1:136
	s_wait_dscnt 0x3
	v_pk_fma_f16 v4, v4, v18, v24
	v_pk_fma_f16 v5, v5, v18, v17
	v_lshrrev_b32_e32 v17, 16, v19
	v_mul_u32_u24_e32 v18, 0x10001, v28
	v_and_b32_e32 v28, 0xffff, v0
	v_pk_fma_f16 v19, v6, v16, v4
	v_pk_fma_f16 v16, v7, v16, v5
	v_mul_u32_u24_e32 v17, 0x10001, v17
	v_lshrrev_b32_e32 v0, 16, v0
	ds_load_2addr_b64 v[24:27], v81 offset0:32 offset1:56
	s_wait_dscnt 0x3
	v_pk_fma_f16 v12, v12, v18, v19
	v_pk_fma_f16 v13, v13, v18, v16
	v_mul_u32_u24_e32 v16, 0x10001, v28
	v_mul_u32_u24_e32 v0, 0x10001, v0
	ds_load_2addr_b64 v[4:7], v81 offset0:80 offset1:104
	v_pk_fma_f16 v12, v14, v17, v12
	v_pk_fma_f16 v13, v15, v17, v13
	v_and_b32_e32 v14, 0xffff, v1
	v_lshrrev_b32_e32 v1, 16, v1
	s_wait_loadcnt_dscnt 0x0
	v_pk_fma_f16 v12, v20, v16, v12
	v_pk_fma_f16 v13, v21, v16, v13
	v_mul_u32_u24_e32 v14, 0x10001, v14
	v_mul_u32_u24_e32 v1, 0x10001, v1
	s_barrier_signal -1
	v_pk_fma_f16 v12, v22, v0, v12
	v_pk_fma_f16 v0, v23, v0, v13
	v_and_b32_e32 v13, 0xffff, v2
	s_barrier_wait -1
	global_inv scope:SCOPE_SE
	v_pk_fma_f16 v8, v8, v14, v12
	v_pk_fma_f16 v0, v9, v14, v0
	s_load_b32 s7, s[42:43], 0x4
	v_lshrrev_b32_e32 v2, 16, v2
	v_mul_u32_u24_e32 v9, 0x10001, v13
	v_pk_fma_f16 v8, v10, v1, v8
	v_pk_fma_f16 v0, v11, v1, v0
	v_and_b32_e32 v1, 0xffff, v3
	v_mul_u32_u24_e32 v2, 0x10001, v2
	v_lshrrev_b32_e32 v3, 16, v3
	v_pk_fma_f16 v8, v24, v9, v8
	v_pk_fma_f16 v0, v25, v9, v0
	v_mul_u32_u24_e32 v1, 0x10001, v1
	s_delay_alu instid0(VALU_DEP_3) | instskip(NEXT) | instid1(VALU_DEP_3)
	v_pk_fma_f16 v8, v26, v2, v8
	v_pk_fma_f16 v0, v27, v2, v0
	v_mul_u32_u24_e32 v2, 0x10001, v3
	s_delay_alu instid0(VALU_DEP_3) | instskip(NEXT) | instid1(VALU_DEP_3)
	v_pk_fma_f16 v3, v4, v1, v8
	v_pk_fma_f16 v0, v5, v1, v0
	s_wait_kmcnt 0x0
	s_lshl_b32 s7, s7, 5
	s_wait_alu 0xfffe
	s_add_co_i32 s24, s7, s24
	v_pk_fma_f16 v54, v6, v2, v3
	v_pk_fma_f16 v56, v7, v2, v0
	s_wait_alu 0xfffe
	s_cmp_lt_i32 s24, s29
	s_cbranch_scc0 .LBB62_32
; %bb.30:                               ;   in Loop: Header=BB62_10 Depth=1
	v_dual_mov_b32 v80, v63 :: v_dual_mov_b32 v79, v60
	s_branch .LBB62_10
.LBB62_31:
	v_dual_mov_b32 v56, 0 :: v_dual_mov_b32 v63, 0xfeffffff
	v_mov_b32_e32 v60, 0
	v_mov_b32_e32 v54, 0
.LBB62_32:
	s_cmp_gt_i32 s36, s24
	s_cbranch_scc1 .LBB62_35
; %bb.33:
	v_mbcnt_lo_u32_b32 v0, -1, 0
	v_mov_b32_e32 v46, 32
	s_delay_alu instid0(VALU_DEP_2)
	v_xor_b32_e32 v39, 16, v0
	v_xor_b32_e32 v42, 8, v0
	;; [unrolled: 1-line block ×5, first 2 shown]
	s_cbranch_execz .LBB62_36
; %bb.34:
	v_mov_b32_e32 v32, v63
	v_mov_b32_e32 v52, v0
	s_branch .LBB62_58
.LBB62_35:
                                        ; implicit-def: $vgpr0
                                        ; implicit-def: $vgpr46
                                        ; implicit-def: $vgpr39
                                        ; implicit-def: $vgpr42
                                        ; implicit-def: $vgpr43
                                        ; implicit-def: $vgpr44
                                        ; implicit-def: $vgpr45
.LBB62_36:
	v_lshl_add_u32 v2, v55, 4, v65
	v_and_b32_e32 v1, 4, v58
	s_ashr_i32 s25, s24, 31
	s_ashr_i32 s39, s38, 31
	s_sub_co_i32 s29, s36, s24
	v_mul_lo_u32 v0, s38, v2
	v_mul_u32_u24_e32 v3, 0x70, v2
	v_lshlrev_b32_e32 v9, 2, v1
	s_wait_alu 0xfffe
	s_mul_u64 s[8:9], s[24:25], s[38:39]
	v_cmp_gt_u32_e64 s4, 32, v2
	v_cmp_gt_i32_e64 s3, s29, v2
	s_wait_alu 0xfffe
	s_lshl_b64 s[8:9], s[8:9], 2
	v_add3_u32 v8, v3, v9, 64
	v_ashrrev_i32_e32 v1, 31, v0
	s_mov_b64 s[6:7], src_private_base
	s_wait_alu 0xfffe
	s_add_nc_u64 s[8:9], s[40:41], s[8:9]
	s_delay_alu instid0(VALU_DEP_1)
	v_lshlrev_b64_e32 v[3:4], 2, v[0:1]
	s_and_saveexec_b32 s5, s4
	s_cbranch_execz .LBB62_38
; %bb.37:
	s_wait_alu 0xfffe
	s_delay_alu instid0(VALU_DEP_1) | instskip(SKIP_2) | instid1(VALU_DEP_2)
	v_add_co_u32 v0, vcc_lo, s8, v3
	s_wait_alu 0xfffd
	v_add_co_ci_u32_e64 v1, null, s9, v4, vcc_lo
	v_add_co_u32 v2, vcc_lo, v0, v9
	s_wait_alu 0xfffd
	s_delay_alu instid0(VALU_DEP_2) | instskip(SKIP_1) | instid1(VALU_DEP_3)
	v_add_co_ci_u32_e64 v1, null, 0, v1, vcc_lo
	v_mov_b32_e32 v0, 0
	v_add_co_u32 v5, vcc_lo, v2, 64
	s_wait_alu 0xfffd
	s_delay_alu instid0(VALU_DEP_3) | instskip(NEXT) | instid1(VALU_DEP_3)
	v_add_co_ci_u32_e64 v6, null, 0, v1, vcc_lo
	v_dual_mov_b32 v1, v0 :: v_dual_mov_b32 v2, v0
	s_delay_alu instid0(VALU_DEP_3) | instskip(NEXT) | instid1(VALU_DEP_3)
	v_cndmask_b32_e64 v5, 0, v5, s3
	v_cndmask_b32_e64 v6, s7, v6, s3
	s_clause 0x1
	scratch_store_b32 off, v0, off
	scratch_store_b96 off, v[0:2], off offset:4
	flat_load_b128 v[10:13], v[5:6]
	s_wait_loadcnt_dscnt 0x0
	ds_store_b128 v8, v[10:13]
.LBB62_38:
	s_wait_alu 0xfffe
	s_or_b32 exec_lo, exec_lo, s5
	v_lshl_add_u32 v37, v55, 3, v64
	v_dual_mov_b32 v0, 0 :: v_dual_and_b32 v7, 12, v58
	s_mov_b64 s[36:37], src_private_base
	s_delay_alu instid0(VALU_DEP_2) | instskip(NEXT) | instid1(VALU_DEP_2)
	v_mul_lo_u32 v1, s38, v37
	v_lshlrev_b32_e32 v38, 2, v7
	v_cmp_gt_u32_e64 s5, 32, v37
	v_cmp_gt_i32_e32 vcc_lo, s29, v37
	s_delay_alu instid0(VALU_DEP_3) | instskip(SKIP_1) | instid1(VALU_DEP_1)
	v_mad_u32_u24 v10, 0x70, v37, v38
	v_ashrrev_i32_e32 v2, 31, v1
	v_lshlrev_b64_e32 v[5:6], 2, v[1:2]
	s_and_saveexec_b32 s27, s5
	s_cbranch_execz .LBB62_40
; %bb.39:
	s_delay_alu instid0(VALU_DEP_1) | instskip(SKIP_1) | instid1(VALU_DEP_2)
	v_add_co_u32 v1, s6, s8, v5
	s_wait_alu 0xf1ff
	v_add_co_ci_u32_e64 v2, null, s9, v6, s6
	s_delay_alu instid0(VALU_DEP_2) | instskip(SKIP_1) | instid1(VALU_DEP_2)
	v_add_co_u32 v11, s6, v1, v38
	s_wait_alu 0xf1ff
	v_add_co_ci_u32_e64 v12, null, 0, v2, s6
	v_dual_mov_b32 v1, v0 :: v_dual_mov_b32 v2, v0
	s_wait_alu 0xfffd
	v_cndmask_b32_e32 v11, 0, v11, vcc_lo
	s_wait_alu 0xfffe
	v_cndmask_b32_e32 v12, s37, v12, vcc_lo
	s_clause 0x1
	scratch_store_b32 off, v0, off
	scratch_store_b96 off, v[0:2], off offset:4
	flat_load_b128 v[11:14], v[11:12]
	s_wait_loadcnt_dscnt 0x0
	ds_store_b128 v10, v[11:14]
.LBB62_40:
	s_wait_alu 0xfffe
	s_or_b32 exec_lo, exec_lo, s27
	s_wait_storecnt 0x0
	s_wait_loadcnt_dscnt 0x0
	s_barrier_signal -1
	s_barrier_wait -1
	global_inv scope:SCOPE_SE
	ds_load_b128 v[11:14], v62
	ds_load_b128 v[15:18], v61
	s_wait_dscnt 0x0
	;;#ASMSTART
	v_dot2_f32_f16 v0, v11, v15, v0
	;;#ASMEND
	;;#ASMSTART
	v_dot2_f32_f16 v0, v12, v16, v0
	;;#ASMEND
	;;#ASMSTART
	v_dot2_f32_f16 v0, v13, v17, v0
	;;#ASMEND
	;;#ASMSTART
	v_dot2_f32_f16 v0, v14, v18, v0
	;;#ASMEND
	ds_load_b128 v[11:14], v62 offset:16
	ds_load_b128 v[15:18], v61 offset:16
	s_wait_dscnt 0x0
	;;#ASMSTART
	v_dot2_f32_f16 v0, v11, v15, v0
	;;#ASMEND
	;;#ASMSTART
	v_dot2_f32_f16 v0, v12, v16, v0
	;;#ASMEND
	;;#ASMSTART
	v_dot2_f32_f16 v0, v13, v17, v0
	;;#ASMEND
	;;#ASMSTART
	v_dot2_f32_f16 v0, v14, v18, v0
	;;#ASMEND
	ds_load_b128 v[11:14], v62 offset:32
	ds_load_b128 v[15:18], v61 offset:32
	;; [unrolled: 15-line block ×5, first 2 shown]
	s_wait_dscnt 0x0
	;;#ASMSTART
	v_dot2_f32_f16 v0, v11, v15, v0
	;;#ASMEND
	;;#ASMSTART
	v_dot2_f32_f16 v0, v12, v16, v0
	;;#ASMEND
	;; [unrolled: 3-line block ×4, first 2 shown]
	s_wait_loadcnt 0x0
	s_barrier_signal -1
	s_barrier_wait -1
	global_inv scope:SCOPE_SE
	s_and_saveexec_b32 s6, s4
	s_cbranch_execz .LBB62_42
; %bb.41:
	v_add_co_u32 v1, s4, s8, v3
	s_wait_alu 0xf1ff
	v_add_co_ci_u32_e64 v2, null, s9, v4, s4
	s_delay_alu instid0(VALU_DEP_2) | instskip(SKIP_1) | instid1(VALU_DEP_2)
	v_add_co_u32 v3, s4, v1, v9
	s_wait_alu 0xf1ff
	v_add_co_ci_u32_e64 v2, null, 0, v2, s4
	v_mov_b32_e32 v1, 0
	s_delay_alu instid0(VALU_DEP_3) | instskip(SKIP_1) | instid1(VALU_DEP_3)
	v_add_co_u32 v4, s4, 0xa0, v3
	s_wait_alu 0xf1ff
	v_add_co_ci_u32_e64 v9, null, 0, v2, s4
	s_delay_alu instid0(VALU_DEP_3) | instskip(NEXT) | instid1(VALU_DEP_3)
	v_dual_mov_b32 v2, v1 :: v_dual_mov_b32 v3, v1
	v_cndmask_b32_e64 v11, 0, v4, s3
	s_delay_alu instid0(VALU_DEP_3)
	v_cndmask_b32_e64 v12, s7, v9, s3
	s_clause 0x1
	scratch_store_b32 off, v1, off
	scratch_store_b96 off, v[1:3], off offset:4
	flat_load_b128 v[1:4], v[11:12]
	s_wait_loadcnt_dscnt 0x0
	ds_store_b128 v8, v[1:4]
.LBB62_42:
	s_wait_alu 0xfffe
	s_or_b32 exec_lo, exec_lo, s6
	s_and_saveexec_b32 s4, s5
	s_cbranch_execz .LBB62_44
; %bb.43:
	v_add_co_u32 v1, s3, s8, v5
	s_wait_alu 0xf1ff
	v_add_co_ci_u32_e64 v2, null, s9, v6, s3
	s_delay_alu instid0(VALU_DEP_2) | instskip(SKIP_1) | instid1(VALU_DEP_2)
	v_add_co_u32 v3, s3, v1, v38
	s_wait_alu 0xf1ff
	v_add_co_ci_u32_e64 v2, null, 0, v2, s3
	s_delay_alu instid0(VALU_DEP_2) | instskip(SKIP_2) | instid1(VALU_DEP_3)
	v_add_co_u32 v4, s3, 0x60, v3
	v_mov_b32_e32 v1, 0
	s_wait_alu 0xf1ff
	v_add_co_ci_u32_e64 v5, null, 0, v2, s3
	s_wait_alu 0xfffd
	v_cndmask_b32_e32 v4, 0, v4, vcc_lo
	v_dual_mov_b32 v2, v1 :: v_dual_mov_b32 v3, v1
	s_delay_alu instid0(VALU_DEP_3)
	v_cndmask_b32_e32 v5, s37, v5, vcc_lo
	s_clause 0x1
	scratch_store_b32 off, v1, off
	scratch_store_b96 off, v[1:3], off offset:4
	flat_load_b128 v[1:4], v[4:5]
	s_wait_loadcnt_dscnt 0x0
	ds_store_b128 v10, v[1:4]
.LBB62_44:
	s_wait_alu 0xfffe
	s_or_b32 exec_lo, exec_lo, s4
	s_wait_storecnt 0x0
	s_wait_loadcnt_dscnt 0x0
	s_barrier_signal -1
	s_barrier_wait -1
	global_inv scope:SCOPE_SE
	ds_load_b128 v[1:4], v62
	ds_load_b128 v[8:11], v61 offset:96
	s_mov_b32 s4, exec_lo
	s_wait_dscnt 0x0
	;;#ASMSTART
	v_dot2_f32_f16 v0, v1, v8, v0
	;;#ASMEND
	;;#ASMSTART
	v_dot2_f32_f16 v0, v2, v9, v0
	;;#ASMEND
	;;#ASMSTART
	v_dot2_f32_f16 v0, v3, v10, v0
	;;#ASMEND
	;;#ASMSTART
	v_dot2_f32_f16 v0, v4, v11, v0
	;;#ASMEND
	ds_load_b128 v[1:4], v62 offset:16
	ds_load_b128 v[8:11], v61 offset:112
	s_wait_dscnt 0x0
	;;#ASMSTART
	v_dot2_f32_f16 v0, v1, v8, v0
	;;#ASMEND
	;;#ASMSTART
	v_dot2_f32_f16 v0, v2, v9, v0
	;;#ASMEND
	;;#ASMSTART
	v_dot2_f32_f16 v0, v3, v10, v0
	;;#ASMEND
	;;#ASMSTART
	v_dot2_f32_f16 v0, v4, v11, v0
	;;#ASMEND
	ds_load_b128 v[1:4], v62 offset:32
	ds_load_b128 v[8:11], v61 offset:128
	s_wait_dscnt 0x0
	;;#ASMSTART
	v_dot2_f32_f16 v0, v1, v8, v0
	;;#ASMEND
	;;#ASMSTART
	v_dot2_f32_f16 v0, v2, v9, v0
	;;#ASMEND
	;;#ASMSTART
	v_dot2_f32_f16 v0, v3, v10, v0
	;;#ASMEND
	;;#ASMSTART
	v_dot2_f32_f16 v0, v4, v11, v0
	;;#ASMEND
	ds_load_b128 v[1:4], v62 offset:48
	ds_load_b128 v[8:11], v61 offset:144
	s_wait_dscnt 0x0
	;;#ASMSTART
	v_dot2_f32_f16 v0, v1, v8, v0
	;;#ASMEND
	;;#ASMSTART
	v_dot2_f32_f16 v0, v2, v9, v0
	;;#ASMEND
	;;#ASMSTART
	v_dot2_f32_f16 v0, v3, v10, v0
	;;#ASMEND
	;;#ASMSTART
	v_dot2_f32_f16 v0, v4, v11, v0
	;;#ASMEND
	ds_load_b128 v[1:4], v62 offset:64
	ds_load_b128 v[8:11], v61 offset:160
	s_wait_dscnt 0x0
	;;#ASMSTART
	v_dot2_f32_f16 v0, v1, v8, v0
	;;#ASMEND
	;;#ASMSTART
	v_dot2_f32_f16 v0, v2, v9, v0
	;;#ASMEND
	;;#ASMSTART
	v_dot2_f32_f16 v0, v3, v10, v0
	;;#ASMEND
	;;#ASMSTART
	v_dot2_f32_f16 v0, v4, v11, v0
	;;#ASMEND
	ds_load_b128 v[2:5], v62 offset:80
	ds_load_b128 v[8:11], v61 offset:176
	v_mov_b32_e32 v1, v63
	s_wait_dscnt 0x0
	;;#ASMSTART
	v_dot2_f32_f16 v0, v2, v8, v0
	;;#ASMEND
	;;#ASMSTART
	v_dot2_f32_f16 v0, v3, v9, v0
	;;#ASMEND
	;; [unrolled: 3-line block ×4, first 2 shown]
	v_cmpx_gt_i32_e64 s29, v40
	s_cbranch_execz .LBB62_49
; %bb.45:
	s_cmp_eq_u64 s[34:35], 0
	s_cbranch_scc1 .LBB62_47
; %bb.46:
	v_mul_hi_u32 v1, s20, v41
	s_delay_alu instid0(VALU_DEP_1) | instskip(NEXT) | instid1(VALU_DEP_1)
	v_add_nc_u32_e32 v1, v41, v1
	v_lshrrev_b32_e32 v1, s21, v1
	s_delay_alu instid0(VALU_DEP_1) | instskip(NEXT) | instid1(VALU_DEP_1)
	v_mul_lo_u32 v1, v1, s22
	v_sub_nc_u32_e32 v1, v41, v1
	s_delay_alu instid0(VALU_DEP_1) | instskip(NEXT) | instid1(VALU_DEP_1)
	v_mul_lo_u32 v1, v1, s11
	v_add3_u32 v1, v1, v40, s24
	s_delay_alu instid0(VALU_DEP_1) | instskip(NEXT) | instid1(VALU_DEP_1)
	v_ashrrev_i32_e32 v2, 31, v1
	v_lshlrev_b64_e32 v[1:2], 1, v[1:2]
	s_delay_alu instid0(VALU_DEP_1) | instskip(SKIP_1) | instid1(VALU_DEP_2)
	v_add_co_u32 v1, s3, s34, v1
	s_wait_alu 0xf1ff
	v_add_co_ci_u32_e64 v2, null, s35, v2, s3
	global_load_u16 v1, v[1:2], off
	s_wait_loadcnt 0x0
	v_cvt_f32_f16_e32 v1, v1
	s_delay_alu instid0(VALU_DEP_1)
	v_mul_f32_e32 v1, v57, v1
	s_branch .LBB62_48
.LBB62_47:
	v_mov_b32_e32 v1, 0
.LBB62_48:
	s_delay_alu instid0(VALU_DEP_1) | instskip(NEXT) | instid1(VALU_DEP_1)
	v_add_f32_e32 v0, v0, v1
	v_dual_max_num_f32 v2, v63, v63 :: v_dual_add_f32 v1, 0x40051340, v0
	s_delay_alu instid0(VALU_DEP_1)
	v_max_num_f32_e32 v1, v2, v1
.LBB62_49:
	s_wait_alu 0xfffe
	s_or_b32 exec_lo, exec_lo, s4
	v_xor_b32_e32 v39, 16, v52
	v_xor_b32_e32 v42, 8, v52
	;; [unrolled: 1-line block ×5, first 2 shown]
	v_cmp_gt_i32_e64 s3, 32, v39
	s_ashr_i32 s27, s26, 31
	s_mov_b64 s[4:5], src_private_base
	s_wait_alu 0xfffe
	s_mul_u64 s[6:7], s[24:25], s[26:27]
	s_wait_loadcnt 0x0
	v_cndmask_b32_e64 v2, v52, v39, s3
	v_cmp_gt_i32_e64 s3, 32, v42
	s_wait_alu 0xfffe
	s_lshl_b64 s[6:7], s[6:7], 2
	s_barrier_signal -1
	s_wait_alu 0xfffe
	s_add_nc_u64 s[8:9], s[14:15], s[6:7]
	v_lshlrev_b32_e32 v2, 2, v2
	v_cndmask_b32_e64 v3, v52, v42, s3
	v_cmp_gt_i32_e64 s3, 32, v43
	s_barrier_wait -1
	global_inv scope:SCOPE_SE
	ds_bpermute_b32 v2, v2, v1
	v_max_num_f32_e32 v1, v1, v1
	v_dual_mov_b32 v46, 32 :: v_dual_lshlrev_b32 v3, 2, v3
	s_wait_dscnt 0x0
	v_max_num_f32_e32 v2, v2, v2
	s_delay_alu instid0(VALU_DEP_1)
	v_max_num_f32_e32 v1, v1, v2
	ds_bpermute_b32 v2, v3, v1
	s_wait_alu 0xf1ff
	v_cndmask_b32_e64 v3, v52, v43, s3
	v_cmp_gt_i32_e64 s3, 32, v44
	s_wait_dscnt 0x0
	s_delay_alu instid0(VALU_DEP_2) | instskip(NEXT) | instid1(VALU_DEP_1)
	v_dual_max_num_f32 v2, v2, v2 :: v_dual_lshlrev_b32 v3, 2, v3
	v_max_num_f32_e32 v1, v1, v2
	ds_bpermute_b32 v2, v3, v1
	s_wait_alu 0xf1ff
	v_cndmask_b32_e64 v3, v52, v44, s3
	v_cmp_gt_i32_e64 s3, 32, v45
	s_wait_dscnt 0x0
	s_delay_alu instid0(VALU_DEP_2) | instskip(NEXT) | instid1(VALU_DEP_1)
	v_dual_max_num_f32 v2, v2, v2 :: v_dual_lshlrev_b32 v3, 2, v3
	v_max_num_f32_e32 v1, v1, v2
	ds_bpermute_b32 v2, v3, v1
	s_wait_alu 0xf1ff
	v_cndmask_b32_e64 v3, v52, v45, s3
	s_wait_dscnt 0x0
	s_delay_alu instid0(VALU_DEP_1) | instskip(NEXT) | instid1(VALU_DEP_1)
	v_dual_max_num_f32 v2, v2, v2 :: v_dual_lshlrev_b32 v3, 2, v3
	v_max_num_f32_e32 v1, v1, v2
	ds_bpermute_b32 v2, v3, v1
	s_wait_dscnt 0x0
	v_max_num_f32_e32 v2, v2, v2
	s_delay_alu instid0(VALU_DEP_1) | instskip(NEXT) | instid1(VALU_DEP_1)
	v_max_num_f32_e32 v32, v1, v2
	v_sub_f32_e32 v1, v0, v32
	s_delay_alu instid0(VALU_DEP_1) | instskip(SKIP_1) | instid1(VALU_DEP_2)
	v_mul_f32_e32 v0, 0x3fb8aa3b, v1
	v_cmp_ngt_f32_e64 s3, 0xc2ce8ed0, v1
	v_fma_f32 v2, 0x3fb8aa3b, v1, -v0
	v_rndne_f32_e32 v3, v0
	s_delay_alu instid0(VALU_DEP_2) | instskip(NEXT) | instid1(VALU_DEP_2)
	v_fmamk_f32 v2, v1, 0x32a5705f, v2
	v_sub_f32_e32 v0, v0, v3
	s_delay_alu instid0(VALU_DEP_1) | instskip(SKIP_2) | instid1(VALU_DEP_3)
	v_add_f32_e32 v0, v0, v2
	v_cvt_i32_f32_e32 v2, v3
	v_mul_u32_u24_e32 v3, 0xc0, v37
	v_exp_f32_e32 v0, v0
	s_delay_alu instid0(VALU_DEP_1) | instskip(NEXT) | instid1(VALU_DEP_1)
	v_lshl_or_b32 v3, v7, 2, v3
	v_add_nc_u32_e32 v50, 0x80, v3
	s_delay_alu instid0(TRANS32_DEP_1) | instskip(SKIP_1) | instid1(VALU_DEP_1)
	v_ldexp_f32 v0, v0, v2
	s_wait_alu 0xf1ff
	v_cndmask_b32_e64 v2, 0, v0, s3
	v_cmp_nlt_f32_e64 s3, 0x42b17218, v1
	v_mul_lo_u32 v0, s26, v37
	s_wait_alu 0xf1ff
	s_delay_alu instid0(VALU_DEP_2) | instskip(SKIP_3) | instid1(VALU_DEP_2)
	v_cndmask_b32_e64 v1, 0x7f800000, v2, s3
	v_cmp_gt_u32_e64 s3, s29, v40
	v_lshl_add_u32 v2, v40, 1, v53
	s_wait_alu 0xf1ff
	v_cndmask_b32_e64 v47, 0, v1, s3
	v_ashrrev_i32_e32 v1, 31, v0
	v_cmp_gt_u32_e64 s3, 16, v37
	s_delay_alu instid0(VALU_DEP_3) | instskip(NEXT) | instid1(VALU_DEP_3)
	v_cvt_f16_f32_e32 v4, v47
	v_lshlrev_b64_e32 v[33:34], 2, v[0:1]
	ds_store_b16 v2, v4
	s_and_saveexec_b32 s6, s3
	s_cbranch_execz .LBB62_51
; %bb.50:
	s_wait_alu 0xfffe
	v_add_co_u32 v0, s4, s8, v33
	s_wait_alu 0xf1ff
	v_add_co_ci_u32_e64 v1, null, s9, v34, s4
	s_delay_alu instid0(VALU_DEP_2) | instskip(SKIP_1) | instid1(VALU_DEP_2)
	v_add_co_u32 v2, s4, v0, v38
	s_wait_alu 0xf1ff
	v_add_co_ci_u32_e64 v1, null, 0, v1, s4
	s_delay_alu instid0(VALU_DEP_2) | instskip(SKIP_2) | instid1(VALU_DEP_3)
	v_add_co_u32 v3, s4, 0x80, v2
	v_mov_b32_e32 v0, 0
	s_wait_alu 0xf1ff
	v_add_co_ci_u32_e64 v4, null, 0, v1, s4
	s_wait_alu 0xfffd
	v_cndmask_b32_e32 v3, 0, v3, vcc_lo
	v_dual_mov_b32 v1, v0 :: v_dual_mov_b32 v2, v0
	s_delay_alu instid0(VALU_DEP_3)
	v_cndmask_b32_e32 v4, s5, v4, vcc_lo
	s_clause 0x1
	scratch_store_b32 off, v0, off
	scratch_store_b96 off, v[0:2], off offset:4
	flat_load_b128 v[0:3], v[3:4]
	s_wait_loadcnt_dscnt 0x0
	ds_store_b128 v50, v[0:3]
.LBB62_51:
	s_wait_alu 0xfffe
	s_or_b32 exec_lo, exec_lo, s6
	v_lshl_add_u32 v49, v55, 2, v59
	v_and_b32_e32 v2, 28, v58
	s_mov_b64 s[6:7], src_private_base
	s_delay_alu instid0(VALU_DEP_2) | instskip(NEXT) | instid1(VALU_DEP_2)
	v_mul_lo_u32 v0, s26, v49
	v_lshlrev_b32_e32 v57, 2, v2
	v_cmp_gt_u32_e32 vcc_lo, 16, v49
	s_delay_alu instid0(VALU_DEP_2) | instskip(NEXT) | instid1(VALU_DEP_4)
	v_mad_u32_u24 v55, 0xc0, v49, v57
	v_ashrrev_i32_e32 v1, 31, v0
	s_delay_alu instid0(VALU_DEP_1)
	v_lshlrev_b64_e32 v[35:36], 2, v[0:1]
	s_and_saveexec_b32 s6, vcc_lo
	s_cbranch_execz .LBB62_53
; %bb.52:
	s_delay_alu instid0(VALU_DEP_1) | instskip(SKIP_1) | instid1(VALU_DEP_2)
	v_add_co_u32 v1, s4, s8, v35
	s_wait_alu 0xf1ff
	v_add_co_ci_u32_e64 v2, null, s9, v36, s4
	v_mov_b32_e32 v0, 0
	s_delay_alu instid0(VALU_DEP_3) | instskip(SKIP_1) | instid1(VALU_DEP_3)
	v_add_co_u32 v3, s4, v1, v57
	s_wait_alu 0xf1ff
	v_add_co_ci_u32_e64 v4, null, 0, v2, s4
	v_cmp_gt_i32_e64 s4, s29, v49
	v_dual_mov_b32 v1, v0 :: v_dual_mov_b32 v2, v0
	s_clause 0x1
	scratch_store_b32 off, v0, off
	scratch_store_b96 off, v[0:2], off offset:4
	s_wait_alu 0xf1fe
	v_cndmask_b32_e64 v4, s7, v4, s4
	v_cndmask_b32_e64 v3, 0, v3, s4
	flat_load_b128 v[0:3], v[3:4]
	s_wait_loadcnt_dscnt 0x0
	ds_store_b128 v55, v[0:3]
.LBB62_53:
	s_wait_alu 0xfffe
	s_or_b32 exec_lo, exec_lo, s6
	v_sub_f32_e32 v48, v63, v32
	s_wait_storecnt 0x0
	s_wait_loadcnt_dscnt 0x0
	s_barrier_signal -1
	s_barrier_wait -1
	global_inv scope:SCOPE_SE
	v_mul_f32_e32 v0, 0x3fb8aa3b, v48
	ds_load_2addr_b64 v[8:11], v51 offset1:24
	ds_load_b128 v[63:66], v53
	ds_load_b128 v[73:76], v53 offset:16
	v_add_nc_u32_e32 v6, 0x800, v51
	s_or_b32 s8, s24, 16
	s_add_co_i32 s29, s29, -16
	v_rndne_f32_e32 v58, v0
	s_wait_alu 0xfffe
	s_ashr_i32 s9, s8, 31
	s_wait_alu 0xfffe
	s_mul_u64 s[8:9], s[8:9], s[26:27]
	s_wait_alu 0xfffe
	s_lshl_b64 s[8:9], s[8:9], 2
	v_sub_f32_e32 v5, v0, v58
	v_fma_f32 v1, 0x3fb8aa3b, v48, -v0
	v_cvt_i32_f32_e32 v58, v58
	v_cmp_ngt_f32_e64 s4, 0xc2ce8ed0, v48
	s_wait_alu 0xfffe
	s_add_nc_u64 s[8:9], s[14:15], s[8:9]
	v_fmamk_f32 v4, v48, 0x32a5705f, v1
	ds_load_2addr_b64 v[12:15], v51 offset0:48 offset1:72
	ds_load_2addr_b64 v[16:19], v51 offset0:96 offset1:120
	;; [unrolled: 1-line block ×4, first 2 shown]
	s_wait_dscnt 0x5
	v_lshrrev_b32_e32 v62, 16, v63
	v_and_b32_e32 v68, 0xffff, v63
	v_dual_add_f32 v4, v5, v4 :: v_dual_add_nc_u32 v5, 0x400, v51
	v_lshrrev_b32_e32 v59, 16, v64
	v_and_b32_e32 v70, 0xffff, v64
	v_and_b32_e32 v69, 0xffff, v65
	s_delay_alu instid0(VALU_DEP_4)
	v_exp_f32_e32 v61, v4
	ds_load_2addr_b64 v[28:31], v5 offset0:112 offset1:136
	ds_load_2addr_b64 v[24:27], v6 offset0:32 offset1:56
	;; [unrolled: 1-line block ×3, first 2 shown]
	s_wait_dscnt 0x7
	v_lshrrev_b32_e32 v64, 16, v75
	v_and_b32_e32 v77, 0xffff, v73
	v_and_b32_e32 v72, 0xffff, v75
	;; [unrolled: 1-line block ×3, first 2 shown]
	s_wait_loadcnt_dscnt 0x0
	s_barrier_signal -1
	s_barrier_wait -1
	global_inv scope:SCOPE_SE
	v_ldexp_f32 v67, v61, v58
	v_lshrrev_b32_e32 v61, 16, v65
	v_lshrrev_b32_e32 v58, 16, v66
	v_and_b32_e32 v66, 0xffff, v66
	v_lshrrev_b32_e32 v65, 16, v74
	v_cndmask_b32_e64 v63, 0, v67, s4
	v_cmp_nlt_f32_e64 s4, 0x42b17218, v48
	v_lshrrev_b32_e32 v67, 16, v73
	v_and_b32_e32 v74, 0xffff, v74
	s_wait_alu 0xf1ff
	s_delay_alu instid0(VALU_DEP_3) | instskip(SKIP_1) | instid1(VALU_DEP_2)
	v_cndmask_b32_e64 v48, 0x7f800000, v63, s4
	v_lshrrev_b32_e32 v63, 16, v76
	v_cvt_f16_f32_e32 v78, v48
	s_delay_alu instid0(VALU_DEP_1)
	v_and_b32_e32 v73, 0xffff, v78
	s_and_saveexec_b32 s4, s3
	s_cbranch_execz .LBB62_55
; %bb.54:
	s_wait_alu 0xfffe
	v_add_co_u32 v33, s3, s8, v33
	s_wait_alu 0xf1ff
	v_add_co_ci_u32_e64 v34, null, s9, v34, s3
	v_mov_b32_e32 v78, 0
	s_delay_alu instid0(VALU_DEP_3) | instskip(SKIP_1) | instid1(VALU_DEP_3)
	v_add_co_u32 v33, s3, v33, v38
	s_wait_alu 0xf1ff
	v_add_co_ci_u32_e64 v34, null, 0, v34, s3
	s_delay_alu instid0(VALU_DEP_3) | instskip(NEXT) | instid1(VALU_DEP_3)
	v_dual_mov_b32 v79, v78 :: v_dual_mov_b32 v80, v78
	v_add_co_u32 v33, s3, 0x80, v33
	s_wait_alu 0xf1ff
	s_delay_alu instid0(VALU_DEP_3)
	v_add_co_ci_u32_e64 v34, null, 0, v34, s3
	v_cmp_gt_i32_e64 s3, s29, v37
	s_clause 0x1
	scratch_store_b32 off, v78, off
	scratch_store_b96 off, v[78:80], off offset:4
	s_wait_alu 0xf1ff
	v_cndmask_b32_e64 v34, s5, v34, s3
	v_cndmask_b32_e64 v33, 0, v33, s3
	flat_load_b128 v[78:81], v[33:34]
	s_wait_loadcnt_dscnt 0x0
	ds_store_b128 v50, v[78:81]
.LBB62_55:
	s_wait_alu 0xfffe
	s_or_b32 exec_lo, exec_lo, s4
	v_mul_u32_u24_e32 v75, 0x10001, v73
	v_mul_u32_u24_e32 v78, 0x10001, v68
	;; [unrolled: 1-line block ×17, first 2 shown]
	s_and_saveexec_b32 s3, vcc_lo
	s_cbranch_execz .LBB62_57
; %bb.56:
	v_add_co_u32 v35, vcc_lo, s8, v35
	s_wait_alu 0xfffd
	v_add_co_ci_u32_e64 v36, null, s9, v36, vcc_lo
	s_delay_alu instid0(VALU_DEP_2) | instskip(SKIP_1) | instid1(VALU_DEP_2)
	v_add_co_u32 v35, vcc_lo, v35, v57
	s_wait_alu 0xfffd
	v_add_co_ci_u32_e64 v36, null, 0, v36, vcc_lo
	v_cmp_gt_i32_e32 vcc_lo, s29, v49
	s_wait_alu 0xfffd
	s_delay_alu instid0(VALU_DEP_2) | instskip(NEXT) | instid1(VALU_DEP_1)
	v_dual_mov_b32 v63, 0 :: v_dual_cndmask_b32 v36, s7, v36
	v_dual_mov_b32 v64, v63 :: v_dual_mov_b32 v65, v63
	v_cndmask_b32_e32 v35, 0, v35, vcc_lo
	s_clause 0x1
	scratch_store_b32 off, v63, off
	scratch_store_b96 off, v[63:65], off offset:4
	flat_load_b128 v[79:82], v[35:36]
	s_wait_loadcnt_dscnt 0x0
	ds_store_b128 v55, v[79:82]
.LBB62_57:
	s_wait_alu 0xfffe
	s_or_b32 exec_lo, exec_lo, s3
	v_pk_mul_f16 v8, v8, v78
	v_pk_mul_f16 v9, v9, v78
	s_wait_storecnt 0x0
	s_wait_loadcnt_dscnt 0x0
	s_barrier_signal -1
	s_barrier_wait -1
	v_pk_fma_f16 v8, v54, v75, v8
	v_pk_fma_f16 v9, v56, v75, v9
	global_inv scope:SCOPE_SE
	v_fmac_f32_e32 v47, v60, v48
	v_pk_fma_f16 v8, v10, v76, v8
	v_pk_fma_f16 v9, v11, v76, v9
	s_delay_alu instid0(VALU_DEP_3) | instskip(NEXT) | instid1(VALU_DEP_3)
	v_mov_b32_e32 v60, v47
	v_pk_fma_f16 v8, v12, v73, v8
	s_delay_alu instid0(VALU_DEP_3) | instskip(NEXT) | instid1(VALU_DEP_2)
	v_pk_fma_f16 v9, v13, v73, v9
	v_pk_fma_f16 v8, v14, v70, v8
	s_delay_alu instid0(VALU_DEP_2) | instskip(NEXT) | instid1(VALU_DEP_2)
	v_pk_fma_f16 v9, v15, v70, v9
	v_pk_fma_f16 v8, v16, v69, v8
	s_delay_alu instid0(VALU_DEP_2) | instskip(NEXT) | instid1(VALU_DEP_2)
	;; [unrolled: 3-line block ×6, first 2 shown]
	v_pk_fma_f16 v1, v1, v61, v9
	v_pk_fma_f16 v8, v2, v59, v0
	s_delay_alu instid0(VALU_DEP_2) | instskip(SKIP_3) | instid1(VALU_DEP_2)
	v_pk_fma_f16 v9, v3, v59, v1
	ds_load_b128 v[0:3], v53 offset:32
	v_pk_fma_f16 v8, v28, v58, v8
	v_pk_fma_f16 v9, v29, v58, v9
	;; [unrolled: 1-line block ×3, first 2 shown]
	s_delay_alu instid0(VALU_DEP_2) | instskip(SKIP_3) | instid1(VALU_DEP_2)
	v_pk_fma_f16 v13, v31, v50, v9
	ds_load_2addr_b64 v[8:11], v51 offset1:24
	v_pk_fma_f16 v12, v24, v38, v12
	v_pk_fma_f16 v13, v25, v38, v13
	;; [unrolled: 1-line block ×3, first 2 shown]
	s_delay_alu instid0(VALU_DEP_2)
	v_pk_fma_f16 v21, v27, v37, v13
	ds_load_b128 v[12:15], v53 offset:48
	ds_load_2addr_b64 v[16:19], v51 offset0:48 offset1:72
	s_wait_dscnt 0x3
	v_and_b32_e32 v22, 0xffff, v0
	v_lshrrev_b32_e32 v0, 16, v0
	v_pk_fma_f16 v4, v4, v34, v20
	v_pk_fma_f16 v5, v5, v34, v21
	v_and_b32_e32 v23, 0xffff, v1
	v_mul_u32_u24_e32 v20, 0x10001, v22
	v_mul_u32_u24_e32 v0, 0x10001, v0
	v_pk_fma_f16 v21, v6, v33, v4
	v_pk_fma_f16 v22, v7, v33, v5
	ds_load_2addr_b64 v[4:7], v51 offset0:96 offset1:120
	v_lshrrev_b32_e32 v1, 16, v1
	s_wait_dscnt 0x3
	v_pk_fma_f16 v8, v8, v20, v21
	v_pk_fma_f16 v9, v9, v20, v22
	v_and_b32_e32 v22, 0xffff, v2
	v_mul_u32_u24_e32 v20, 0x10001, v23
	v_mul_u32_u24_e32 v1, 0x10001, v1
	v_pk_fma_f16 v21, v10, v0, v8
	v_pk_fma_f16 v0, v11, v0, v9
	ds_load_2addr_b64 v[8:11], v51 offset0:144 offset1:168
	v_lshrrev_b32_e32 v2, 16, v2
	s_wait_dscnt 0x2
	v_pk_fma_f16 v16, v16, v20, v21
	v_pk_fma_f16 v0, v17, v20, v0
	v_mul_u32_u24_e32 v20, 0x10001, v22
	v_mul_u32_u24_e32 v2, 0x10001, v2
	s_delay_alu instid0(VALU_DEP_4) | instskip(NEXT) | instid1(VALU_DEP_4)
	v_pk_fma_f16 v21, v18, v1, v16
	v_pk_fma_f16 v0, v19, v1, v0
	ds_load_2addr_b64 v[16:19], v51 offset0:192 offset1:216
	v_and_b32_e32 v1, 0xffff, v3
	s_wait_dscnt 0x2
	v_pk_fma_f16 v4, v4, v20, v21
	v_pk_fma_f16 v0, v5, v20, v0
	v_add_nc_u32_e32 v5, 0x400, v51
	v_lshrrev_b32_e32 v20, 16, v3
	v_mul_u32_u24_e32 v21, 0x10001, v1
	v_pk_fma_f16 v4, v6, v2, v4
	v_pk_fma_f16 v6, v7, v2, v0
	ds_load_2addr_b64 v[0:3], v5 offset0:112 offset1:136
	v_and_b32_e32 v5, 0xffff, v12
	v_mul_u32_u24_e32 v7, 0x10001, v20
	s_wait_dscnt 0x2
	v_pk_fma_f16 v4, v8, v21, v4
	v_pk_fma_f16 v6, v9, v21, v6
	v_add_nc_u32_e32 v8, 0x800, v51
	v_lshrrev_b32_e32 v9, 16, v12
	v_mul_u32_u24_e32 v12, 0x10001, v5
	v_pk_fma_f16 v10, v10, v7, v4
	v_pk_fma_f16 v11, v11, v7, v6
	ds_load_2addr_b64 v[4:7], v8 offset0:32 offset1:56
	v_and_b32_e32 v20, 0xffff, v13
	v_mul_u32_u24_e32 v9, 0x10001, v9
	s_wait_dscnt 0x2
	v_pk_fma_f16 v10, v16, v12, v10
	v_pk_fma_f16 v11, v17, v12, v11
	v_lshrrev_b32_e32 v12, 16, v13
	v_mul_u32_u24_e32 v13, 0x10001, v20
	s_delay_alu instid0(VALU_DEP_4) | instskip(NEXT) | instid1(VALU_DEP_4)
	v_pk_fma_f16 v16, v18, v9, v10
	v_pk_fma_f16 v17, v19, v9, v11
	ds_load_2addr_b64 v[8:11], v8 offset0:80 offset1:104
	v_and_b32_e32 v18, 0xffff, v14
	v_mul_u32_u24_e32 v12, 0x10001, v12
	s_wait_dscnt 0x2
	v_pk_fma_f16 v0, v0, v13, v16
	v_pk_fma_f16 v1, v1, v13, v17
	v_lshrrev_b32_e32 v13, 16, v14
	v_mul_u32_u24_e32 v14, 0x10001, v18
	s_wait_loadcnt_dscnt 0x0
	v_pk_fma_f16 v0, v2, v12, v0
	v_pk_fma_f16 v1, v3, v12, v1
	v_and_b32_e32 v2, 0xffff, v15
	v_mul_u32_u24_e32 v3, 0x10001, v13
	s_barrier_signal -1
	v_pk_fma_f16 v0, v4, v14, v0
	v_pk_fma_f16 v1, v5, v14, v1
	v_lshrrev_b32_e32 v4, 16, v15
	v_mul_u32_u24_e32 v2, 0x10001, v2
	s_barrier_wait -1
	v_pk_fma_f16 v0, v6, v3, v0
	v_pk_fma_f16 v1, v7, v3, v1
	v_mul_u32_u24_e32 v3, 0x10001, v4
	global_inv scope:SCOPE_SE
	v_pk_fma_f16 v0, v8, v2, v0
	v_pk_fma_f16 v1, v9, v2, v1
	s_delay_alu instid0(VALU_DEP_2) | instskip(NEXT) | instid1(VALU_DEP_2)
	v_pk_fma_f16 v54, v10, v3, v0
	v_pk_fma_f16 v56, v11, v3, v1
.LBB62_58:
	v_cmp_lt_i32_e32 vcc_lo, v39, v46
	s_cmp_eq_u64 s[12:13], 0
	s_cselect_b32 s3, -1, 0
	s_cmp_lg_u32 s10, 0
	s_wait_alu 0xfffd
	v_cndmask_b32_e32 v0, v52, v39, vcc_lo
	v_cmp_lt_i32_e32 vcc_lo, v42, v46
	s_cselect_b32 s4, -1, 0
	s_wait_alu 0xfffe
	s_or_b32 s3, s4, s3
	s_wait_alu 0xfffd
	v_cndmask_b32_e32 v1, v52, v42, vcc_lo
	v_cmp_lt_i32_e32 vcc_lo, v43, v46
	s_delay_alu instid0(VALU_DEP_2)
	v_lshlrev_b32_e32 v1, 2, v1
	v_lshlrev_b32_e32 v0, 2, v0
	s_wait_alu 0xfffd
	v_cndmask_b32_e32 v2, v52, v43, vcc_lo
	v_cmp_lt_i32_e32 vcc_lo, v44, v46
	ds_bpermute_b32 v0, v0, v60
	v_lshlrev_b32_e32 v2, 2, v2
	s_wait_dscnt 0x0
	v_add_f32_e32 v0, v60, v0
	ds_bpermute_b32 v1, v1, v0
	s_wait_dscnt 0x0
	v_add_f32_e32 v0, v0, v1
	ds_bpermute_b32 v1, v2, v0
	s_wait_alu 0xfffd
	v_cndmask_b32_e32 v2, v52, v44, vcc_lo
	v_cmp_lt_i32_e32 vcc_lo, v45, v46
	s_delay_alu instid0(VALU_DEP_2)
	v_lshlrev_b32_e32 v2, 2, v2
	s_wait_dscnt 0x0
	v_add_f32_e32 v0, v0, v1
	ds_bpermute_b32 v1, v2, v0
	s_wait_alu 0xfffd
	v_cndmask_b32_e32 v2, v52, v45, vcc_lo
	s_wait_alu 0xfffe
	s_and_b32 vcc_lo, exec_lo, s3
	s_delay_alu instid0(VALU_DEP_1)
	v_lshlrev_b32_e32 v2, 2, v2
	s_wait_dscnt 0x0
	v_add_f32_e32 v0, v0, v1
	ds_bpermute_b32 v1, v2, v0
	s_wait_dscnt 0x0
	v_add_f32_e32 v33, v0, v1
	s_wait_alu 0xfffe
	s_cbranch_vccnz .LBB62_60
; %bb.59:
	v_dual_mov_b32 v0, 0 :: v_dual_max_num_f32 v1, v32, v32
	s_lshl_b64 s[4:5], s[30:31], 2
	s_wait_alu 0xfffe
	s_add_nc_u64 s[4:5], s[12:13], s[4:5]
	global_load_b32 v0, v0, s[4:5]
	s_wait_loadcnt 0x0
	v_max_num_f32_e32 v2, v0, v0
	s_delay_alu instid0(VALU_DEP_1) | instskip(NEXT) | instid1(VALU_DEP_1)
	v_max_num_f32_e32 v1, v1, v2
	v_sub_f32_e32 v0, v0, v1
	s_delay_alu instid0(VALU_DEP_1) | instskip(SKIP_2) | instid1(VALU_DEP_3)
	v_mul_f32_e32 v6, 0x3fb8aa3b, v0
	v_sub_f32_e32 v2, v32, v1
	v_mov_b32_e32 v32, v1
	v_rndne_f32_e32 v8, v6
	s_delay_alu instid0(VALU_DEP_3) | instskip(NEXT) | instid1(VALU_DEP_1)
	v_mul_f32_e32 v3, 0x3fb8aa3b, v2
	v_fma_f32 v4, 0x3fb8aa3b, v2, -v3
	v_rndne_f32_e32 v5, v3
	s_delay_alu instid0(VALU_DEP_1) | instskip(SKIP_1) | instid1(VALU_DEP_2)
	v_dual_fmac_f32 v4, 0x32a5705f, v2 :: v_dual_sub_f32 v3, v3, v5
	v_cvt_i32_f32_e32 v5, v5
	v_add_f32_e32 v3, v3, v4
	v_cmp_ngt_f32_e32 vcc_lo, 0xc2ce8ed0, v2
	v_sub_f32_e32 v4, v6, v8
	s_delay_alu instid0(VALU_DEP_3) | instskip(NEXT) | instid1(TRANS32_DEP_1)
	v_exp_f32_e32 v3, v3
	v_ldexp_f32 v3, v3, v5
	v_cvt_i32_f32_e32 v5, v8
	s_wait_alu 0xfffd
	s_delay_alu instid0(VALU_DEP_2) | instskip(SKIP_2) | instid1(VALU_DEP_2)
	v_cndmask_b32_e32 v3, 0, v3, vcc_lo
	v_fma_f32 v7, 0x3fb8aa3b, v0, -v6
	v_cmp_nlt_f32_e32 vcc_lo, 0x42b17218, v2
	v_fmac_f32_e32 v7, 0x32a5705f, v0
	s_wait_alu 0xfffd
	v_cndmask_b32_e32 v2, 0x7f800000, v3, vcc_lo
	v_cmp_ngt_f32_e32 vcc_lo, 0xc2ce8ed0, v0
	s_delay_alu instid0(VALU_DEP_3) | instskip(NEXT) | instid1(VALU_DEP_1)
	v_add_f32_e32 v4, v4, v7
	v_exp_f32_e32 v4, v4
	s_delay_alu instid0(TRANS32_DEP_1) | instskip(SKIP_1) | instid1(VALU_DEP_1)
	v_ldexp_f32 v4, v4, v5
	s_wait_alu 0xfffd
	v_cndmask_b32_e32 v3, 0, v4, vcc_lo
	v_cmp_nlt_f32_e32 vcc_lo, 0x42b17218, v0
	s_wait_alu 0xfffd
	s_delay_alu instid0(VALU_DEP_2) | instskip(NEXT) | instid1(VALU_DEP_1)
	v_cndmask_b32_e32 v0, 0x7f800000, v3, vcc_lo
	v_fmac_f32_e32 v0, v33, v2
	s_delay_alu instid0(VALU_DEP_1) | instskip(SKIP_1) | instid1(VALU_DEP_1)
	v_mov_b32_e32 v33, v0
	v_cvt_f16_f32_e32 v4, v2
	v_and_b32_e32 v3, 0xffff, v4
	s_delay_alu instid0(VALU_DEP_1) | instskip(NEXT) | instid1(VALU_DEP_1)
	v_mul_u32_u24_e32 v2, 0x10001, v3
	v_pk_mul_f16 v54, v54, v2
	v_pk_mul_f16 v56, v56, v2
.LBB62_60:
	s_mov_b32 s3, exec_lo
	v_cmpx_gt_i32_e64 s22, v41
	s_cbranch_execz .LBB62_65
; %bb.61:
	s_load_b32 s0, s[0:1], 0xd4
	v_mad_co_u64_u32 v[0:1], null, s28, s22, v[41:42]
	s_delay_alu instid0(VALU_DEP_1) | instskip(SKIP_1) | instid1(VALU_DEP_1)
	v_mad_co_u64_u32 v[0:1], null, v0, s23, s[30:31]
	s_wait_kmcnt 0x0
	v_mad_co_u64_u32 v[0:1], null, s0, v0, s[10:11]
	s_cmp_lg_u32 s0, 1
	s_cselect_b32 s0, -1, 0
	s_and_saveexec_b32 s1, s2
	s_cbranch_execz .LBB62_63
; %bb.62:
	v_div_scale_f32 v1, null, v33, v33, 1.0
	v_div_scale_f32 v4, vcc_lo, 1.0, v33, 1.0
	v_lshrrev_b32_e32 v6, 16, v54
	s_delay_alu instid0(VALU_DEP_3) | instskip(SKIP_1) | instid1(VALU_DEP_2)
	v_rcp_f32_e32 v2, v1
	v_cvt_f32_f16_e32 v9, v54
	v_cvt_f32_f16_e32 v8, v6
	s_delay_alu instid0(TRANS32_DEP_1) | instskip(NEXT) | instid1(VALU_DEP_1)
	v_fma_f32 v3, -v1, v2, 1.0
	v_fmac_f32_e32 v2, v3, v2
	s_delay_alu instid0(VALU_DEP_1) | instskip(NEXT) | instid1(VALU_DEP_1)
	v_mul_f32_e32 v3, v4, v2
	v_fma_f32 v5, -v1, v3, v4
	s_delay_alu instid0(VALU_DEP_1) | instskip(NEXT) | instid1(VALU_DEP_1)
	v_fmac_f32_e32 v3, v5, v2
	v_fma_f32 v1, -v1, v3, v4
	v_lshrrev_b32_e32 v4, 16, v56
	s_wait_alu 0xfffd
	s_delay_alu instid0(VALU_DEP_2) | instskip(SKIP_3) | instid1(VALU_DEP_4)
	v_div_fmas_f32 v1, v1, v2, v3
	v_mul_lo_u32 v3, 0x60, v0
	v_mov_b32_e32 v2, 0
	v_cvt_f32_f16_e32 v4, v4
	v_div_fixup_f32 v5, v1, v33, 1.0
	s_delay_alu instid0(VALU_DEP_4) | instskip(SKIP_1) | instid1(VALU_DEP_2)
	v_lshl_add_u32 v1, v40, 2, v3
	s_wait_alu 0xfffe
	v_cndmask_b32_e64 v7, v5, 1.0, s0
	v_cvt_f32_f16_e32 v3, v56
	s_delay_alu instid0(VALU_DEP_3) | instskip(NEXT) | instid1(VALU_DEP_3)
	v_lshlrev_b64_e32 v[5:6], 2, v[1:2]
	v_mul_f32_e32 v4, v7, v4
	s_delay_alu instid0(VALU_DEP_3)
	v_mul_f32_e32 v3, v7, v3
	v_mul_f32_e32 v2, v7, v8
	;; [unrolled: 1-line block ×3, first 2 shown]
	v_add_co_u32 v5, vcc_lo, s16, v5
	s_wait_alu 0xfffd
	v_add_co_ci_u32_e64 v6, null, s17, v6, vcc_lo
	global_store_b128 v[5:6], v[1:4], off
.LBB62_63:
	s_wait_alu 0xfffe
	s_or_b32 exec_lo, exec_lo, s1
	v_cmp_eq_u32_e32 vcc_lo, 0, v40
	s_and_b32 s0, vcc_lo, s0
	s_wait_alu 0xfffe
	s_and_b32 exec_lo, exec_lo, s0
	s_cbranch_execz .LBB62_65
; %bb.64:
	v_ashrrev_i32_e32 v1, 31, v0
	s_delay_alu instid0(VALU_DEP_1) | instskip(NEXT) | instid1(VALU_DEP_1)
	v_lshlrev_b64_e32 v[0:1], 3, v[0:1]
	v_add_co_u32 v0, vcc_lo, s18, v0
	s_wait_alu 0xfffd
	s_delay_alu instid0(VALU_DEP_2)
	v_add_co_ci_u32_e64 v1, null, s19, v1, vcc_lo
	global_store_b64 v[0:1], v[32:33], off
.LBB62_65:
	s_endpgm
	.section	.rodata,"a",@progbits
	.p2align	6, 0x0
	.amdhsa_kernel _ZL15flash_attn_tileILi96ELi96ELi8ELi1ELb0EEvPKcS1_S1_S1_S1_PKiPfP15HIP_vector_typeIfLj2EEffffjfiS5_IjLj3EEiiiiiiiiiiiliiliiiiil
		.amdhsa_group_segment_fixed_size 5760
		.amdhsa_private_segment_fixed_size 32
		.amdhsa_kernarg_size 464
		.amdhsa_user_sgpr_count 2
		.amdhsa_user_sgpr_dispatch_ptr 0
		.amdhsa_user_sgpr_queue_ptr 0
		.amdhsa_user_sgpr_kernarg_segment_ptr 1
		.amdhsa_user_sgpr_dispatch_id 0
		.amdhsa_user_sgpr_private_segment_size 0
		.amdhsa_wavefront_size32 1
		.amdhsa_uses_dynamic_stack 0
		.amdhsa_enable_private_segment 1
		.amdhsa_system_sgpr_workgroup_id_x 1
		.amdhsa_system_sgpr_workgroup_id_y 1
		.amdhsa_system_sgpr_workgroup_id_z 1
		.amdhsa_system_sgpr_workgroup_info 0
		.amdhsa_system_vgpr_workitem_id 1
		.amdhsa_next_free_vgpr 88
		.amdhsa_next_free_sgpr 46
		.amdhsa_reserve_vcc 1
		.amdhsa_float_round_mode_32 0
		.amdhsa_float_round_mode_16_64 0
		.amdhsa_float_denorm_mode_32 3
		.amdhsa_float_denorm_mode_16_64 3
		.amdhsa_fp16_overflow 0
		.amdhsa_workgroup_processor_mode 1
		.amdhsa_memory_ordered 1
		.amdhsa_forward_progress 1
		.amdhsa_inst_pref_size 89
		.amdhsa_round_robin_scheduling 0
		.amdhsa_exception_fp_ieee_invalid_op 0
		.amdhsa_exception_fp_denorm_src 0
		.amdhsa_exception_fp_ieee_div_zero 0
		.amdhsa_exception_fp_ieee_overflow 0
		.amdhsa_exception_fp_ieee_underflow 0
		.amdhsa_exception_fp_ieee_inexact 0
		.amdhsa_exception_int_div_zero 0
	.end_amdhsa_kernel
	.section	.text._ZL15flash_attn_tileILi96ELi96ELi8ELi1ELb0EEvPKcS1_S1_S1_S1_PKiPfP15HIP_vector_typeIfLj2EEffffjfiS5_IjLj3EEiiiiiiiiiiiliiliiiiil,"axG",@progbits,_ZL15flash_attn_tileILi96ELi96ELi8ELi1ELb0EEvPKcS1_S1_S1_S1_PKiPfP15HIP_vector_typeIfLj2EEffffjfiS5_IjLj3EEiiiiiiiiiiiliiliiiiil,comdat
.Lfunc_end62:
	.size	_ZL15flash_attn_tileILi96ELi96ELi8ELi1ELb0EEvPKcS1_S1_S1_S1_PKiPfP15HIP_vector_typeIfLj2EEffffjfiS5_IjLj3EEiiiiiiiiiiiliiliiiiil, .Lfunc_end62-_ZL15flash_attn_tileILi96ELi96ELi8ELi1ELb0EEvPKcS1_S1_S1_S1_PKiPfP15HIP_vector_typeIfLj2EEffffjfiS5_IjLj3EEiiiiiiiiiiiliiliiiiil
                                        ; -- End function
	.set _ZL15flash_attn_tileILi96ELi96ELi8ELi1ELb0EEvPKcS1_S1_S1_S1_PKiPfP15HIP_vector_typeIfLj2EEffffjfiS5_IjLj3EEiiiiiiiiiiiliiliiiiil.num_vgpr, 88
	.set _ZL15flash_attn_tileILi96ELi96ELi8ELi1ELb0EEvPKcS1_S1_S1_S1_PKiPfP15HIP_vector_typeIfLj2EEffffjfiS5_IjLj3EEiiiiiiiiiiiliiliiiiil.num_agpr, 0
	.set _ZL15flash_attn_tileILi96ELi96ELi8ELi1ELb0EEvPKcS1_S1_S1_S1_PKiPfP15HIP_vector_typeIfLj2EEffffjfiS5_IjLj3EEiiiiiiiiiiiliiliiiiil.numbered_sgpr, 46
	.set _ZL15flash_attn_tileILi96ELi96ELi8ELi1ELb0EEvPKcS1_S1_S1_S1_PKiPfP15HIP_vector_typeIfLj2EEffffjfiS5_IjLj3EEiiiiiiiiiiiliiliiiiil.num_named_barrier, 0
	.set _ZL15flash_attn_tileILi96ELi96ELi8ELi1ELb0EEvPKcS1_S1_S1_S1_PKiPfP15HIP_vector_typeIfLj2EEffffjfiS5_IjLj3EEiiiiiiiiiiiliiliiiiil.private_seg_size, 32
	.set _ZL15flash_attn_tileILi96ELi96ELi8ELi1ELb0EEvPKcS1_S1_S1_S1_PKiPfP15HIP_vector_typeIfLj2EEffffjfiS5_IjLj3EEiiiiiiiiiiiliiliiiiil.uses_vcc, 1
	.set _ZL15flash_attn_tileILi96ELi96ELi8ELi1ELb0EEvPKcS1_S1_S1_S1_PKiPfP15HIP_vector_typeIfLj2EEffffjfiS5_IjLj3EEiiiiiiiiiiiliiliiiiil.uses_flat_scratch, 1
	.set _ZL15flash_attn_tileILi96ELi96ELi8ELi1ELb0EEvPKcS1_S1_S1_S1_PKiPfP15HIP_vector_typeIfLj2EEffffjfiS5_IjLj3EEiiiiiiiiiiiliiliiiiil.has_dyn_sized_stack, 0
	.set _ZL15flash_attn_tileILi96ELi96ELi8ELi1ELb0EEvPKcS1_S1_S1_S1_PKiPfP15HIP_vector_typeIfLj2EEffffjfiS5_IjLj3EEiiiiiiiiiiiliiliiiiil.has_recursion, 0
	.set _ZL15flash_attn_tileILi96ELi96ELi8ELi1ELb0EEvPKcS1_S1_S1_S1_PKiPfP15HIP_vector_typeIfLj2EEffffjfiS5_IjLj3EEiiiiiiiiiiiliiliiiiil.has_indirect_call, 0
	.section	.AMDGPU.csdata,"",@progbits
; Kernel info:
; codeLenInByte = 11308
; TotalNumSgprs: 48
; NumVgprs: 88
; ScratchSize: 32
; MemoryBound: 0
; FloatMode: 240
; IeeeMode: 1
; LDSByteSize: 5760 bytes/workgroup (compile time only)
; SGPRBlocks: 0
; VGPRBlocks: 10
; NumSGPRsForWavesPerEU: 48
; NumVGPRsForWavesPerEU: 88
; Occupancy: 16
; WaveLimiterHint : 1
; COMPUTE_PGM_RSRC2:SCRATCH_EN: 1
; COMPUTE_PGM_RSRC2:USER_SGPR: 2
; COMPUTE_PGM_RSRC2:TRAP_HANDLER: 0
; COMPUTE_PGM_RSRC2:TGID_X_EN: 1
; COMPUTE_PGM_RSRC2:TGID_Y_EN: 1
; COMPUTE_PGM_RSRC2:TGID_Z_EN: 1
; COMPUTE_PGM_RSRC2:TIDIG_COMP_CNT: 1
	.section	.text._ZL33flash_attn_stream_k_fixup_uniformILi96ELi8ELi1EEvPfPK15HIP_vector_typeIfLj2EEiiiiiiS1_IjLj3EES5_S5_,"axG",@progbits,_ZL33flash_attn_stream_k_fixup_uniformILi96ELi8ELi1EEvPfPK15HIP_vector_typeIfLj2EEiiiiiiS1_IjLj3EES5_S5_,comdat
	.globl	_ZL33flash_attn_stream_k_fixup_uniformILi96ELi8ELi1EEvPfPK15HIP_vector_typeIfLj2EEiiiiiiS1_IjLj3EES5_S5_ ; -- Begin function _ZL33flash_attn_stream_k_fixup_uniformILi96ELi8ELi1EEvPfPK15HIP_vector_typeIfLj2EEiiiiiiS1_IjLj3EES5_S5_
	.p2align	8
	.type	_ZL33flash_attn_stream_k_fixup_uniformILi96ELi8ELi1EEvPfPK15HIP_vector_typeIfLj2EEiiiiiiS1_IjLj3EES5_S5_,@function
_ZL33flash_attn_stream_k_fixup_uniformILi96ELi8ELi1EEvPfPK15HIP_vector_typeIfLj2EEiiiiiiS1_IjLj3EES5_S5_: ; @_ZL33flash_attn_stream_k_fixup_uniformILi96ELi8ELi1EEvPfPK15HIP_vector_typeIfLj2EEiiiiiiS1_IjLj3EES5_S5_
; %bb.0:
	s_clause 0x1
	s_load_b256 s[4:11], s[0:1], 0x1c
	s_load_b128 s[12:15], s[0:1], 0x3c
	s_wait_kmcnt 0x0
	s_mul_hi_u32 s2, s7, ttmp9
	s_delay_alu instid0(SALU_CYCLE_1) | instskip(NEXT) | instid1(SALU_CYCLE_1)
	s_add_co_i32 s2, ttmp9, s2
	s_lshr_b32 s2, s2, s8
	s_delay_alu instid0(SALU_CYCLE_1) | instskip(SKIP_2) | instid1(SALU_CYCLE_1)
	s_mul_i32 s3, s2, s9
	s_load_b64 s[8:9], s[0:1], 0x10
	s_sub_co_i32 s3, ttmp9, s3
	s_mul_hi_u32 s7, s3, s10
	s_delay_alu instid0(SALU_CYCLE_1) | instskip(NEXT) | instid1(SALU_CYCLE_1)
	s_add_co_i32 s7, s3, s7
	s_lshr_b32 s7, s7, s11
	s_lshr_b32 s11, ttmp7, 16
	s_mul_i32 s10, s7, s12
	s_delay_alu instid0(SALU_CYCLE_1) | instskip(NEXT) | instid1(SALU_CYCLE_1)
	s_sub_co_i32 s3, s3, s10
	s_mul_hi_u32 s10, s3, s13
	s_delay_alu instid0(SALU_CYCLE_1) | instskip(NEXT) | instid1(SALU_CYCLE_1)
	s_add_co_i32 s10, s3, s10
	s_lshr_b32 s13, s10, s14
	s_delay_alu instid0(SALU_CYCLE_1) | instskip(NEXT) | instid1(SALU_CYCLE_1)
	s_mul_i32 s10, s13, s15
	s_sub_co_i32 s12, s3, s10
	s_and_b32 s10, ttmp7, 0xffff
	s_lshl_b32 s3, s12, 3
	s_delay_alu instid0(SALU_CYCLE_1) | instskip(SKIP_4) | instid1(SALU_CYCLE_1)
	s_add_co_i32 s3, s3, s10
	s_wait_kmcnt 0x0
	s_cmp_lt_i32 s3, s8
	s_cselect_b32 s3, -1, 0
	s_add_co_i32 s13, s13, s11
	s_cmp_lt_i32 s13, s5
	s_cselect_b32 s14, -1, 0
	s_delay_alu instid0(SALU_CYCLE_1) | instskip(NEXT) | instid1(SALU_CYCLE_1)
	s_and_b32 s3, s3, s14
	s_and_not1_b32 vcc_lo, exec_lo, s3
	s_cbranch_vccnz .LBB63_6
; %bb.1:
	s_mul_i32 s8, s2, s8
	s_mul_i32 s7, s7, s5
	s_add_co_i32 s8, s8, s10
	s_add_co_i32 s5, s13, s7
	s_mul_i32 s8, s8, s9
	s_load_b128 s[0:3], s[0:1], 0x0
	s_mul_i32 s7, s9, s12
	s_add_co_i32 s5, s5, s8
	s_mulk_i32 s7, 0x300
	s_mulk_i32 s5, 0x60
	s_add_co_i32 s10, s10, s11
	v_add3_u32 v1, s5, s7, v0
	s_mul_i32 s7, s6, ttmp9
	s_wait_alu 0xfffe
	s_add_co_i32 s5, s7, s6
	s_delay_alu instid0(VALU_DEP_1) | instskip(SKIP_2) | instid1(VALU_DEP_1)
	v_ashrrev_i32_e32 v2, 31, v1
	s_wait_alu 0xfffe
	s_add_co_i32 s8, s5, -2
	v_lshlrev_b64_e32 v[1:2], 2, v[1:2]
	s_wait_kmcnt 0x0
	s_delay_alu instid0(VALU_DEP_1) | instskip(NEXT) | instid1(VALU_DEP_1)
	v_add_co_u32 v1, vcc_lo, s0, v1
	v_add_co_ci_u32_e64 v2, null, s1, v2, vcc_lo
	s_lshl_b32 s0, s5, 3
	s_wait_alu 0xfffe
	s_add_co_i32 s0, s10, s0
	global_load_b32 v5, v[1:2], off
	s_wait_alu 0xfffe
	s_add_co_i32 s0, s0, -8
	s_wait_alu 0xfffe
	s_ashr_i32 s1, s0, 31
	s_wait_alu 0xfffe
	s_lshl_b64 s[0:1], s[0:1], 3
	s_cmp_lt_i32 s8, s7
	s_wait_alu 0xfffe
	s_add_nc_u64 s[0:1], s[2:3], s[0:1]
	s_load_b32 s11, s[0:1], 0x4
	s_cbranch_scc1 .LBB63_4
; %bb.2:
	s_load_b32 s0, s[0:1], 0x0
	s_add_co_i32 s1, ttmp9, 1
	s_lshl_b32 s8, s4, 5
	s_wait_alu 0xfffe
	s_mul_i32 s1, s6, s1
	s_mul_i32 s6, s10, 0x60
	s_wait_alu 0xfffe
	s_lshl_b32 s12, s1, 3
	s_mulk_i32 s1, 0x300
	s_ashr_i32 s9, s8, 31
	s_wait_alu 0xfffe
	s_add_co_i32 s6, s6, s1
	s_add_co_i32 s10, s10, s12
	s_lshl_b32 s1, s4, 3
	s_wait_alu 0xfffe
	v_add3_u32 v3, s6, v0, 0xfffffa00
	s_wait_kmcnt 0x0
	v_mov_b32_e32 v6, s11
	s_lshl_b64 s[8:9], s[8:9], 2
	s_add_co_i32 s4, s10, s1
	s_add_nc_u64 s[8:9], s[2:3], s[8:9]
	s_add_co_i32 s1, s5, -1
	s_wait_alu 0xfffe
	s_add_co_i32 s4, s4, -16
.LBB63_3:                               ; =>This Inner Loop Header: Depth=1
	v_ashrrev_i32_e32 v4, 31, v3
	s_wait_alu 0xfffe
	s_ashr_i32 s5, s4, 31
	v_mov_b32_e32 v10, v6
	s_wait_alu 0xfffe
	s_lshl_b64 s[10:11], s[4:5], 3
	s_wait_loadcnt 0x0
	v_mov_b32_e32 v9, v5
	v_lshlrev_b64_e32 v[7:8], 2, v[3:4]
	s_wait_alu 0xfffe
	s_add_nc_u64 s[10:11], s[2:3], s[10:11]
	v_max_num_f32_e64 v4, s0, s0
	s_load_b64 s[10:11], s[10:11], 0x0
	v_add_nc_u32_e32 v3, 0xfffffd00, v3
	v_add_co_u32 v7, vcc_lo, s8, v7
	s_wait_alu 0xfffd
	v_add_co_ci_u32_e64 v8, null, s9, v8, vcc_lo
	v_readfirstlane_b32 s5, v4
	global_load_b32 v0, v[7:8], off
	s_wait_kmcnt 0x0
	v_max_num_f32_e64 v4, s10, s10
	s_delay_alu instid0(VALU_DEP_1) | instskip(SKIP_2) | instid1(SALU_CYCLE_2)
	v_readfirstlane_b32 s6, v4
	s_max_num_f32 s5, s5, s6
	s_wait_alu 0xfffe
	s_sub_f32 s0, s0, s5
	s_sub_f32 s6, s10, s5
	s_wait_alu 0xfffe
	s_delay_alu instid0(SALU_CYCLE_1) | instskip(NEXT) | instid1(SALU_CYCLE_1)
	s_mul_f32 s10, s0, 0x3fb8aa3b
	s_mul_f32 s12, s6, 0x3fb8aa3b
	s_wait_alu 0xfffe
	s_delay_alu instid0(SALU_CYCLE_1)
	s_xor_b32 s13, s10, 0x80000000
	s_rndne_f32 s14, s10
	s_fmamk_f32 s13, s0, 0x3fb8aa3b, s13
	s_cmp_nlt_f32 s0, 0xc2ce8ed0
	s_rndne_f32 s15, s12
	s_wait_alu 0xfffe
	s_sub_f32 s10, s10, s14
	s_fmamk_f32 s13, s0, 0x32a5705f, s13
	s_cvt_i32_f32 s14, s14
	s_cselect_b32 vcc_lo, -1, 0
	s_cmp_ngt_f32 s0, 0x42b17218
	s_wait_alu 0xfffe
	s_add_f32 s10, s10, s13
	s_sub_f32 s13, s12, s15
	s_wait_alu 0xfffe
	s_delay_alu instid0(SALU_CYCLE_1) | instskip(SKIP_1) | instid1(TRANS32_DEP_1)
	v_s_exp_f32 s10, s10
	s_wait_alu 0xf1ff
	v_ldexp_f32 v4, s10, s14
	s_cvt_i32_f32 s10, s15
	s_delay_alu instid0(VALU_DEP_1) | instskip(SKIP_3) | instid1(VALU_DEP_1)
	v_cndmask_b32_e32 v4, 0, v4, vcc_lo
	s_cselect_b32 vcc_lo, -1, 0
	s_cmp_ge_f32 s0, 0xc1a00000
	s_wait_alu 0xfffe
	v_cndmask_b32_e32 v4, 0x7f800000, v4, vcc_lo
	s_cselect_b32 vcc_lo, -1, 0
	s_xor_b32 s0, s12, 0x80000000
	s_cmp_nlt_f32 s6, 0xc2ce8ed0
	s_wait_alu 0xfffe
	s_fmamk_f32 s0, s6, 0x3fb8aa3b, s0
	s_wait_alu 0xfffe
	s_delay_alu instid0(SALU_CYCLE_2) | instskip(SKIP_1) | instid1(SALU_CYCLE_2)
	s_fmamk_f32 s0, s6, 0x32a5705f, s0
	s_wait_alu 0xfffe
	s_add_f32 s0, s13, s0
	s_wait_alu 0xfffe
	s_delay_alu instid0(SALU_CYCLE_2) | instskip(SKIP_1) | instid1(TRANS32_DEP_1)
	v_s_exp_f32 s0, s0
	s_wait_alu 0xf1ff
	v_ldexp_f32 v7, s0, s10
	s_cselect_b32 s0, -1, 0
	s_cmp_ngt_f32 s6, 0x42b17218
	s_wait_alu 0xfffe
	s_delay_alu instid0(VALU_DEP_1) | instskip(SKIP_3) | instid1(VALU_DEP_1)
	v_cndmask_b32_e64 v7, 0, v7, s0
	s_cselect_b32 s0, -1, 0
	s_cmp_ge_f32 s6, 0xc1a00000
	s_wait_alu 0xfffe
	v_cndmask_b32_e64 v7, 0x7f800000, v7, s0
	s_cselect_b32 s0, -1, 0
	s_add_co_i32 s1, s1, -1
	s_add_co_i32 s4, s4, -8
	s_wait_alu 0xfffe
	s_cmp_le_i32 s1, s7
	v_cndmask_b32_e64 v7, 0, v7, s0
	s_mov_b32 s0, s5
	s_wait_loadcnt 0x0
	s_delay_alu instid0(VALU_DEP_1) | instskip(NEXT) | instid1(VALU_DEP_1)
	v_dual_mul_f32 v5, v0, v7 :: v_dual_cndmask_b32 v4, 0, v4
	v_dual_mul_f32 v8, s11, v7 :: v_dual_fmac_f32 v5, v9, v4
	s_delay_alu instid0(VALU_DEP_1) | instskip(NEXT) | instid1(VALU_DEP_1)
	v_mov_b32_e32 v6, v8
	v_fmac_f32_e32 v6, v10, v4
	s_cbranch_scc0 .LBB63_3
	s_branch .LBB63_5
.LBB63_4:
	s_wait_kmcnt 0x0
	v_mov_b32_e32 v6, s11
.LBB63_5:
	s_wait_loadcnt 0x0
	s_delay_alu instid0(VALU_DEP_1) | instskip(NEXT) | instid1(VALU_DEP_1)
	v_div_scale_f32 v0, null, v6, v6, v5
	v_rcp_f32_e32 v3, v0
	s_delay_alu instid0(TRANS32_DEP_1) | instskip(NEXT) | instid1(VALU_DEP_1)
	v_fma_f32 v4, -v0, v3, 1.0
	v_fmac_f32_e32 v3, v4, v3
	v_div_scale_f32 v4, vcc_lo, v5, v6, v5
	s_delay_alu instid0(VALU_DEP_1) | instskip(NEXT) | instid1(VALU_DEP_1)
	v_mul_f32_e32 v7, v4, v3
	v_fma_f32 v8, -v0, v7, v4
	s_delay_alu instid0(VALU_DEP_1) | instskip(NEXT) | instid1(VALU_DEP_1)
	v_fmac_f32_e32 v7, v8, v3
	v_fma_f32 v0, -v0, v7, v4
	s_wait_alu 0xfffd
	s_delay_alu instid0(VALU_DEP_1) | instskip(NEXT) | instid1(VALU_DEP_1)
	v_div_fmas_f32 v0, v0, v3, v7
	v_div_fixup_f32 v0, v0, v6, v5
	global_store_b32 v[1:2], v0, off
.LBB63_6:
	s_endpgm
	.section	.rodata,"a",@progbits
	.p2align	6, 0x0
	.amdhsa_kernel _ZL33flash_attn_stream_k_fixup_uniformILi96ELi8ELi1EEvPfPK15HIP_vector_typeIfLj2EEiiiiiiS1_IjLj3EES5_S5_
		.amdhsa_group_segment_fixed_size 0
		.amdhsa_private_segment_fixed_size 0
		.amdhsa_kernarg_size 76
		.amdhsa_user_sgpr_count 2
		.amdhsa_user_sgpr_dispatch_ptr 0
		.amdhsa_user_sgpr_queue_ptr 0
		.amdhsa_user_sgpr_kernarg_segment_ptr 1
		.amdhsa_user_sgpr_dispatch_id 0
		.amdhsa_user_sgpr_private_segment_size 0
		.amdhsa_wavefront_size32 1
		.amdhsa_uses_dynamic_stack 0
		.amdhsa_enable_private_segment 0
		.amdhsa_system_sgpr_workgroup_id_x 1
		.amdhsa_system_sgpr_workgroup_id_y 1
		.amdhsa_system_sgpr_workgroup_id_z 1
		.amdhsa_system_sgpr_workgroup_info 0
		.amdhsa_system_vgpr_workitem_id 0
		.amdhsa_next_free_vgpr 11
		.amdhsa_next_free_sgpr 16
		.amdhsa_reserve_vcc 1
		.amdhsa_float_round_mode_32 0
		.amdhsa_float_round_mode_16_64 0
		.amdhsa_float_denorm_mode_32 3
		.amdhsa_float_denorm_mode_16_64 3
		.amdhsa_fp16_overflow 0
		.amdhsa_workgroup_processor_mode 1
		.amdhsa_memory_ordered 1
		.amdhsa_forward_progress 1
		.amdhsa_inst_pref_size 9
		.amdhsa_round_robin_scheduling 0
		.amdhsa_exception_fp_ieee_invalid_op 0
		.amdhsa_exception_fp_denorm_src 0
		.amdhsa_exception_fp_ieee_div_zero 0
		.amdhsa_exception_fp_ieee_overflow 0
		.amdhsa_exception_fp_ieee_underflow 0
		.amdhsa_exception_fp_ieee_inexact 0
		.amdhsa_exception_int_div_zero 0
	.end_amdhsa_kernel
	.section	.text._ZL33flash_attn_stream_k_fixup_uniformILi96ELi8ELi1EEvPfPK15HIP_vector_typeIfLj2EEiiiiiiS1_IjLj3EES5_S5_,"axG",@progbits,_ZL33flash_attn_stream_k_fixup_uniformILi96ELi8ELi1EEvPfPK15HIP_vector_typeIfLj2EEiiiiiiS1_IjLj3EES5_S5_,comdat
.Lfunc_end63:
	.size	_ZL33flash_attn_stream_k_fixup_uniformILi96ELi8ELi1EEvPfPK15HIP_vector_typeIfLj2EEiiiiiiS1_IjLj3EES5_S5_, .Lfunc_end63-_ZL33flash_attn_stream_k_fixup_uniformILi96ELi8ELi1EEvPfPK15HIP_vector_typeIfLj2EEiiiiiiS1_IjLj3EES5_S5_
                                        ; -- End function
	.set _ZL33flash_attn_stream_k_fixup_uniformILi96ELi8ELi1EEvPfPK15HIP_vector_typeIfLj2EEiiiiiiS1_IjLj3EES5_S5_.num_vgpr, 11
	.set _ZL33flash_attn_stream_k_fixup_uniformILi96ELi8ELi1EEvPfPK15HIP_vector_typeIfLj2EEiiiiiiS1_IjLj3EES5_S5_.num_agpr, 0
	.set _ZL33flash_attn_stream_k_fixup_uniformILi96ELi8ELi1EEvPfPK15HIP_vector_typeIfLj2EEiiiiiiS1_IjLj3EES5_S5_.numbered_sgpr, 16
	.set _ZL33flash_attn_stream_k_fixup_uniformILi96ELi8ELi1EEvPfPK15HIP_vector_typeIfLj2EEiiiiiiS1_IjLj3EES5_S5_.num_named_barrier, 0
	.set _ZL33flash_attn_stream_k_fixup_uniformILi96ELi8ELi1EEvPfPK15HIP_vector_typeIfLj2EEiiiiiiS1_IjLj3EES5_S5_.private_seg_size, 0
	.set _ZL33flash_attn_stream_k_fixup_uniformILi96ELi8ELi1EEvPfPK15HIP_vector_typeIfLj2EEiiiiiiS1_IjLj3EES5_S5_.uses_vcc, 1
	.set _ZL33flash_attn_stream_k_fixup_uniformILi96ELi8ELi1EEvPfPK15HIP_vector_typeIfLj2EEiiiiiiS1_IjLj3EES5_S5_.uses_flat_scratch, 0
	.set _ZL33flash_attn_stream_k_fixup_uniformILi96ELi8ELi1EEvPfPK15HIP_vector_typeIfLj2EEiiiiiiS1_IjLj3EES5_S5_.has_dyn_sized_stack, 0
	.set _ZL33flash_attn_stream_k_fixup_uniformILi96ELi8ELi1EEvPfPK15HIP_vector_typeIfLj2EEiiiiiiS1_IjLj3EES5_S5_.has_recursion, 0
	.set _ZL33flash_attn_stream_k_fixup_uniformILi96ELi8ELi1EEvPfPK15HIP_vector_typeIfLj2EEiiiiiiS1_IjLj3EES5_S5_.has_indirect_call, 0
	.section	.AMDGPU.csdata,"",@progbits
; Kernel info:
; codeLenInByte = 1128
; TotalNumSgprs: 18
; NumVgprs: 11
; ScratchSize: 0
; MemoryBound: 0
; FloatMode: 240
; IeeeMode: 1
; LDSByteSize: 0 bytes/workgroup (compile time only)
; SGPRBlocks: 0
; VGPRBlocks: 1
; NumSGPRsForWavesPerEU: 18
; NumVGPRsForWavesPerEU: 11
; Occupancy: 16
; WaveLimiterHint : 0
; COMPUTE_PGM_RSRC2:SCRATCH_EN: 0
; COMPUTE_PGM_RSRC2:USER_SGPR: 2
; COMPUTE_PGM_RSRC2:TRAP_HANDLER: 0
; COMPUTE_PGM_RSRC2:TGID_X_EN: 1
; COMPUTE_PGM_RSRC2:TGID_Y_EN: 1
; COMPUTE_PGM_RSRC2:TGID_Z_EN: 1
; COMPUTE_PGM_RSRC2:TIDIG_COMP_CNT: 0
	.section	.text._ZL33flash_attn_stream_k_fixup_generalILi96ELi8ELi1EEvPfPK15HIP_vector_typeIfLj2EEiiiiS1_IjLj3EES5_S5_S5_,"axG",@progbits,_ZL33flash_attn_stream_k_fixup_generalILi96ELi8ELi1EEvPfPK15HIP_vector_typeIfLj2EEiiiiS1_IjLj3EES5_S5_S5_,comdat
	.globl	_ZL33flash_attn_stream_k_fixup_generalILi96ELi8ELi1EEvPfPK15HIP_vector_typeIfLj2EEiiiiS1_IjLj3EES5_S5_S5_ ; -- Begin function _ZL33flash_attn_stream_k_fixup_generalILi96ELi8ELi1EEvPfPK15HIP_vector_typeIfLj2EEiiiiS1_IjLj3EES5_S5_S5_
	.p2align	8
	.type	_ZL33flash_attn_stream_k_fixup_generalILi96ELi8ELi1EEvPfPK15HIP_vector_typeIfLj2EEiiiiS1_IjLj3EES5_S5_S5_,@function
_ZL33flash_attn_stream_k_fixup_generalILi96ELi8ELi1EEvPfPK15HIP_vector_typeIfLj2EEiiiiS1_IjLj3EES5_S5_S5_: ; @_ZL33flash_attn_stream_k_fixup_generalILi96ELi8ELi1EEvPfPK15HIP_vector_typeIfLj2EEiiiiS1_IjLj3EES5_S5_S5_
; %bb.0:
	s_clause 0x1
	s_load_b128 s[4:7], s[0:1], 0x10
	s_load_b32 s16, s[0:1], 0x50
	s_mov_b32 s2, ttmp9
	s_ashr_i32 s3, ttmp9, 31
	s_mov_b32 s17, 0
	s_delay_alu instid0(SALU_CYCLE_1) | instskip(SKIP_3) | instid1(SALU_CYCLE_1)
	s_mov_b32 s8, s17
	s_wait_kmcnt 0x0
	s_ashr_i32 s19, s7, 31
	s_mov_b32 s18, s7
	s_mul_u64 s[2:3], s[18:19], s[2:3]
	s_delay_alu instid0(SALU_CYCLE_1) | instskip(NEXT) | instid1(SALU_CYCLE_1)
	s_mov_b32 s9, s3
	s_cmp_lg_u64 s[8:9], 0
	s_cbranch_scc0 .LBB64_21
; %bb.1:
	s_add_nc_u64 s[8:9], s[16:17], 0
	s_mov_b32 s15, s17
	s_xor_b64 s[8:9], s[8:9], 0
	s_mov_b32 s23, s17
	s_cvt_f32_u32 s7, s8
	s_cvt_f32_u32 s10, s9
	s_sub_nc_u64 s[12:13], 0, s[8:9]
	s_delay_alu instid0(SALU_CYCLE_2) | instskip(NEXT) | instid1(SALU_CYCLE_3)
	s_fmamk_f32 s7, s10, 0x4f800000, s7
	v_s_rcp_f32 s7, s7
	s_delay_alu instid0(TRANS32_DEP_1) | instskip(SKIP_1) | instid1(SALU_CYCLE_2)
	s_mul_f32 s7, s7, 0x5f7ffffc
	s_wait_alu 0xfffe
	s_mul_f32 s10, s7, 0x2f800000
	s_delay_alu instid0(SALU_CYCLE_3) | instskip(NEXT) | instid1(SALU_CYCLE_3)
	s_trunc_f32 s10, s10
	s_fmamk_f32 s7, s10, 0xcf800000, s7
	s_cvt_u32_f32 s11, s10
	s_wait_alu 0xfffe
	s_delay_alu instid0(SALU_CYCLE_1) | instskip(NEXT) | instid1(SALU_CYCLE_3)
	s_cvt_u32_f32 s10, s7
	s_mul_u64 s[20:21], s[12:13], s[10:11]
	s_delay_alu instid0(SALU_CYCLE_1)
	s_mul_hi_u32 s25, s10, s21
	s_mul_i32 s24, s10, s21
	s_mul_hi_u32 s14, s10, s20
	s_mul_i32 s22, s11, s20
	s_add_nc_u64 s[14:15], s[14:15], s[24:25]
	s_mul_hi_u32 s7, s11, s20
	s_mul_hi_u32 s26, s11, s21
	s_add_co_u32 s14, s14, s22
	s_wait_alu 0xfffe
	s_add_co_ci_u32 s22, s15, s7
	s_mul_i32 s20, s11, s21
	s_add_co_ci_u32 s21, s26, 0
	s_delay_alu instid0(SALU_CYCLE_1)
	s_add_nc_u64 s[14:15], s[22:23], s[20:21]
	s_mov_b32 s21, s17
	s_add_co_u32 s10, s10, s14
	s_cselect_b32 s7, -1, 0
	s_wait_alu 0xfffe
	s_cmp_lg_u32 s7, 0
	s_add_co_ci_u32 s11, s11, s15
	s_mov_b32 s15, s17
	s_mul_u64 s[12:13], s[12:13], s[10:11]
	s_delay_alu instid0(SALU_CYCLE_1)
	s_mul_hi_u32 s23, s10, s13
	s_mul_i32 s22, s10, s13
	s_mul_hi_u32 s14, s10, s12
	s_mul_i32 s20, s11, s12
	s_add_nc_u64 s[14:15], s[14:15], s[22:23]
	s_mul_hi_u32 s7, s11, s12
	s_mul_hi_u32 s24, s11, s13
	s_mul_i32 s12, s11, s13
	s_add_co_u32 s13, s14, s20
	s_wait_alu 0xfffe
	s_add_co_ci_u32 s20, s15, s7
	s_add_co_ci_u32 s13, s24, 0
	s_mov_b32 s15, s17
	s_add_nc_u64 s[12:13], s[20:21], s[12:13]
	s_delay_alu instid0(SALU_CYCLE_1) | instskip(SKIP_1) | instid1(SALU_CYCLE_1)
	s_add_co_u32 s7, s10, s12
	s_cselect_b32 s10, -1, 0
	s_cmp_lg_u32 s10, 0
	s_add_co_ci_u32 s20, s11, s13
	s_ashr_i32 s10, s3, 31
	s_delay_alu instid0(SALU_CYCLE_1) | instskip(NEXT) | instid1(SALU_CYCLE_1)
	s_mov_b32 s11, s10
	s_add_nc_u64 s[12:13], s[2:3], s[10:11]
	s_delay_alu instid0(SALU_CYCLE_1) | instskip(NEXT) | instid1(SALU_CYCLE_1)
	s_xor_b64 s[12:13], s[12:13], s[10:11]
	s_mul_hi_u32 s23, s12, s20
	s_mul_i32 s22, s12, s20
	s_wait_alu 0xfffe
	s_mul_hi_u32 s14, s12, s7
	s_mul_hi_u32 s24, s13, s7
	s_mul_i32 s7, s13, s7
	s_add_nc_u64 s[14:15], s[14:15], s[22:23]
	s_mul_hi_u32 s3, s13, s20
	s_wait_alu 0xfffe
	s_add_co_u32 s7, s14, s7
	s_mul_i32 s22, s13, s20
	s_add_co_ci_u32 s20, s15, s24
	s_add_co_ci_u32 s23, s3, 0
	s_delay_alu instid0(SALU_CYCLE_1) | instskip(NEXT) | instid1(SALU_CYCLE_1)
	s_add_nc_u64 s[14:15], s[20:21], s[22:23]
	s_mul_u64 s[20:21], s[8:9], s[14:15]
	s_delay_alu instid0(SALU_CYCLE_1)
	s_sub_co_u32 s3, s12, s20
	s_cselect_b32 s7, -1, 0
	s_sub_co_i32 s12, s13, s21
	s_wait_alu 0xfffe
	s_cmp_lg_u32 s7, 0
	s_sub_co_ci_u32 s12, s12, s9
	s_sub_co_u32 s20, s3, s8
	s_cselect_b32 s22, -1, 0
	s_delay_alu instid0(SALU_CYCLE_1) | instskip(SKIP_2) | instid1(SALU_CYCLE_1)
	s_cmp_lg_u32 s22, 0
	s_add_nc_u64 s[22:23], s[14:15], 1
	s_sub_co_ci_u32 s12, s12, 0
	s_cmp_ge_u32 s12, s9
	s_cselect_b32 s24, -1, 0
	s_cmp_ge_u32 s20, s8
	s_cselect_b32 s20, -1, 0
	s_cmp_eq_u32 s12, s9
	s_cselect_b32 s12, s20, s24
	s_add_nc_u64 s[24:25], s[14:15], 2
	s_cmp_lg_u32 s12, 0
	s_cselect_b32 s12, s24, s22
	s_cselect_b32 s20, s25, s23
	s_cmp_lg_u32 s7, 0
	s_sub_co_ci_u32 s7, s13, s21
	s_wait_alu 0xfffe
	s_cmp_ge_u32 s7, s9
	s_cselect_b32 s13, -1, 0
	s_cmp_ge_u32 s3, s8
	s_cselect_b32 s3, -1, 0
	s_cmp_eq_u32 s7, s9
	s_cselect_b32 s3, s3, s13
	s_delay_alu instid0(SALU_CYCLE_1) | instskip(SKIP_4) | instid1(SALU_CYCLE_1)
	s_cmp_lg_u32 s3, 0
	s_mov_b32 s3, s17
	s_cselect_b32 s9, s20, s15
	s_cselect_b32 s8, s12, s14
	s_xor_b64 s[10:11], s[10:11], 0
	s_xor_b64 s[8:9], s[8:9], s[10:11]
	s_delay_alu instid0(SALU_CYCLE_1)
	s_sub_nc_u64 s[20:21], s[8:9], s[10:11]
	s_and_not1_b32 vcc_lo, exec_lo, s3
	s_cbranch_vccnz .LBB64_3
.LBB64_2:
	v_cvt_f32_u32_e32 v1, s16
	s_sub_co_i32 s7, 0, s16
	s_delay_alu instid0(VALU_DEP_1) | instskip(NEXT) | instid1(TRANS32_DEP_1)
	v_rcp_iflag_f32_e32 v1, v1
	v_mul_f32_e32 v1, 0x4f7ffffe, v1
	s_delay_alu instid0(VALU_DEP_1) | instskip(NEXT) | instid1(VALU_DEP_1)
	v_cvt_u32_f32_e32 v1, v1
	v_readfirstlane_b32 s3, v1
	s_wait_alu 0xfffe
	s_mul_i32 s7, s7, s3
	s_wait_alu 0xfffe
	s_mul_hi_u32 s7, s3, s7
	s_wait_alu 0xfffe
	s_add_co_i32 s3, s3, s7
	s_delay_alu instid0(SALU_CYCLE_1) | instskip(NEXT) | instid1(SALU_CYCLE_1)
	s_mul_hi_u32 s3, s2, s3
	s_mul_i32 s7, s3, s16
	s_wait_alu 0xfffe
	s_sub_co_i32 s2, s2, s7
	s_add_co_i32 s7, s3, 1
	s_sub_co_i32 s8, s2, s16
	s_cmp_ge_u32 s2, s16
	s_wait_alu 0xfffe
	s_cselect_b32 s3, s7, s3
	s_cselect_b32 s2, s8, s2
	s_add_co_i32 s7, s3, 1
	s_cmp_ge_u32 s2, s16
	s_wait_alu 0xfffe
	s_cselect_b32 s20, s7, s3
.LBB64_3:
	s_add_co_i32 s2, ttmp9, 1
	s_mov_b32 s8, 0
	s_ashr_i32 s3, s2, 31
	s_delay_alu instid0(SALU_CYCLE_1) | instskip(NEXT) | instid1(SALU_CYCLE_1)
	s_mul_u64 s[2:3], s[18:19], s[2:3]
	s_mov_b32 s9, s3
	s_delay_alu instid0(SALU_CYCLE_1)
	s_cmp_lg_u64 s[8:9], 0
	s_cbranch_scc0 .LBB64_22
; %bb.4:
	s_add_nc_u64 s[10:11], s[16:17], 0
	s_mov_b32 s23, s8
	s_xor_b64 s[10:11], s[10:11], 0
	s_mov_b32 s27, s8
	s_cvt_f32_u32 s7, s10
	s_cvt_f32_u32 s9, s11
	s_sub_nc_u64 s[14:15], 0, s[10:11]
	s_wait_alu 0xfffe
	s_delay_alu instid0(SALU_CYCLE_1) | instskip(SKIP_1) | instid1(SALU_CYCLE_2)
	s_fmamk_f32 s7, s9, 0x4f800000, s7
	s_wait_alu 0xfffe
	v_s_rcp_f32 s7, s7
	s_delay_alu instid0(TRANS32_DEP_1) | instskip(SKIP_1) | instid1(SALU_CYCLE_2)
	s_mul_f32 s7, s7, 0x5f7ffffc
	s_wait_alu 0xfffe
	s_mul_f32 s9, s7, 0x2f800000
	s_delay_alu instid0(SALU_CYCLE_3) | instskip(NEXT) | instid1(SALU_CYCLE_3)
	s_trunc_f32 s9, s9
	s_fmamk_f32 s7, s9, 0xcf800000, s7
	s_cvt_u32_f32 s13, s9
	s_wait_alu 0xfffe
	s_delay_alu instid0(SALU_CYCLE_1) | instskip(NEXT) | instid1(SALU_CYCLE_3)
	s_cvt_u32_f32 s12, s7
	s_mul_u64 s[24:25], s[14:15], s[12:13]
	s_delay_alu instid0(SALU_CYCLE_1)
	s_mul_hi_u32 s29, s12, s25
	s_mul_i32 s28, s12, s25
	s_mul_hi_u32 s22, s12, s24
	s_mul_i32 s9, s13, s24
	s_add_nc_u64 s[22:23], s[22:23], s[28:29]
	s_mul_hi_u32 s7, s13, s24
	s_mul_hi_u32 s21, s13, s25
	s_add_co_u32 s9, s22, s9
	s_wait_alu 0xfffe
	s_add_co_ci_u32 s26, s23, s7
	s_mul_i32 s24, s13, s25
	s_add_co_ci_u32 s25, s21, 0
	s_delay_alu instid0(SALU_CYCLE_1)
	s_add_nc_u64 s[22:23], s[26:27], s[24:25]
	s_mov_b32 s25, s8
	s_add_co_u32 s12, s12, s22
	s_cselect_b32 s7, -1, 0
	s_wait_alu 0xfffe
	s_cmp_lg_u32 s7, 0
	s_add_co_ci_u32 s13, s13, s23
	s_mov_b32 s23, s8
	s_mul_u64 s[14:15], s[14:15], s[12:13]
	s_delay_alu instid0(SALU_CYCLE_1)
	s_mul_hi_u32 s27, s12, s15
	s_mul_i32 s26, s12, s15
	s_mul_hi_u32 s22, s12, s14
	s_mul_i32 s9, s13, s14
	s_add_nc_u64 s[22:23], s[22:23], s[26:27]
	s_mul_hi_u32 s7, s13, s14
	s_mul_hi_u32 s21, s13, s15
	s_add_co_u32 s9, s22, s9
	s_wait_alu 0xfffe
	s_add_co_ci_u32 s24, s23, s7
	s_mul_i32 s14, s13, s15
	s_add_co_ci_u32 s15, s21, 0
	s_mov_b32 s23, s8
	s_add_nc_u64 s[14:15], s[24:25], s[14:15]
	s_delay_alu instid0(SALU_CYCLE_1) | instskip(SKIP_1) | instid1(SALU_CYCLE_1)
	s_add_co_u32 s7, s12, s14
	s_cselect_b32 s9, -1, 0
	s_cmp_lg_u32 s9, 0
	s_add_co_ci_u32 s9, s13, s15
	s_ashr_i32 s12, s3, 31
	s_delay_alu instid0(SALU_CYCLE_1) | instskip(NEXT) | instid1(SALU_CYCLE_1)
	s_mov_b32 s13, s12
	s_add_nc_u64 s[14:15], s[2:3], s[12:13]
	s_delay_alu instid0(SALU_CYCLE_1) | instskip(NEXT) | instid1(SALU_CYCLE_1)
	s_xor_b64 s[14:15], s[14:15], s[12:13]
	s_mul_hi_u32 s27, s14, s9
	s_mul_i32 s26, s14, s9
	s_wait_alu 0xfffe
	s_mul_hi_u32 s22, s14, s7
	s_mul_hi_u32 s21, s15, s7
	s_mul_i32 s7, s15, s7
	s_add_nc_u64 s[22:23], s[22:23], s[26:27]
	s_mul_hi_u32 s3, s15, s9
	s_wait_alu 0xfffe
	s_add_co_u32 s7, s22, s7
	s_add_co_ci_u32 s24, s23, s21
	s_mul_i32 s26, s15, s9
	s_add_co_ci_u32 s27, s3, 0
	s_delay_alu instid0(SALU_CYCLE_1) | instskip(NEXT) | instid1(SALU_CYCLE_1)
	s_add_nc_u64 s[22:23], s[24:25], s[26:27]
	s_mul_u64 s[24:25], s[10:11], s[22:23]
	s_add_nc_u64 s[26:27], s[22:23], 1
	s_sub_co_u32 s3, s14, s24
	s_cselect_b32 s7, -1, 0
	s_sub_co_i32 s9, s15, s25
	s_wait_alu 0xfffe
	s_cmp_lg_u32 s7, 0
	s_add_nc_u64 s[28:29], s[22:23], 2
	s_sub_co_ci_u32 s9, s9, s11
	s_sub_co_u32 s14, s3, s10
	s_cselect_b32 s21, -1, 0
	s_delay_alu instid0(SALU_CYCLE_1) | instskip(SKIP_1) | instid1(SALU_CYCLE_1)
	s_cmp_lg_u32 s21, 0
	s_sub_co_ci_u32 s9, s9, 0
	s_cmp_ge_u32 s9, s11
	s_cselect_b32 s21, -1, 0
	s_cmp_ge_u32 s14, s10
	s_cselect_b32 s14, -1, 0
	s_cmp_eq_u32 s9, s11
	s_cselect_b32 s9, s14, s21
	s_delay_alu instid0(SALU_CYCLE_1)
	s_cmp_lg_u32 s9, 0
	s_cselect_b32 s9, s28, s26
	s_cselect_b32 s14, s29, s27
	s_cmp_lg_u32 s7, 0
	s_sub_co_ci_u32 s7, s15, s25
	s_wait_alu 0xfffe
	s_cmp_ge_u32 s7, s11
	s_cselect_b32 s15, -1, 0
	s_cmp_ge_u32 s3, s10
	s_cselect_b32 s3, -1, 0
	s_cmp_eq_u32 s7, s11
	s_cselect_b32 s3, s3, s15
	s_delay_alu instid0(SALU_CYCLE_1) | instskip(SKIP_3) | instid1(SALU_CYCLE_1)
	s_cmp_lg_u32 s3, 0
	s_cselect_b32 s11, s14, s23
	s_cselect_b32 s10, s9, s22
	s_xor_b64 s[12:13], s[12:13], 0
	s_xor_b64 s[10:11], s[10:11], s[12:13]
	s_delay_alu instid0(SALU_CYCLE_1)
	s_sub_nc_u64 s[10:11], s[10:11], s[12:13]
	s_load_b96 s[12:14], s[0:1], 0x44
	s_and_not1_b32 vcc_lo, exec_lo, s8
	s_cbranch_vccnz .LBB64_6
.LBB64_5:
	v_cvt_f32_u32_e32 v1, s16
	s_sub_co_i32 s7, 0, s16
	s_delay_alu instid0(VALU_DEP_1) | instskip(NEXT) | instid1(TRANS32_DEP_1)
	v_rcp_iflag_f32_e32 v1, v1
	v_mul_f32_e32 v1, 0x4f7ffffe, v1
	s_delay_alu instid0(VALU_DEP_1) | instskip(NEXT) | instid1(VALU_DEP_1)
	v_cvt_u32_f32_e32 v1, v1
	v_readfirstlane_b32 s3, v1
	s_wait_alu 0xfffe
	s_mul_i32 s7, s7, s3
	s_wait_alu 0xfffe
	s_mul_hi_u32 s7, s3, s7
	s_wait_alu 0xfffe
	s_add_co_i32 s3, s3, s7
	s_delay_alu instid0(SALU_CYCLE_1) | instskip(NEXT) | instid1(SALU_CYCLE_1)
	s_mul_hi_u32 s3, s2, s3
	s_mul_i32 s7, s3, s16
	s_wait_alu 0xfffe
	s_sub_co_i32 s2, s2, s7
	s_add_co_i32 s7, s3, 1
	s_sub_co_i32 s8, s2, s16
	s_cmp_ge_u32 s2, s16
	s_wait_alu 0xfffe
	s_cselect_b32 s3, s7, s3
	s_cselect_b32 s2, s8, s2
	s_add_co_i32 s7, s3, 1
	s_cmp_ge_u32 s2, s16
	s_wait_alu 0xfffe
	s_cselect_b32 s10, s7, s3
.LBB64_6:
	s_mov_b32 s21, 0
	s_wait_kmcnt 0x0
	s_mov_b32 s22, s12
	s_mov_b32 s23, s21
	s_cmp_eq_u32 s20, s10
	s_mul_u64 s[2:3], s[20:21], s[22:23]
	s_cselect_b32 s7, -1, 0
	s_add_co_i32 s2, s3, s20
	s_mov_b32 s11, s21
	s_lshr_b32 s12, s2, s13
	s_mul_u64 s[2:3], s[10:11], s[22:23]
	s_mul_i32 s2, s12, s14
	s_delay_alu instid0(SALU_CYCLE_1) | instskip(SKIP_2) | instid1(SALU_CYCLE_1)
	s_cmp_eq_u32 s2, s20
	s_cselect_b32 s2, -1, 0
	s_add_co_i32 s3, s3, s10
	s_lshr_b32 s3, s3, s13
	s_delay_alu instid0(SALU_CYCLE_1)
	s_cmp_eq_u32 s12, s3
	s_mul_i32 s3, s3, s14
	s_cselect_b32 s8, -1, 0
	s_cmp_lg_u32 s3, s10
	s_cselect_b32 s3, -1, 0
	s_wait_alu 0xfffe
	s_or_b32 s2, s7, s2
	s_and_b32 s3, s8, s3
	s_delay_alu instid0(SALU_CYCLE_1) | instskip(NEXT) | instid1(SALU_CYCLE_1)
	s_or_b32 s2, s2, s3
	s_and_b32 vcc_lo, exec_lo, s2
	s_cbranch_vccnz .LBB64_24
; %bb.7:
	s_load_b256 s[24:31], s[0:1], 0x20
	s_mov_b32 s3, s21
	s_and_b32 s15, ttmp7, 0xffff
	s_wait_kmcnt 0x0
	s_mov_b32 s2, s24
	s_delay_alu instid0(SALU_CYCLE_1) | instskip(NEXT) | instid1(SALU_CYCLE_1)
	s_mul_u64 s[2:3], s[20:21], s[2:3]
	s_add_co_i32 s2, s3, s20
	s_delay_alu instid0(SALU_CYCLE_1) | instskip(SKIP_4) | instid1(SALU_CYCLE_1)
	s_lshr_b32 s3, s2, s25
	s_load_b32 s2, s[0:1], 0x40
	s_mul_i32 s7, s3, s26
	s_wait_alu 0xfffe
	s_sub_co_i32 s8, s20, s7
	s_mul_hi_u32 s7, s8, s27
	s_wait_alu 0xfffe
	s_add_co_i32 s7, s8, s7
	s_wait_alu 0xfffe
	s_lshr_b32 s7, s7, s28
	s_wait_alu 0xfffe
	s_mul_i32 s9, s7, s29
	s_delay_alu instid0(SALU_CYCLE_1) | instskip(NEXT) | instid1(SALU_CYCLE_1)
	s_sub_co_i32 s8, s8, s9
	s_mul_hi_u32 s9, s8, s30
	s_delay_alu instid0(SALU_CYCLE_1) | instskip(NEXT) | instid1(SALU_CYCLE_1)
	s_add_co_i32 s9, s8, s9
	s_lshr_b32 s24, s9, s31
	s_mov_b32 s9, s21
	s_wait_kmcnt 0x0
	s_mul_i32 s2, s24, s2
	s_delay_alu instid0(SALU_CYCLE_1) | instskip(NEXT) | instid1(SALU_CYCLE_1)
	s_sub_co_i32 s8, s8, s2
	s_mul_u64 s[10:11], s[8:9], s[22:23]
	s_delay_alu instid0(SALU_CYCLE_1) | instskip(NEXT) | instid1(SALU_CYCLE_1)
	s_add_co_i32 s2, s8, s11
	s_lshr_b32 s21, s2, s13
	s_delay_alu instid0(SALU_CYCLE_1) | instskip(NEXT) | instid1(SALU_CYCLE_1)
	s_lshl_b32 s2, s21, 3
	s_add_co_i32 s8, s2, s15
	s_lshr_b32 s2, ttmp7, 16
	s_cmp_lt_i32 s8, s4
	s_cselect_b32 s8, -1, 0
	s_add_co_i32 s24, s24, s2
	s_delay_alu instid0(SALU_CYCLE_1) | instskip(SKIP_1) | instid1(SALU_CYCLE_1)
	s_cmp_lt_i32 s24, s6
	s_cselect_b32 s9, -1, 0
	s_and_b32 s8, s8, s9
	s_delay_alu instid0(SALU_CYCLE_1)
	s_and_not1_b32 vcc_lo, exec_lo, s8
	s_cbranch_vccnz .LBB64_24
; %bb.8:
	s_mul_i32 s3, s3, s4
	s_load_b128 s[8:11], s[0:1], 0x0
	s_add_co_i32 s0, s3, s15
	s_mul_i32 s7, s7, s6
	s_mul_i32 s0, s0, s5
	s_wait_alu 0xfffe
	s_add_co_i32 s1, s24, s7
	s_mul_i32 s3, s5, s21
	s_add_co_i32 s0, s1, s0
	s_mulk_i32 s3, 0x300
	s_mulk_i32 s0, 0x60
	s_add_co_i32 s15, s15, s2
	v_add3_u32 v1, s3, s0, v0
	s_add_nc_u64 s[0:1], s[16:17], 0
	v_cvt_f32_u32_e32 v3, s16
	s_wait_alu 0xfffe
	s_xor_b64 s[6:7], s[0:1], 0
	s_lshl_b32 s0, ttmp9, 3
	v_ashrrev_i32_e32 v2, 31, v1
	s_wait_alu 0xfffe
	s_cvt_f32_u32 s1, s6
	s_cvt_f32_u32 s2, s7
	s_add_co_i32 s0, s0, s15
	v_rcp_iflag_f32_e32 v3, v3
	v_lshlrev_b64_e32 v[1:2], 2, v[1:2]
	s_wait_alu 0xfffe
	s_fmamk_f32 s2, s2, 0x4f800000, s1
	s_ashr_i32 s1, s0, 31
	s_add_co_i32 s34, ttmp9, -1
	s_wait_alu 0xfffe
	s_lshl_b64 s[0:1], s[0:1], 3
	v_s_rcp_f32 s2, s2
	s_wait_kmcnt 0x0
	v_add_co_u32 v1, vcc_lo, s8, v1
	s_delay_alu instid0(VALU_DEP_1)
	v_add_co_ci_u32_e64 v2, null, s9, v2, vcc_lo
	s_wait_alu 0xfffe
	s_add_nc_u64 s[0:1], s[10:11], s[0:1]
	s_mov_b32 s8, 0
	s_load_b64 s[26:27], s[0:1], 0x0
	global_load_b32 v5, v[1:2], off
	s_mul_f32 s2, s2, 0x5f7ffffc
	s_lshl_b32 s0, s16, 5
	s_mov_b32 s1, s8
	v_mul_f32_e32 v6, 0x4f7ffffe, v3
	s_wait_alu 0xfffe
	s_mul_f32 s3, s2, 0x2f800000
	s_lshl_b64 s[0:1], s[0:1], 2
	v_mad_co_u64_u32 v[3:4], null, 0x60, s15, v[0:1]
	s_wait_alu 0xfffe
	s_trunc_f32 s3, s3
	s_add_nc_u64 s[24:25], s[10:11], s[0:1]
	v_cvt_u32_f32_e32 v0, v6
	s_sub_nc_u64 s[30:31], 0, s[6:7]
	s_wait_alu 0xfffe
	s_fmamk_f32 s0, s3, 0xcf800000, s2
	s_cvt_u32_f32 s29, s3
	s_wait_alu 0xfffe
	s_delay_alu instid0(SALU_CYCLE_1)
	s_cvt_u32_f32 s28, s0
	s_wait_kmcnt 0x0
	v_mov_b32_e32 v4, s27
.LBB64_9:                               ; =>This Inner Loop Header: Depth=1
	s_wait_alu 0xfffe
	s_ashr_i32 s35, s34, 31
	s_mov_b32 s2, -1
	s_wait_alu 0xfffe
	s_mul_u64 s[0:1], s[34:35], s[18:19]
                                        ; implicit-def: $sgpr38_sgpr39
	s_wait_alu 0xfffe
	s_mov_b32 s9, s1
	s_wait_alu 0xfffe
	s_cmp_lg_u64 s[8:9], 0
	s_cbranch_scc0 .LBB64_11
; %bb.10:                               ;   in Loop: Header=BB64_9 Depth=1
	s_mul_u64 s[2:3], s[30:31], s[28:29]
	s_mov_b32 s37, s8
	s_wait_alu 0xfffe
	s_mul_hi_u32 s5, s28, s3
	s_mul_i32 s4, s28, s3
	s_mul_hi_u32 s36, s28, s2
	s_mul_hi_u32 s9, s29, s2
	s_wait_alu 0xfffe
	s_add_nc_u64 s[4:5], s[36:37], s[4:5]
	s_mul_i32 s2, s29, s2
	s_mul_hi_u32 s17, s29, s3
	s_wait_alu 0xfffe
	s_add_co_u32 s2, s4, s2
	s_add_co_ci_u32 s2, s5, s9
	s_add_co_ci_u32 s5, s17, 0
	s_mul_i32 s4, s29, s3
	s_mov_b32 s3, s8
	s_mov_b32 s39, s8
	s_wait_alu 0xfffe
	s_add_nc_u64 s[2:3], s[2:3], s[4:5]
	s_wait_alu 0xfffe
	s_add_co_u32 s2, s28, s2
	s_cselect_b32 s4, -1, 0
	s_wait_alu 0xfffe
	s_cmp_lg_u32 s4, 0
	s_add_co_ci_u32 s3, s29, s3
	s_wait_alu 0xfffe
	s_mul_u64 s[4:5], s[30:31], s[2:3]
	s_wait_alu 0xfffe
	s_mul_hi_u32 s37, s2, s5
	s_mul_i32 s36, s2, s5
	s_mul_hi_u32 s38, s2, s4
	s_mul_hi_u32 s9, s3, s4
	s_mul_i32 s4, s3, s4
	s_wait_alu 0xfffe
	s_add_nc_u64 s[36:37], s[38:39], s[36:37]
	s_mul_hi_u32 s17, s3, s5
	s_wait_alu 0xfffe
	s_add_co_u32 s4, s36, s4
	s_add_co_ci_u32 s4, s37, s9
	s_add_co_ci_u32 s37, s17, 0
	s_mul_i32 s36, s3, s5
	s_mov_b32 s5, s8
	s_wait_alu 0xfffe
	s_add_nc_u64 s[4:5], s[4:5], s[36:37]
	s_mov_b32 s37, s8
	s_wait_alu 0xfffe
	s_add_co_u32 s9, s2, s4
	s_cselect_b32 s2, -1, 0
	s_wait_alu 0xfffe
	s_cmp_lg_u32 s2, 0
	s_add_co_ci_u32 s17, s3, s5
	s_ashr_i32 s2, s1, 31
	s_wait_alu 0xfffe
	s_mov_b32 s3, s2
	s_wait_alu 0xfffe
	s_add_nc_u64 s[4:5], s[0:1], s[2:3]
	s_wait_alu 0xfffe
	s_xor_b64 s[4:5], s[4:5], s[2:3]
	s_wait_alu 0xfffe
	s_mul_hi_u32 s39, s4, s17
	s_mul_i32 s38, s4, s17
	s_mul_hi_u32 s36, s4, s9
	s_mul_i32 s21, s5, s9
	s_wait_alu 0xfffe
	s_add_nc_u64 s[36:37], s[36:37], s[38:39]
	s_mul_hi_u32 s9, s5, s9
	s_mul_hi_u32 s1, s5, s17
	s_wait_alu 0xfffe
	s_add_co_u32 s21, s36, s21
	s_add_co_ci_u32 s36, s37, s9
	s_add_co_ci_u32 s39, s1, 0
	s_mul_i32 s38, s5, s17
	s_mov_b32 s37, s8
	s_wait_alu 0xfffe
	s_add_nc_u64 s[36:37], s[36:37], s[38:39]
	s_wait_alu 0xfffe
	s_mul_u64 s[38:39], s[6:7], s[36:37]
	s_add_nc_u64 s[40:41], s[36:37], 1
	s_sub_co_u32 s1, s4, s38
	s_cselect_b32 s4, -1, 0
	s_sub_co_i32 s9, s5, s39
	s_wait_alu 0xfffe
	s_cmp_lg_u32 s4, 0
	s_add_nc_u64 s[42:43], s[36:37], 2
	s_sub_co_ci_u32 s9, s9, s7
	s_sub_co_u32 s17, s1, s6
	s_cselect_b32 s21, -1, 0
	s_delay_alu instid0(SALU_CYCLE_1)
	s_cmp_lg_u32 s21, 0
	s_wait_alu 0xfffe
	s_sub_co_ci_u32 s9, s9, 0
	s_wait_alu 0xfffe
	s_cmp_ge_u32 s9, s7
	s_cselect_b32 s21, -1, 0
	s_cmp_ge_u32 s17, s6
	s_cselect_b32 s17, -1, 0
	s_cmp_eq_u32 s9, s7
	s_wait_alu 0xfffe
	s_cselect_b32 s9, s17, s21
	s_wait_alu 0xfffe
	s_cmp_lg_u32 s9, 0
	s_cselect_b32 s9, s42, s40
	s_cselect_b32 s17, s43, s41
	s_cmp_lg_u32 s4, 0
	s_sub_co_ci_u32 s4, s5, s39
	s_wait_alu 0xfffe
	s_cmp_ge_u32 s4, s7
	s_cselect_b32 s5, -1, 0
	s_cmp_ge_u32 s1, s6
	s_cselect_b32 s1, -1, 0
	s_cmp_eq_u32 s4, s7
	s_wait_alu 0xfffe
	s_cselect_b32 s1, s1, s5
	s_wait_alu 0xfffe
	s_cmp_lg_u32 s1, 0
	s_cselect_b32 s5, s17, s37
	s_cselect_b32 s4, s9, s36
	s_xor_b64 s[2:3], s[2:3], 0
	s_wait_alu 0xfffe
	s_xor_b64 s[4:5], s[4:5], s[2:3]
	s_wait_alu 0xfffe
	s_sub_nc_u64 s[38:39], s[4:5], s[2:3]
	s_mov_b32 s2, 0
.LBB64_11:                              ;   in Loop: Header=BB64_9 Depth=1
	s_wait_alu 0xfffe
	s_and_not1_b32 vcc_lo, exec_lo, s2
	s_wait_alu 0xfffe
	s_cbranch_vccnz .LBB64_13
; %bb.12:                               ;   in Loop: Header=BB64_9 Depth=1
	v_readfirstlane_b32 s1, v0
	s_sub_co_i32 s2, 0, s16
	s_wait_alu 0xfffe
	s_mul_i32 s2, s2, s1
	s_wait_alu 0xfffe
	s_mul_hi_u32 s2, s1, s2
	s_wait_alu 0xfffe
	s_add_co_i32 s1, s1, s2
	s_wait_alu 0xfffe
	s_mul_hi_u32 s1, s0, s1
	s_wait_alu 0xfffe
	s_mul_i32 s2, s1, s16
	s_wait_alu 0xfffe
	s_sub_co_i32 s0, s0, s2
	s_add_co_i32 s2, s1, 1
	s_wait_alu 0xfffe
	s_sub_co_i32 s3, s0, s16
	s_cmp_ge_u32 s0, s16
	s_cselect_b32 s1, s2, s1
	s_wait_alu 0xfffe
	s_cselect_b32 s0, s3, s0
	s_add_co_i32 s2, s1, 1
	s_wait_alu 0xfffe
	s_cmp_ge_u32 s0, s16
	s_cselect_b32 s38, s2, s1
.LBB64_13:                              ;   in Loop: Header=BB64_9 Depth=1
	v_readfirstlane_b32 s9, v0
	s_cmp_lg_u32 s20, s38
	s_mov_b32 s0, -1
                                        ; implicit-def: $sgpr21
                                        ; implicit-def: $vgpr6
                                        ; implicit-def: $vgpr7
                                        ; implicit-def: $sgpr17
                                        ; implicit-def: $sgpr27
	s_cbranch_scc1 .LBB64_16
; %bb.14:                               ;   in Loop: Header=BB64_9 Depth=1
	s_wait_alu 0xfffe
	s_and_not1_b32 vcc_lo, exec_lo, s0
	s_wait_alu 0xfffe
	s_cbranch_vccz .LBB64_19
.LBB64_15:                              ;   in Loop: Header=BB64_9 Depth=1
	s_and_not1_b32 vcc_lo, exec_lo, s21
	s_wait_alu 0xfffe
	s_cbranch_vccnz .LBB64_20
	s_branch .LBB64_23
.LBB64_16:                              ;   in Loop: Header=BB64_9 Depth=1
	s_add_co_i32 s0, s34, s16
	s_mov_b32 s1, s8
	s_wait_alu 0xfffe
	s_lshl_b32 s0, s0, 3
	v_max_num_f32_e64 v6, s26, s26
	s_wait_alu 0xfffe
	s_add_co_i32 s0, s0, s15
	s_mov_b32 s39, s8
	s_wait_alu 0xfffe
	s_lshl_b64 s[0:1], s[0:1], 3
	s_mul_u64 s[40:41], s[38:39], s[22:23]
	s_wait_alu 0xfffe
	s_add_nc_u64 s[0:1], s[10:11], s[0:1]
	s_mov_b32 s27, s20
	s_load_b64 s[36:37], s[0:1], 0x0
	v_readfirstlane_b32 s0, v6
	s_wait_kmcnt 0x0
	v_max_num_f32_e64 v7, s36, s36
	s_delay_alu instid0(VALU_DEP_1) | instskip(SKIP_2) | instid1(SALU_CYCLE_2)
	v_readfirstlane_b32 s1, v7
	s_max_num_f32 s9, s0, s1
	s_wait_alu 0xfffe
	s_sub_f32 s33, s26, s9
	s_sub_f32 s35, s36, s9
	s_wait_alu 0xfffe
	s_delay_alu instid0(SALU_CYCLE_1)
	s_cmp_nlt_f32 s33, 0xc2ce8ed0
	s_cselect_b32 s0, -1, 0
	s_cmp_ngt_f32 s33, 0x42b17218
	s_cselect_b32 s1, -1, 0
	s_cmp_ge_f32 s33, 0xc1a00000
	s_cselect_b32 s2, -1, 0
	s_cmp_nlt_f32 s35, 0xc2ce8ed0
	s_cselect_b32 s3, -1, 0
	s_cmp_ngt_f32 s35, 0x42b17218
	s_cselect_b32 s4, -1, 0
	s_cmp_ge_f32 s35, 0xc1a00000
	s_cselect_b32 s5, -1, 0
	s_add_co_i32 s17, s41, s38
	s_wait_alu 0xfffe
	s_lshr_b32 s17, s17, s13
	s_wait_alu 0xfffe
	s_mul_i32 s21, s17, s14
	s_delay_alu instid0(SALU_CYCLE_1)
	s_cmp_eq_u32 s21, s38
	s_cselect_b32 s21, -1, 0
	s_cmp_lt_u32 s17, s12
	s_cselect_b32 s17, -1, 0
	s_wait_alu 0xfffe
	s_or_b32 s17, s17, s21
	s_mov_b32 s21, -1
	s_wait_alu 0xfffe
	s_and_b32 vcc_lo, exec_lo, s17
	s_mov_b32 s17, s34
	s_wait_alu 0xfffe
	s_cbranch_vccnz .LBB64_18
; %bb.17:                               ;   in Loop: Header=BB64_9 Depth=1
	s_add_co_i32 s17, s34, -1
	s_mov_b32 s21, 0
	s_mov_b32 s27, s38
.LBB64_18:                              ;   in Loop: Header=BB64_9 Depth=1
	v_mad_co_u64_u32 v[6:7], null, 0x300, s34, v[3:4]
	s_mul_f32 s36, s35, 0x3fb8aa3b
	s_mul_f32 s38, s33, 0x3fb8aa3b
	s_wait_alu 0xfffe
	s_delay_alu instid0(SALU_CYCLE_1)
	s_xor_b32 s39, s36, 0x80000000
	s_rndne_f32 s40, s36
	v_ashrrev_i32_e32 v7, 31, v6
	s_fmamk_f32 s39, s35, 0x3fb8aa3b, s39
	s_xor_b32 s41, s38, 0x80000000
	s_sub_f32 s36, s36, s40
	s_rndne_f32 s42, s38
	v_lshlrev_b64_e32 v[6:7], 2, v[6:7]
	s_fmamk_f32 s35, s35, 0x32a5705f, s39
	s_fmamk_f32 s39, s33, 0x3fb8aa3b, s41
	s_sub_f32 s38, s38, s42
	s_wait_alu 0xfffe
	s_add_f32 s35, s36, s35
	v_add_co_u32 v6, vcc_lo, s24, v6
	s_wait_alu 0xfffd
	v_add_co_ci_u32_e64 v7, null, s25, v7, vcc_lo
	s_fmamk_f32 s33, s33, 0x32a5705f, s39
	s_wait_alu 0xfffe
	v_s_exp_f32 s35, s35
	s_cvt_i32_f32 s36, s40
	global_load_b32 v6, v[6:7], off
	s_add_f32 s33, s38, s33
	s_wait_alu 0xfffe
	s_delay_alu instid0(SALU_CYCLE_2) | instskip(SKIP_2) | instid1(VALU_DEP_1)
	v_s_exp_f32 s33, s33
	v_ldexp_f32 v7, s35, s36
	s_cvt_i32_f32 s35, s42
	v_cndmask_b32_e64 v7, 0, v7, s3
	s_wait_alu 0xf1fe
	s_delay_alu instid0(TRANS32_DEP_1) | instid1(SALU_CYCLE_1)
	v_ldexp_f32 v8, s33, s35
	s_delay_alu instid0(VALU_DEP_2) | instskip(NEXT) | instid1(VALU_DEP_2)
	v_cndmask_b32_e64 v7, 0x7f800000, v7, s4
	v_cndmask_b32_e64 v8, 0, v8, s0
	s_delay_alu instid0(VALU_DEP_2) | instskip(NEXT) | instid1(VALU_DEP_2)
	v_cndmask_b32_e64 v7, 0, v7, s5
	v_cndmask_b32_e64 v8, 0x7f800000, v8, s1
	s_delay_alu instid0(VALU_DEP_1) | instskip(SKIP_1) | instid1(VALU_DEP_3)
	v_cndmask_b32_e64 v8, 0, v8, s2
	s_wait_loadcnt 0x0
	v_mul_f32_e32 v6, v6, v7
	v_mul_f32_e32 v7, s37, v7
	s_delay_alu instid0(VALU_DEP_1) | instskip(NEXT) | instid1(VALU_DEP_3)
	v_fmac_f32_e32 v7, v4, v8
	v_fmac_f32_e32 v6, v5, v8
	s_cbranch_execnz .LBB64_15
.LBB64_19:                              ;   in Loop: Header=BB64_9 Depth=1
	s_wait_loadcnt 0x0
	v_dual_mov_b32 v7, v4 :: v_dual_mov_b32 v6, v5
	s_add_co_i32 s17, s34, -1
	s_mov_b32 s27, s20
	s_mov_b32 s9, s26
	s_cbranch_execz .LBB64_23
.LBB64_20:                              ;   in Loop: Header=BB64_9 Depth=1
	s_wait_loadcnt 0x0
	v_dual_mov_b32 v4, v7 :: v_dual_mov_b32 v5, v6
	s_wait_alu 0xfffe
	s_mov_b32 s20, s27
	s_mov_b32 s34, s17
	;; [unrolled: 1-line block ×3, first 2 shown]
	s_branch .LBB64_9
.LBB64_21:
                                        ; implicit-def: $sgpr20_sgpr21
	s_branch .LBB64_2
.LBB64_22:
                                        ; implicit-def: $sgpr10_sgpr11
	s_load_b96 s[12:14], s[0:1], 0x44
	s_branch .LBB64_5
.LBB64_23:
	v_div_scale_f32 v0, null, v7, v7, v6
	s_delay_alu instid0(VALU_DEP_1) | instskip(NEXT) | instid1(TRANS32_DEP_1)
	v_rcp_f32_e32 v3, v0
	v_fma_f32 v4, -v0, v3, 1.0
	s_delay_alu instid0(VALU_DEP_1) | instskip(SKIP_2) | instid1(VALU_DEP_1)
	v_fmac_f32_e32 v3, v4, v3
	v_div_scale_f32 v4, vcc_lo, v6, v7, v6
	s_wait_loadcnt 0x0
	v_mul_f32_e32 v5, v4, v3
	s_delay_alu instid0(VALU_DEP_1) | instskip(NEXT) | instid1(VALU_DEP_1)
	v_fma_f32 v8, -v0, v5, v4
	v_fmac_f32_e32 v5, v8, v3
	s_delay_alu instid0(VALU_DEP_1) | instskip(SKIP_1) | instid1(VALU_DEP_1)
	v_fma_f32 v0, -v0, v5, v4
	s_wait_alu 0xfffd
	v_div_fmas_f32 v0, v0, v3, v5
	s_delay_alu instid0(VALU_DEP_1)
	v_div_fixup_f32 v0, v0, v7, v6
	global_store_b32 v[1:2], v0, off
.LBB64_24:
	s_endpgm
	.section	.rodata,"a",@progbits
	.p2align	6, 0x0
	.amdhsa_kernel _ZL33flash_attn_stream_k_fixup_generalILi96ELi8ELi1EEvPfPK15HIP_vector_typeIfLj2EEiiiiS1_IjLj3EES5_S5_S5_
		.amdhsa_group_segment_fixed_size 0
		.amdhsa_private_segment_fixed_size 0
		.amdhsa_kernarg_size 336
		.amdhsa_user_sgpr_count 2
		.amdhsa_user_sgpr_dispatch_ptr 0
		.amdhsa_user_sgpr_queue_ptr 0
		.amdhsa_user_sgpr_kernarg_segment_ptr 1
		.amdhsa_user_sgpr_dispatch_id 0
		.amdhsa_user_sgpr_private_segment_size 0
		.amdhsa_wavefront_size32 1
		.amdhsa_uses_dynamic_stack 0
		.amdhsa_enable_private_segment 0
		.amdhsa_system_sgpr_workgroup_id_x 1
		.amdhsa_system_sgpr_workgroup_id_y 1
		.amdhsa_system_sgpr_workgroup_id_z 1
		.amdhsa_system_sgpr_workgroup_info 0
		.amdhsa_system_vgpr_workitem_id 0
		.amdhsa_next_free_vgpr 9
		.amdhsa_next_free_sgpr 44
		.amdhsa_reserve_vcc 1
		.amdhsa_float_round_mode_32 0
		.amdhsa_float_round_mode_16_64 0
		.amdhsa_float_denorm_mode_32 3
		.amdhsa_float_denorm_mode_16_64 3
		.amdhsa_fp16_overflow 0
		.amdhsa_workgroup_processor_mode 1
		.amdhsa_memory_ordered 1
		.amdhsa_forward_progress 1
		.amdhsa_inst_pref_size 28
		.amdhsa_round_robin_scheduling 0
		.amdhsa_exception_fp_ieee_invalid_op 0
		.amdhsa_exception_fp_denorm_src 0
		.amdhsa_exception_fp_ieee_div_zero 0
		.amdhsa_exception_fp_ieee_overflow 0
		.amdhsa_exception_fp_ieee_underflow 0
		.amdhsa_exception_fp_ieee_inexact 0
		.amdhsa_exception_int_div_zero 0
	.end_amdhsa_kernel
	.section	.text._ZL33flash_attn_stream_k_fixup_generalILi96ELi8ELi1EEvPfPK15HIP_vector_typeIfLj2EEiiiiS1_IjLj3EES5_S5_S5_,"axG",@progbits,_ZL33flash_attn_stream_k_fixup_generalILi96ELi8ELi1EEvPfPK15HIP_vector_typeIfLj2EEiiiiS1_IjLj3EES5_S5_S5_,comdat
.Lfunc_end64:
	.size	_ZL33flash_attn_stream_k_fixup_generalILi96ELi8ELi1EEvPfPK15HIP_vector_typeIfLj2EEiiiiS1_IjLj3EES5_S5_S5_, .Lfunc_end64-_ZL33flash_attn_stream_k_fixup_generalILi96ELi8ELi1EEvPfPK15HIP_vector_typeIfLj2EEiiiiS1_IjLj3EES5_S5_S5_
                                        ; -- End function
	.set _ZL33flash_attn_stream_k_fixup_generalILi96ELi8ELi1EEvPfPK15HIP_vector_typeIfLj2EEiiiiS1_IjLj3EES5_S5_S5_.num_vgpr, 9
	.set _ZL33flash_attn_stream_k_fixup_generalILi96ELi8ELi1EEvPfPK15HIP_vector_typeIfLj2EEiiiiS1_IjLj3EES5_S5_S5_.num_agpr, 0
	.set _ZL33flash_attn_stream_k_fixup_generalILi96ELi8ELi1EEvPfPK15HIP_vector_typeIfLj2EEiiiiS1_IjLj3EES5_S5_S5_.numbered_sgpr, 44
	.set _ZL33flash_attn_stream_k_fixup_generalILi96ELi8ELi1EEvPfPK15HIP_vector_typeIfLj2EEiiiiS1_IjLj3EES5_S5_S5_.num_named_barrier, 0
	.set _ZL33flash_attn_stream_k_fixup_generalILi96ELi8ELi1EEvPfPK15HIP_vector_typeIfLj2EEiiiiS1_IjLj3EES5_S5_S5_.private_seg_size, 0
	.set _ZL33flash_attn_stream_k_fixup_generalILi96ELi8ELi1EEvPfPK15HIP_vector_typeIfLj2EEiiiiS1_IjLj3EES5_S5_S5_.uses_vcc, 1
	.set _ZL33flash_attn_stream_k_fixup_generalILi96ELi8ELi1EEvPfPK15HIP_vector_typeIfLj2EEiiiiS1_IjLj3EES5_S5_S5_.uses_flat_scratch, 0
	.set _ZL33flash_attn_stream_k_fixup_generalILi96ELi8ELi1EEvPfPK15HIP_vector_typeIfLj2EEiiiiS1_IjLj3EES5_S5_S5_.has_dyn_sized_stack, 0
	.set _ZL33flash_attn_stream_k_fixup_generalILi96ELi8ELi1EEvPfPK15HIP_vector_typeIfLj2EEiiiiS1_IjLj3EES5_S5_S5_.has_recursion, 0
	.set _ZL33flash_attn_stream_k_fixup_generalILi96ELi8ELi1EEvPfPK15HIP_vector_typeIfLj2EEiiiiS1_IjLj3EES5_S5_S5_.has_indirect_call, 0
	.section	.AMDGPU.csdata,"",@progbits
; Kernel info:
; codeLenInByte = 3552
; TotalNumSgprs: 46
; NumVgprs: 9
; ScratchSize: 0
; MemoryBound: 0
; FloatMode: 240
; IeeeMode: 1
; LDSByteSize: 0 bytes/workgroup (compile time only)
; SGPRBlocks: 0
; VGPRBlocks: 1
; NumSGPRsForWavesPerEU: 46
; NumVGPRsForWavesPerEU: 9
; Occupancy: 16
; WaveLimiterHint : 0
; COMPUTE_PGM_RSRC2:SCRATCH_EN: 0
; COMPUTE_PGM_RSRC2:USER_SGPR: 2
; COMPUTE_PGM_RSRC2:TRAP_HANDLER: 0
; COMPUTE_PGM_RSRC2:TGID_X_EN: 1
; COMPUTE_PGM_RSRC2:TGID_Y_EN: 1
; COMPUTE_PGM_RSRC2:TGID_Z_EN: 1
; COMPUTE_PGM_RSRC2:TIDIG_COMP_CNT: 0
	.section	.text._ZL15flash_attn_tileILi96ELi96ELi4ELi1ELb0EEvPKcS1_S1_S1_S1_PKiPfP15HIP_vector_typeIfLj2EEffffjfiS5_IjLj3EEiiiiiiiiiiiliiliiiiil,"axG",@progbits,_ZL15flash_attn_tileILi96ELi96ELi4ELi1ELb0EEvPKcS1_S1_S1_S1_PKiPfP15HIP_vector_typeIfLj2EEffffjfiS5_IjLj3EEiiiiiiiiiiiliiliiiiil,comdat
	.globl	_ZL15flash_attn_tileILi96ELi96ELi4ELi1ELb0EEvPKcS1_S1_S1_S1_PKiPfP15HIP_vector_typeIfLj2EEffffjfiS5_IjLj3EEiiiiiiiiiiiliiliiiiil ; -- Begin function _ZL15flash_attn_tileILi96ELi96ELi4ELi1ELb0EEvPKcS1_S1_S1_S1_PKiPfP15HIP_vector_typeIfLj2EEffffjfiS5_IjLj3EEiiiiiiiiiiiliiliiiiil
	.p2align	8
	.type	_ZL15flash_attn_tileILi96ELi96ELi4ELi1ELb0EEvPKcS1_S1_S1_S1_PKiPfP15HIP_vector_typeIfLj2EEffffjfiS5_IjLj3EEiiiiiiiiiiiliiliiiiil,@function
_ZL15flash_attn_tileILi96ELi96ELi4ELi1ELb0EEvPKcS1_S1_S1_S1_PKiPfP15HIP_vector_typeIfLj2EEffffjfiS5_IjLj3EEiiiiiiiiiiiliiliiiiil: ; @_ZL15flash_attn_tileILi96ELi96ELi4ELi1ELb0EEvPKcS1_S1_S1_S1_PKiPfP15HIP_vector_typeIfLj2EEffffjfiS5_IjLj3EEiiiiiiiiiiiliiliiiiil
; %bb.0:
	s_clause 0x1
	s_load_b128 s[20:23], s[0:1], 0x5c
	s_load_b64 s[36:37], s[0:1], 0x80
	s_lshr_b32 s4, ttmp7, 16
	s_mov_b32 s39, 0
	s_mov_b64 s[34:35], 0
	s_wait_kmcnt 0x0
	s_cvt_f32_u32 s2, s23
	s_sub_co_i32 s3, 0, s23
	s_delay_alu instid0(SALU_CYCLE_2) | instskip(NEXT) | instid1(TRANS32_DEP_1)
	v_rcp_iflag_f32_e32 v1, s2
	v_readfirstlane_b32 s2, v1
	s_mul_f32 s2, s2, 0x4f7ffffe
	s_wait_alu 0xfffe
	s_delay_alu instid0(SALU_CYCLE_2) | instskip(SKIP_1) | instid1(SALU_CYCLE_2)
	s_cvt_u32_f32 s2, s2
	s_wait_alu 0xfffe
	s_mul_i32 s3, s3, s2
	s_wait_alu 0xfffe
	s_mul_hi_u32 s3, s2, s3
	s_wait_alu 0xfffe
	s_add_co_i32 s2, s2, s3
	s_wait_alu 0xfffe
	s_mul_hi_u32 s2, s4, s2
	s_wait_alu 0xfffe
	s_mul_i32 s3, s2, s23
	s_add_co_i32 s5, s2, 1
	s_wait_alu 0xfffe
	s_sub_co_i32 s3, s4, s3
	s_wait_alu 0xfffe
	s_sub_co_i32 s6, s3, s23
	s_cmp_ge_u32 s3, s23
	s_cselect_b32 s2, s5, s2
	s_cselect_b32 s3, s6, s3
	s_wait_alu 0xfffe
	s_add_co_i32 s5, s2, 1
	s_cmp_ge_u32 s3, s23
	s_cselect_b32 s28, s5, s2
	s_abs_i32 s2, s37
	s_abs_i32 s7, s23
	s_wait_alu 0xfffe
	s_cvt_f32_u32 s3, s2
	s_sub_co_i32 s5, 0, s2
	s_xor_b32 s6, s23, s37
	s_wait_alu 0xfffe
	v_rcp_iflag_f32_e32 v1, s3
	s_ashr_i32 s6, s6, 31
	s_delay_alu instid0(TRANS32_DEP_1) | instskip(SKIP_2) | instid1(SALU_CYCLE_2)
	v_readfirstlane_b32 s3, v1
	s_mul_f32 s3, s3, 0x4f7ffffe
	s_wait_alu 0xfffe
	s_cvt_u32_f32 s3, s3
	s_wait_alu 0xfffe
	s_delay_alu instid0(SALU_CYCLE_2) | instskip(NEXT) | instid1(SALU_CYCLE_1)
	s_mul_i32 s5, s5, s3
	s_mul_hi_u32 s5, s3, s5
	s_delay_alu instid0(SALU_CYCLE_1)
	s_add_co_i32 s3, s3, s5
	s_mul_i32 s5, s28, s23
	s_wait_alu 0xfffe
	s_mul_hi_u32 s3, s7, s3
	s_sub_co_i32 s30, s4, s5
	s_wait_alu 0xfffe
	s_mul_i32 s8, s3, s2
	s_add_co_i32 s5, s3, 1
	s_sub_co_i32 s4, s7, s8
	s_delay_alu instid0(SALU_CYCLE_1)
	s_sub_co_i32 s7, s4, s2
	s_cmp_ge_u32 s4, s2
	s_cselect_b32 s3, s5, s3
	s_cselect_b32 s4, s7, s4
	s_wait_alu 0xfffe
	s_add_co_i32 s5, s3, 1
	s_cmp_ge_u32 s4, s2
	s_cselect_b32 s2, s5, s3
	s_wait_alu 0xfffe
	s_xor_b32 s2, s2, s6
	s_wait_alu 0xfffe
	s_sub_co_i32 s29, s2, s6
	s_delay_alu instid0(SALU_CYCLE_1) | instskip(NEXT) | instid1(SALU_CYCLE_1)
	s_abs_i32 s37, s29
	s_cvt_f32_u32 s2, s37
	s_wait_alu 0xfffe
	s_delay_alu instid0(SALU_CYCLE_2) | instskip(SKIP_3) | instid1(TRANS32_DEP_1)
	v_rcp_iflag_f32_e32 v1, s2
	s_clause 0x1
	s_load_b512 s[4:19], s[0:1], 0x0
	s_load_b64 s[2:3], s[0:1], 0xb8
	v_readfirstlane_b32 s24, v1
	s_mul_f32 s24, s24, 0x4f7ffffe
	s_delay_alu instid0(SALU_CYCLE_3) | instskip(SKIP_4) | instid1(SALU_CYCLE_1)
	s_cvt_u32_f32 s31, s24
	s_sub_co_i32 s24, 0, s37
	s_wait_kmcnt 0x0
	s_cmp_eq_u64 s[10:11], 0
	s_mul_i32 s24, s24, s31
	s_mul_hi_u32 s33, s31, s24
	s_cbranch_scc1 .LBB65_2
; %bb.1:
	s_abs_i32 s2, s2
	s_wait_alu 0xfffe
	s_cvt_f32_u32 s24, s2
	s_delay_alu instid0(SALU_CYCLE_3) | instskip(NEXT) | instid1(TRANS32_DEP_1)
	v_rcp_iflag_f32_e32 v1, s24
	v_readfirstlane_b32 s24, v1
	s_mul_f32 s24, s24, 0x4f7ffffe
	s_wait_alu 0xfffe
	s_delay_alu instid0(SALU_CYCLE_2) | instskip(SKIP_2) | instid1(SALU_CYCLE_1)
	s_cvt_u32_f32 s26, s24
	s_sub_co_i32 s24, 0, s2
	s_wait_alu 0xfffe
	s_mul_i32 s24, s24, s26
	s_wait_alu 0xfffe
	s_mul_hi_u32 s27, s26, s24
	s_load_b64 s[24:25], s[0:1], 0xc8
	s_add_co_i32 s26, s26, s27
	s_delay_alu instid0(SALU_CYCLE_1) | instskip(NEXT) | instid1(SALU_CYCLE_1)
	s_mul_hi_u32 s26, s28, s26
	s_mul_i32 s26, s26, s2
	s_delay_alu instid0(SALU_CYCLE_1) | instskip(NEXT) | instid1(SALU_CYCLE_1)
	s_sub_co_i32 s26, s28, s26
	s_sub_co_i32 s27, s26, s2
	s_cmp_ge_u32 s26, s2
	s_cselect_b32 s26, s27, s26
	s_delay_alu instid0(SALU_CYCLE_1) | instskip(SKIP_2) | instid1(SALU_CYCLE_1)
	s_sub_co_i32 s27, s26, s2
	s_cmp_ge_u32 s26, s2
	s_cselect_b32 s26, s27, s26
	s_ashr_i32 s27, s26, 31
	s_wait_kmcnt 0x0
	s_mul_u64 s[24:25], s[24:25], s[26:27]
	s_wait_alu 0xfffe
	s_add_nc_u64 s[34:35], s[10:11], s[24:25]
.LBB65_2:
	s_clause 0x1
	s_load_b128 s[24:27], s[0:1], 0x40
	s_load_b32 s2, s[0:1], 0x50
	s_abs_i32 s38, s30
	s_add_co_i32 s10, s31, s33
	v_mov_b32_e32 v59, 1.0
	s_wait_kmcnt 0x0
	s_cmp_le_f32 s25, 0
	s_cbranch_scc1 .LBB65_4
; %bb.3:
	v_sub_co_u32 v1, s2, s30, s2
	s_and_b32 s25, s2, exec_lo
	s_cselect_b32 s25, s26, s27
	s_add_co_i32 s26, s30, 1
	v_readfirstlane_b32 s11, v1
	s_lshl_b32 s11, s11, 1
	s_delay_alu instid0(SALU_CYCLE_1)
	s_or_b32 s11, s11, 1
	s_and_b32 s2, s2, exec_lo
	s_cselect_b32 s2, s26, s11
	s_wait_alu 0xfffe
	s_cmp_neq_f32 s25, 1.0
	s_cvt_f32_i32 s2, s2
	s_wait_alu 0xfffe
	s_delay_alu instid0(SALU_CYCLE_2) | instskip(NEXT) | instid1(SALU_CYCLE_1)
	s_cselect_b32 s11, s2, 1.0
	s_cmp_neq_f32 s11, 0
	s_cselect_b32 s2, s25, 1.0
	s_wait_alu 0xfffe
	v_frexp_mant_f32_e64 v1, |s2|
	s_delay_alu instid0(VALU_DEP_1) | instskip(SKIP_3) | instid1(SALU_CYCLE_1)
	v_readfirstlane_b32 s25, v1
	v_cvt_f64_f32_e64 v[1:2], |s2|
	s_cmp_lt_f32 s25, 0x3f2aaaab
	s_cselect_b32 s26, -1, 0
	s_and_b32 s27, s26, exec_lo
	s_cselect_b32 s27, 2.0, 1.0
	s_delay_alu instid0(SALU_CYCLE_1) | instskip(SKIP_1) | instid1(SALU_CYCLE_2)
	s_mul_f32 s25, s25, s27
	s_wait_alu 0xfffe
	s_add_f32 s27, s25, 1.0
	s_add_f32 s33, s25, -1.0
	s_delay_alu instid0(SALU_CYCLE_2) | instskip(SKIP_1) | instid1(SALU_CYCLE_3)
	v_s_rcp_f32 s31, s27
	s_add_f32 s42, s27, -1.0
	s_sub_f32 s25, s25, s42
	s_delay_alu instid0(TRANS32_DEP_1) | instskip(NEXT) | instid1(SALU_CYCLE_3)
	s_mul_f32 s40, s33, s31
	s_mul_f32 s41, s27, s40
	s_delay_alu instid0(SALU_CYCLE_3) | instskip(NEXT) | instid1(VALU_DEP_1)
	s_xor_b32 s43, s41, 0x80000000
	v_frexp_exp_i32_f64_e32 v1, v[1:2]
	s_fmac_f32 s43, s40, s27
	s_wait_alu 0xfffe
	s_delay_alu instid0(SALU_CYCLE_2) | instskip(NEXT) | instid1(SALU_CYCLE_3)
	s_fmac_f32 s43, s40, s25
	s_add_f32 s25, s41, s43
	s_wait_alu 0xfffe
	s_delay_alu instid0(SALU_CYCLE_2) | instskip(SKIP_2) | instid1(SALU_CYCLE_1)
	s_sub_f32 s27, s33, s25
	s_sub_f32 s41, s25, s41
	s_wait_alu 0xfffe
	s_sub_f32 s33, s33, s27
	s_delay_alu instid0(SALU_CYCLE_1) | instskip(NEXT) | instid1(SALU_CYCLE_2)
	s_sub_f32 s41, s41, s43
	s_sub_f32 s25, s33, s25
	s_wait_alu 0xfffe
	s_delay_alu instid0(SALU_CYCLE_2) | instskip(SKIP_2) | instid1(SALU_CYCLE_1)
	s_add_f32 s25, s41, s25
	s_mov_b32 s41, 0x3e76c4e1
	s_wait_alu 0xfffe
	s_add_f32 s25, s27, s25
	s_wait_alu 0xfffe
	s_delay_alu instid0(SALU_CYCLE_2) | instskip(SKIP_1) | instid1(SALU_CYCLE_2)
	s_mul_f32 s25, s31, s25
	s_wait_alu 0xfffe
	s_add_f32 s27, s40, s25
	s_wait_alu 0xfffe
	s_delay_alu instid0(SALU_CYCLE_2) | instskip(SKIP_2) | instid1(SALU_CYCLE_1)
	s_sub_f32 s31, s27, s40
	s_mul_f32 s33, s27, s27
	s_wait_alu 0xfffe
	s_sub_f32 s25, s25, s31
	s_delay_alu instid0(SALU_CYCLE_1) | instskip(SKIP_4) | instid1(SALU_CYCLE_2)
	s_xor_b32 s31, s33, 0x80000000
	s_wait_alu 0xfffe
	s_fmac_f32 s31, s27, s27
	s_add_f32 s40, s25, s25
	s_wait_alu 0xfffe
	s_fmac_f32 s31, s27, s40
	s_wait_alu 0xfffe
	s_delay_alu instid0(SALU_CYCLE_2) | instskip(NEXT) | instid1(SALU_CYCLE_3)
	s_add_f32 s40, s33, s31
	s_fmaak_f32 s41, s40, s41, 0x3e91f4c4
	s_sub_f32 s33, s40, s33
	s_delay_alu instid0(SALU_CYCLE_2) | instskip(NEXT) | instid1(SALU_CYCLE_2)
	s_fmaak_f32 s41, s40, s41, 0x3ecccdef
	s_sub_f32 s31, s31, s33
	s_mul_f32 s33, s27, s40
	s_delay_alu instid0(SALU_CYCLE_1) | instskip(NEXT) | instid1(SALU_CYCLE_2)
	s_mul_f32 s42, s40, s41
	s_xor_b32 s44, s33, 0x80000000
	s_delay_alu instid0(SALU_CYCLE_2) | instskip(SKIP_2) | instid1(SALU_CYCLE_2)
	s_xor_b32 s43, s42, 0x80000000
	s_fmac_f32 s44, s40, s27
	s_fmac_f32 s43, s40, s41
	;; [unrolled: 1-line block ×3, first 2 shown]
	s_wait_alu 0xfffe
	s_delay_alu instid0(SALU_CYCLE_1) | instskip(NEXT) | instid1(SALU_CYCLE_1)
	s_fmac_f32 s43, s31, s41
	s_fmac_f32 s44, s31, s27
	s_delay_alu instid0(SALU_CYCLE_2) | instskip(NEXT) | instid1(SALU_CYCLE_3)
	s_add_f32 s41, s42, s43
	s_sub_f32 s42, s41, s42
	s_add_f32 s45, s41, 0x3f2aaaaa
	s_delay_alu instid0(SALU_CYCLE_2) | instskip(NEXT) | instid1(SALU_CYCLE_2)
	s_sub_f32 s42, s43, s42
	s_add_f32 s43, s45, 0xbf2aaaaa
	s_delay_alu instid0(SALU_CYCLE_2) | instskip(NEXT) | instid1(SALU_CYCLE_2)
	s_add_f32 s40, s42, 0x31739010
	s_sub_f32 s41, s41, s43
	s_delay_alu instid0(SALU_CYCLE_3) | instskip(SKIP_2) | instid1(SALU_CYCLE_1)
	s_add_f32 s31, s40, s41
	s_add_f32 s40, s33, s44
	s_wait_alu 0xfffe
	s_add_f32 s41, s45, s31
	s_delay_alu instid0(SALU_CYCLE_1) | instskip(NEXT) | instid1(SALU_CYCLE_2)
	s_sub_f32 s33, s40, s33
	s_mul_f32 s42, s40, s41
	s_sub_f32 s43, s45, s41
	s_delay_alu instid0(SALU_CYCLE_1) | instskip(NEXT) | instid1(SALU_CYCLE_1)
	s_sub_f32 s33, s44, s33
	s_xor_b32 s45, s42, 0x80000000
	s_delay_alu instid0(SALU_CYCLE_1)
	s_add_f32 s31, s31, s43
	s_fmac_f32 s45, s40, s41
	v_readfirstlane_b32 s43, v1
	v_ldexp_f32 v1, s27, 1
	s_cmp_lg_u32 s26, 0
	s_wait_alu 0xfffe
	s_fmac_f32 s45, s40, s31
	s_sub_co_ci_u32 s26, s43, 0
	v_readfirstlane_b32 s27, v1
	s_delay_alu instid0(SALU_CYCLE_1)
	s_fmac_f32 s45, s33, s41
	s_wait_alu 0xfffe
	s_cvt_f32_i32 s26, s26
	v_ldexp_f32 v1, s25, 1
	s_add_f32 s31, s42, s45
	s_wait_alu 0xfffe
	s_mul_f32 s25, s26, 0x3f317218
	s_delay_alu instid0(VALU_DEP_1)
	v_readfirstlane_b32 s41, v1
	s_add_f32 s33, s27, s31
	s_sub_f32 s40, s31, s42
	s_wait_alu 0xfffe
	s_xor_b32 s42, s25, 0x80000000
	s_sub_f32 s27, s33, s27
	s_sub_f32 s40, s45, s40
	s_fmamk_f32 s42, s26, 0x3f317218, s42
	s_wait_alu 0xfffe
	s_sub_f32 s27, s31, s27
	s_add_f32 s31, s41, s40
	s_fmamk_f32 s26, s26, 0xb102e308, s42
	s_wait_alu 0xfffe
	s_delay_alu instid0(SALU_CYCLE_1) | instskip(NEXT) | instid1(SALU_CYCLE_1)
	s_add_f32 s27, s31, s27
	s_add_f32 s31, s25, s26
	s_wait_alu 0xfffe
	s_delay_alu instid0(SALU_CYCLE_1) | instskip(NEXT) | instid1(SALU_CYCLE_1)
	s_add_f32 s40, s33, s27
	s_sub_f32 s25, s31, s25
	s_delay_alu instid0(SALU_CYCLE_2)
	s_add_f32 s41, s31, s40
	s_sub_f32 s33, s40, s33
	s_wait_alu 0xfffe
	s_sub_f32 s25, s26, s25
	s_sub_f32 s42, s41, s31
	;; [unrolled: 1-line block ×3, first 2 shown]
	s_delay_alu instid0(SALU_CYCLE_2)
	s_sub_f32 s43, s41, s42
	s_sub_f32 s27, s40, s42
	s_wait_alu 0xfffe
	s_add_f32 s33, s25, s26
	s_sub_f32 s31, s31, s43
	s_wait_alu 0xfffe
	s_delay_alu instid0(SALU_CYCLE_2) | instskip(SKIP_2) | instid1(SALU_CYCLE_1)
	s_add_f32 s27, s27, s31
	s_sub_f32 s31, s33, s25
	s_wait_alu 0xfffe
	s_add_f32 s27, s33, s27
	s_delay_alu instid0(SALU_CYCLE_1) | instskip(SKIP_4) | instid1(SALU_CYCLE_2)
	s_sub_f32 s33, s33, s31
	s_sub_f32 s26, s26, s31
	s_wait_alu 0xfffe
	s_add_f32 s40, s41, s27
	s_sub_f32 s25, s25, s33
	s_sub_f32 s31, s40, s41
	s_wait_alu 0xfffe
	s_delay_alu instid0(SALU_CYCLE_1) | instskip(NEXT) | instid1(SALU_CYCLE_1)
	s_add_f32 s25, s26, s25
	s_sub_f32 s26, s27, s31
	s_wait_alu 0xfffe
	s_delay_alu instid0(SALU_CYCLE_2) | instskip(SKIP_1) | instid1(SALU_CYCLE_2)
	s_add_f32 s25, s25, s26
	s_wait_alu 0xfffe
	s_add_f32 s26, s40, s25
	s_wait_alu 0xfffe
	s_delay_alu instid0(SALU_CYCLE_2) | instskip(SKIP_2) | instid1(SALU_CYCLE_1)
	s_mul_f32 s27, s11, s26
	s_sub_f32 s31, s26, s40
	s_wait_alu 0xfffe
	s_xor_b32 s33, s27, 0x80000000
	s_delay_alu instid0(SALU_CYCLE_1) | instskip(SKIP_2) | instid1(SALU_CYCLE_2)
	s_sub_f32 s25, s25, s31
	s_fmac_f32 s33, s11, s26
	s_wait_alu 0xfffe
	s_fmac_f32 s33, s11, s25
	v_cmp_class_f32_e64 s25, s27, 0x204
	s_delay_alu instid0(SALU_CYCLE_2) | instskip(SKIP_2) | instid1(SALU_CYCLE_1)
	s_add_f32 s26, s27, s33
	s_and_b32 s25, s25, exec_lo
	s_wait_alu 0xfffe
	s_sub_f32 s25, s26, s27
	s_cselect_b32 s26, s27, s26
	s_wait_alu 0xfffe
	s_and_b32 s27, s26, 0x7fffffff
	s_sub_f32 s25, s33, s25
	s_wait_alu 0xfffe
	s_cmp_neq_f32 s27, 0x7f800000
	s_delay_alu instid0(SALU_CYCLE_1)
	s_cselect_b32 s25, s25, 0
	s_cmp_eq_f32 s26, 0x42b17218
	s_cselect_b32 s27, 0x37000000, 0
	s_wait_alu 0xfffe
	s_sub_f32 s26, s26, s27
	s_add_f32 s25, s27, s25
	s_wait_alu 0xfffe
	s_delay_alu instid0(SALU_CYCLE_1) | instskip(SKIP_1) | instid1(SALU_CYCLE_2)
	s_mul_f32 s31, s26, 0x3fb8aa3b
	s_wait_alu 0xfffe
	s_xor_b32 s33, s31, 0x80000000
	s_rndne_f32 s40, s31
	s_fmamk_f32 s33, s26, 0x3fb8aa3b, s33
	s_cmp_nlt_f32 s26, 0xc2ce8ed0
	s_delay_alu instid0(SALU_CYCLE_1) | instskip(NEXT) | instid1(SALU_CYCLE_1)
	s_sub_f32 s31, s31, s40
	s_fmamk_f32 s33, s26, 0x32a5705f, s33
	s_cselect_b32 vcc_lo, -1, 0
	s_cmp_ngt_f32 s26, 0x42b17218
	s_trunc_f32 s26, s11
	s_wait_alu 0xfffe
	s_add_f32 s31, s31, s33
	s_cvt_i32_f32 s33, s40
	s_wait_alu 0xfffe
	s_delay_alu instid0(SALU_CYCLE_1) | instskip(SKIP_1) | instid1(TRANS32_DEP_1)
	v_s_exp_f32 s31, s31
	s_wait_alu 0xf1ff
	v_ldexp_f32 v1, s31, s33
	s_mul_f32 s31, s11, 0.5
	s_delay_alu instid0(VALU_DEP_1)
	v_cndmask_b32_e32 v1, 0, v1, vcc_lo
	s_cselect_b32 vcc_lo, -1, 0
	s_cmp_eq_f32 s26, s11
	s_wait_alu 0xfffe
	s_trunc_f32 s33, s31
	v_cndmask_b32_e32 v1, 0x7f800000, v1, vcc_lo
	s_cselect_b32 s40, -1, 0
	s_wait_alu 0xfffe
	s_cmp_neq_f32 s33, s31
	s_delay_alu instid0(VALU_DEP_1)
	v_fma_f32 v2, s25, v1, v1
	v_cmp_class_f32_e64 vcc_lo, v1, 0x204
	s_cselect_b32 s27, -1, 0
	s_wait_alu 0xfffe
	s_and_b32 s25, s40, s27
	s_wait_alu 0xfffd
	v_cndmask_b32_e32 v1, v2, v1, vcc_lo
	s_wait_alu 0xfffe
	s_and_b32 s27, s25, exec_lo
	s_cselect_b32 s27, s2, 1.0
	s_cmp_eq_f32 s26, s11
	v_cmp_class_f32_e64 s26, s2, 0x204
	s_wait_alu 0xfffe
	v_bfi_b32 v1, 0x7fffffff, v1, s27
	s_cselect_b32 vcc_lo, -1, 0
	s_cmp_lt_f32 s2, 0
	s_wait_alu 0xfffe
	s_delay_alu instid0(VALU_DEP_1) | instskip(SKIP_3) | instid1(VALU_DEP_1)
	v_cndmask_b32_e32 v2, 0x7fc00000, v1, vcc_lo
	s_cselect_b32 vcc_lo, -1, 0
	s_cmp_eq_f32 s2, 0
	s_wait_alu 0xfffe
	v_cndmask_b32_e32 v1, v1, v2, vcc_lo
	s_cselect_b32 s27, -1, 0
	s_wait_alu 0xfffe
	s_or_b32 vcc_lo, s27, s26
	s_cmp_lt_f32 s11, 0
	s_cselect_b32 s11, -1, 0
	s_delay_alu instid0(SALU_CYCLE_1) | instskip(NEXT) | instid1(SALU_CYCLE_1)
	s_xor_b32 s11, s11, s27
	s_and_b32 s11, s11, exec_lo
	s_cselect_b32 s11, 0, 0x7f800000
	s_and_b32 s25, s25, exec_lo
	s_cselect_b32 s25, s2, 0
	s_cmp_o_f32 s2, s2
	s_wait_alu 0xfffe
	v_mov_b32_e32 v2, s25
	s_delay_alu instid0(VALU_DEP_1) | instskip(NEXT) | instid1(VALU_DEP_1)
	v_bfi_b32 v2, 0x7fffffff, s11, v2
	v_cndmask_b32_e32 v1, v1, v2, vcc_lo
	s_cselect_b32 vcc_lo, -1, 0
	s_wait_alu 0xfffe
	s_delay_alu instid0(VALU_DEP_1)
	v_cndmask_b32_e32 v59, 0x7fc00000, v1, vcc_lo
.LBB65_4:
	v_and_b32_e32 v40, 0x3ff, v0
	v_bfe_u32 v55, v0, 10, 10
	s_lshl_b32 s11, ttmp9, 2
	s_movk_i32 s25, 0xc0
	s_delay_alu instid0(VALU_DEP_2)
	v_cmp_gt_u32_e64 s2, 24, v40
	s_wait_alu 0xfffe
	v_mad_u32_u24 v61, v55, s25, 0xe80
	v_lshlrev_b32_e32 v51, 3, v40
	v_add_nc_u32_e32 v41, s11, v55
	s_mov_b32 s11, s39
	s_and_saveexec_b32 s25, s2
	s_cbranch_execz .LBB65_6
; %bb.5:
	s_delay_alu instid0(VALU_DEP_1) | instskip(SKIP_2) | instid1(VALU_DEP_2)
	v_mul_hi_u32 v0, s20, v41
	s_load_b96 s[40:42], s[0:1], 0x70
	v_add_nc_u32_e32 v4, v61, v51
	v_add_nc_u32_e32 v0, v41, v0
	s_delay_alu instid0(VALU_DEP_1) | instskip(NEXT) | instid1(VALU_DEP_1)
	v_lshrrev_b32_e32 v0, s21, v0
	v_mul_lo_u32 v0, v0, s22
	s_wait_kmcnt 0x0
	s_mul_i32 s26, s30, s41
	s_ashr_i32 s41, s40, 31
	s_delay_alu instid0(SALU_CYCLE_1) | instskip(SKIP_1) | instid1(VALU_DEP_1)
	s_lshr_b64 s[44:45], s[40:41], 2
	s_lshr_b32 s27, s41, 2
	v_sub_nc_u32_e32 v2, v41, v0
	s_mul_i32 s40, s28, s42
	s_delay_alu instid0(SALU_CYCLE_1) | instskip(NEXT) | instid1(SALU_CYCLE_1)
	s_ashr_i32 s41, s40, 31
	s_add_nc_u64 s[4:5], s[4:5], s[40:41]
	s_delay_alu instid0(VALU_DEP_1) | instskip(SKIP_1) | instid1(VALU_DEP_1)
	v_mad_co_u64_u32 v[0:1], null, s44, v2, 0
	s_wait_alu 0xfffe
	v_mad_co_u64_u32 v[1:2], null, s27, v2, v[1:2]
	s_ashr_i32 s27, s26, 31
	v_lshlrev_b32_e32 v2, 4, v40
	s_wait_alu 0xfffe
	s_add_nc_u64 s[4:5], s[4:5], s[26:27]
	v_lshlrev_b64_e32 v[0:1], 2, v[0:1]
	s_delay_alu instid0(VALU_DEP_1) | instskip(SKIP_1) | instid1(VALU_DEP_2)
	v_add_co_u32 v0, vcc_lo, s4, v0
	s_wait_alu 0xfffd
	v_add_co_ci_u32_e64 v1, null, s5, v1, vcc_lo
	s_delay_alu instid0(VALU_DEP_2) | instskip(SKIP_1) | instid1(VALU_DEP_2)
	v_add_co_u32 v0, vcc_lo, v0, v2
	s_wait_alu 0xfffd
	v_add_co_ci_u32_e64 v1, null, 0, v1, vcc_lo
	global_load_b128 v[0:3], v[0:1], off
	s_wait_loadcnt 0x0
	v_fma_mixlo_f16 v1, s24, v1, 0
	v_fma_mixlo_f16 v0, s24, v0, 0
	;; [unrolled: 1-line block ×4, first 2 shown]
	s_delay_alu instid0(VALU_DEP_4) | instskip(NEXT) | instid1(VALU_DEP_4)
	v_lshlrev_b32_e32 v1, 16, v1
	v_and_b32_e32 v0, 0xffff, v0
	s_delay_alu instid0(VALU_DEP_4) | instskip(NEXT) | instid1(VALU_DEP_4)
	v_and_b32_e32 v2, 0xffff, v2
	v_lshlrev_b32_e32 v3, 16, v3
	s_delay_alu instid0(VALU_DEP_3) | instskip(NEXT) | instid1(VALU_DEP_2)
	v_or_b32_e32 v0, v1, v0
	v_or3_b32 v1, v3, v2, 0
	s_delay_alu instid0(VALU_DEP_2)
	v_or3_b32 v0, 0, 0, v0
	ds_store_b64 v4, v[0:1]
.LBB65_6:
	s_wait_alu 0xfffe
	s_or_b32 exec_lo, exec_lo, s25
	s_ashr_i32 s31, s30, 31
	s_ashr_i32 s40, s29, 31
	s_mul_u64 s[4:5], s[38:39], s[10:11]
	s_cmp_eq_u64 s[14:15], 0
	s_wait_dscnt 0x0
	s_barrier_signal -1
	s_barrier_wait -1
	global_inv scope:SCOPE_SE
	s_cbranch_scc1 .LBB65_8
; %bb.7:
	s_load_b32 s4, s[0:1], 0xd0
	s_mov_b32 s11, 0
	s_wait_kmcnt 0x0
	s_mul_i32 s4, s4, s28
	s_wait_alu 0xfffe
	s_add_co_i32 s10, s4, ttmp9
	s_wait_alu 0xfffe
	s_lshl_b64 s[10:11], s[10:11], 2
	s_wait_alu 0xfffe
	s_add_nc_u64 s[10:11], s[14:15], s[10:11]
	s_load_b32 s36, s[10:11], 0x0
.LBB65_8:
	s_clause 0x2
	s_load_b64 s[10:11], s[0:1], 0x8c
	s_load_b128 s[24:27], s[0:1], 0x98
	s_load_b64 s[42:43], s[0:1], 0xa8
	s_mul_i32 s4, s5, s37
	s_ashr_i32 s33, s3, 1
	s_wait_alu 0xfffe
	s_sub_co_i32 s4, s38, s4
	s_xor_b32 s3, s31, s40
	s_add_co_i32 s15, s5, 1
	s_wait_alu 0xfffe
	s_sub_co_i32 s39, s4, s37
	s_mov_b32 s29, 0
	v_lshrrev_b32_e32 v65, 1, v40
	v_lshlrev_b32_e32 v57, 2, v40
	v_lshrrev_b32_e32 v64, 2, v40
	v_mul_u32_u24_e32 v62, 0x70, v40
	v_lshl_add_u32 v53, v55, 6, 0x1180
	v_lshrrev_b32_e32 v58, 3, v40
	v_mbcnt_lo_u32_b32 v52, -1, 0
	s_wait_kmcnt 0x0
	s_ashr_i32 s38, s10, 2
	s_ashr_i32 s14, s26, 2
	s_cmp_ge_u32 s4, s37
	s_mul_u64 s[40:41], s[42:43], s[28:29]
	s_cselect_b32 s10, s15, s5
	s_cselect_b32 s4, s39, s4
	s_wait_alu 0xfffe
	s_add_co_i32 s15, s10, 1
	s_cmp_ge_u32 s4, s37
	s_add_nc_u64 s[4:5], s[8:9], s[40:41]
	s_cselect_b32 s9, s15, s10
	s_mul_u64 s[24:25], s[24:25], s[28:29]
	s_xor_b32 s10, s9, s3
	s_and_b32 s8, ttmp7, 0xffff
	s_wait_alu 0xfffe
	s_sub_co_i32 s3, s10, s3
	s_add_nc_u64 s[6:7], s[6:7], s[24:25]
	s_wait_alu 0xfffe
	s_mul_i32 s10, s3, s11
	s_mul_i32 s40, s3, s27
	s_sub_co_i32 s9, s36, 32
	s_lshl_b32 s24, s8, 5
	s_wait_alu 0xfffe
	s_ashr_i32 s11, s10, 31
	s_ashr_i32 s41, s40, 31
	s_wait_alu 0xfffe
	s_add_nc_u64 s[26:27], s[6:7], s[10:11]
	s_cmp_ge_i32 s24, s9
	s_add_nc_u64 s[10:11], s[4:5], s[40:41]
	s_cbranch_scc1 .LBB65_23
; %bb.9:
	v_mul_hi_u32 v0, s20, v41
	v_lshl_add_u32 v1, v55, 4, v65
	v_dual_mov_b32 v54, 0 :: v_dual_and_b32 v9, 4, v57
	v_lshl_add_u32 v5, v55, 3, v64
	v_lshl_add_u32 v10, v55, 2, v58
	v_dual_mov_b32 v75, 0 :: v_dual_and_b32 v8, 12, v57
	v_add_nc_u32_e32 v0, v41, v0
	v_mul_u32_u24_e32 v7, 0x70, v1
	v_lshlrev_b32_e32 v12, 2, v9
	v_mul_lo_u32 v4, s14, v10
	v_mul_lo_u32 v6, s14, v5
	v_lshrrev_b32_e32 v2, s21, v0
	v_mul_lo_u32 v0, s38, v5
	v_cmp_gt_u32_e64 s3, 32, v1
	v_dual_mov_b32 v56, 0 :: v_dual_lshlrev_b32 v3, 2, v8
	s_delay_alu instid0(VALU_DEP_4)
	v_mul_lo_u32 v13, v2, s22
	v_mul_lo_u32 v2, s38, v1
	v_mul_u32_u24_e32 v1, 0xc0, v5
	v_add3_u32 v68, v7, v12, 64
	v_dual_mov_b32 v76, 0xfeffffff :: v_dual_and_b32 v11, 28, v57
	v_mad_u32_u24 v67, 0x70, v5, v3
	s_delay_alu instid0(VALU_DEP_4)
	v_or_b32_e32 v12, v1, v3
	v_sub_nc_u32_e32 v7, v41, v13
	v_ashrrev_i32_e32 v1, 31, v0
	v_ashrrev_i32_e32 v3, 31, v2
	v_cmp_gt_u32_e64 s4, 16, v5
	v_ashrrev_i32_e32 v5, 31, v4
	v_mad_co_u64_u32 v[42:43], null, v7, s33, v[40:41]
	v_ashrrev_i32_e32 v7, 31, v6
	v_lshlrev_b32_e32 v14, 2, v11
	v_lshlrev_b64_e32 v[43:44], 2, v[2:3]
	v_lshlrev_b64_e32 v[45:46], 2, v[0:1]
	;; [unrolled: 1-line block ×4, first 2 shown]
	s_ashr_i32 s39, s38, 31
	v_lshl_add_u32 v66, v40, 1, v53
	v_add_nc_u32_e32 v69, 0x80, v12
	v_mad_u32_u24 v70, 0xc0, v10, v14
	v_lshlrev_b32_e32 v71, 2, v8
	v_lshlrev_b32_e32 v72, 2, v11
	;; [unrolled: 1-line block ×3, first 2 shown]
	v_mbcnt_lo_u32_b32 v74, -1, 0
	s_cmp_lg_u64 s[34:35], 0
	s_add_nc_u64 s[40:41], s[0:1], 0xd0
	s_cselect_b32 s29, -1, 0
	s_ashr_i32 s15, s14, 31
.LBB65_10:                              ; =>This Inner Loop Header: Depth=1
	s_ashr_i32 s25, s24, 31
	s_wait_alu 0xfffe
	s_mul_u64 s[6:7], s[24:25], s[38:39]
	s_wait_alu 0xfffe
	s_lshl_b64 s[6:7], s[6:7], 2
	s_wait_alu 0xfffe
	s_add_nc_u64 s[6:7], s[26:27], s[6:7]
	s_and_saveexec_b32 s5, s3
	s_cbranch_execz .LBB65_12
; %bb.11:                               ;   in Loop: Header=BB65_10 Depth=1
	s_wait_alu 0xfffe
	v_add_co_u32 v0, vcc_lo, s6, v43
	s_wait_alu 0xfffd
	v_add_co_ci_u32_e64 v1, null, s7, v44, vcc_lo
	s_delay_alu instid0(VALU_DEP_2) | instskip(SKIP_1) | instid1(VALU_DEP_2)
	v_add_co_u32 v0, vcc_lo, v0, v73
	s_wait_alu 0xfffd
	v_add_co_ci_u32_e64 v1, null, 0, v1, vcc_lo
	global_load_b128 v[0:3], v[0:1], off offset:64
	s_wait_loadcnt 0x0
	ds_store_b128 v68, v[0:3]
.LBB65_12:                              ;   in Loop: Header=BB65_10 Depth=1
	s_wait_alu 0xfffe
	s_or_b32 exec_lo, exec_lo, s5
	v_add_co_u32 v0, vcc_lo, s6, v45
	s_wait_alu 0xfffd
	v_add_co_ci_u32_e64 v1, null, s7, v46, vcc_lo
	s_delay_alu instid0(VALU_DEP_2) | instskip(SKIP_1) | instid1(VALU_DEP_2)
	v_add_co_u32 v0, vcc_lo, v0, v71
	s_wait_alu 0xfffd
	v_add_co_ci_u32_e64 v1, null, 0, v1, vcc_lo
	global_load_b128 v[2:5], v[0:1], off
	s_wait_loadcnt 0x0
	ds_store_b128 v67, v[2:5]
	s_wait_dscnt 0x0
	s_barrier_signal -1
	s_barrier_wait -1
	global_inv scope:SCOPE_SE
	ds_load_b128 v[3:6], v62
	ds_load_b128 v[7:10], v61
	v_mov_b32_e32 v2, 0
	s_wait_dscnt 0x0
	;;#ASMSTART
	v_dot2_f32_f16 v2, v3, v7, v2
	;;#ASMEND
	;;#ASMSTART
	v_dot2_f32_f16 v2, v4, v8, v2
	;;#ASMEND
	;;#ASMSTART
	v_dot2_f32_f16 v2, v5, v9, v2
	;;#ASMEND
	;;#ASMSTART
	v_dot2_f32_f16 v2, v6, v10, v2
	;;#ASMEND
	ds_load_b128 v[3:6], v62 offset:16
	ds_load_b128 v[7:10], v61 offset:16
	s_wait_dscnt 0x0
	;;#ASMSTART
	v_dot2_f32_f16 v2, v3, v7, v2
	;;#ASMEND
	;;#ASMSTART
	v_dot2_f32_f16 v2, v4, v8, v2
	;;#ASMEND
	;;#ASMSTART
	v_dot2_f32_f16 v2, v5, v9, v2
	;;#ASMEND
	;;#ASMSTART
	v_dot2_f32_f16 v2, v6, v10, v2
	;;#ASMEND
	ds_load_b128 v[3:6], v62 offset:32
	ds_load_b128 v[7:10], v61 offset:32
	;; [unrolled: 15-line block ×5, first 2 shown]
	s_wait_dscnt 0x0
	;;#ASMSTART
	v_dot2_f32_f16 v2, v3, v7, v2
	;;#ASMEND
	;;#ASMSTART
	v_dot2_f32_f16 v2, v4, v8, v2
	;;#ASMEND
	;; [unrolled: 3-line block ×4, first 2 shown]
	s_wait_loadcnt 0x0
	s_barrier_signal -1
	s_barrier_wait -1
	global_inv scope:SCOPE_SE
	s_and_saveexec_b32 s5, s3
	s_cbranch_execz .LBB65_14
; %bb.13:                               ;   in Loop: Header=BB65_10 Depth=1
	v_add_co_u32 v3, vcc_lo, s6, v43
	s_wait_alu 0xfffd
	v_add_co_ci_u32_e64 v4, null, s7, v44, vcc_lo
	s_delay_alu instid0(VALU_DEP_2) | instskip(SKIP_1) | instid1(VALU_DEP_2)
	v_add_co_u32 v3, vcc_lo, v3, v73
	s_wait_alu 0xfffd
	v_add_co_ci_u32_e64 v4, null, 0, v4, vcc_lo
	global_load_b128 v[3:6], v[3:4], off offset:160
	s_wait_loadcnt 0x0
	ds_store_b128 v68, v[3:6]
.LBB65_14:                              ;   in Loop: Header=BB65_10 Depth=1
	s_wait_alu 0xfffe
	s_or_b32 exec_lo, exec_lo, s5
	global_load_b128 v[3:6], v[0:1], off offset:96
	s_and_not1_b32 vcc_lo, exec_lo, s29
	s_wait_loadcnt 0x0
	ds_store_b128 v67, v[3:6]
	s_wait_dscnt 0x0
	s_barrier_signal -1
	s_barrier_wait -1
	global_inv scope:SCOPE_SE
	ds_load_b128 v[3:6], v62
	ds_load_b128 v[7:10], v61 offset:96
	s_wait_dscnt 0x0
	;;#ASMSTART
	v_dot2_f32_f16 v2, v3, v7, v2
	;;#ASMEND
	;;#ASMSTART
	v_dot2_f32_f16 v2, v4, v8, v2
	;;#ASMEND
	;;#ASMSTART
	v_dot2_f32_f16 v2, v5, v9, v2
	;;#ASMEND
	;;#ASMSTART
	v_dot2_f32_f16 v2, v6, v10, v2
	;;#ASMEND
	ds_load_b128 v[3:6], v62 offset:16
	ds_load_b128 v[7:10], v61 offset:112
	s_wait_dscnt 0x0
	;;#ASMSTART
	v_dot2_f32_f16 v2, v3, v7, v2
	;;#ASMEND
	;;#ASMSTART
	v_dot2_f32_f16 v2, v4, v8, v2
	;;#ASMEND
	;;#ASMSTART
	v_dot2_f32_f16 v2, v5, v9, v2
	;;#ASMEND
	;;#ASMSTART
	v_dot2_f32_f16 v2, v6, v10, v2
	;;#ASMEND
	ds_load_b128 v[3:6], v62 offset:32
	;; [unrolled: 15-line block ×5, first 2 shown]
	ds_load_b128 v[7:10], v61 offset:176
	s_wait_dscnt 0x0
	;;#ASMSTART
	v_dot2_f32_f16 v2, v3, v7, v2
	;;#ASMEND
	;;#ASMSTART
	v_dot2_f32_f16 v2, v4, v8, v2
	;;#ASMEND
	;; [unrolled: 3-line block ×4, first 2 shown]
	s_wait_alu 0xfffe
	s_cbranch_vccnz .LBB65_16
; %bb.15:                               ;   in Loop: Header=BB65_10 Depth=1
	v_add_nc_u32_e32 v0, s24, v42
	s_delay_alu instid0(VALU_DEP_1) | instskip(NEXT) | instid1(VALU_DEP_1)
	v_ashrrev_i32_e32 v1, 31, v0
	v_lshlrev_b64_e32 v[0:1], 1, v[0:1]
	s_delay_alu instid0(VALU_DEP_1) | instskip(SKIP_1) | instid1(VALU_DEP_2)
	v_add_co_u32 v0, vcc_lo, s34, v0
	s_wait_alu 0xfffd
	v_add_co_ci_u32_e64 v1, null, s35, v1, vcc_lo
	global_load_u16 v0, v[0:1], off
	s_wait_loadcnt 0x0
	v_cvt_f32_f16_e32 v0, v0
	s_delay_alu instid0(VALU_DEP_1)
	v_mul_f32_e32 v0, v59, v0
	s_branch .LBB65_17
.LBB65_16:                              ;   in Loop: Header=BB65_10 Depth=1
	v_mov_b32_e32 v0, 0
.LBB65_17:                              ;   in Loop: Header=BB65_10 Depth=1
	v_xor_b32_e32 v1, 16, v74
	s_mul_u64 s[6:7], s[24:25], s[14:15]
	s_wait_loadcnt 0x0
	s_wait_alu 0xfffe
	s_lshl_b64 s[6:7], s[6:7], 2
	s_barrier_signal -1
	v_cmp_gt_i32_e32 vcc_lo, 32, v1
	s_wait_alu 0xfffe
	s_add_nc_u64 s[6:7], s[10:11], s[6:7]
	s_barrier_wait -1
	global_inv scope:SCOPE_SE
	s_wait_alu 0xfffd
	v_cndmask_b32_e32 v1, v74, v1, vcc_lo
	v_add_f32_e32 v0, v2, v0
	s_delay_alu instid0(VALU_DEP_2) | instskip(NEXT) | instid1(VALU_DEP_2)
	v_dual_max_num_f32 v2, v76, v76 :: v_dual_lshlrev_b32 v1, 2, v1
	v_add_f32_e32 v3, 0x40051340, v0
	s_delay_alu instid0(VALU_DEP_1)
	v_max_num_f32_e32 v2, v2, v3
	v_xor_b32_e32 v3, 8, v74
	ds_bpermute_b32 v1, v1, v2
	v_cmp_gt_i32_e32 vcc_lo, 32, v3
	s_wait_alu 0xfffd
	v_cndmask_b32_e32 v3, v74, v3, vcc_lo
	s_delay_alu instid0(VALU_DEP_1) | instskip(SKIP_2) | instid1(VALU_DEP_1)
	v_lshlrev_b32_e32 v3, 2, v3
	s_wait_dscnt 0x0
	v_max_num_f32_e32 v1, v1, v1
	v_max_num_f32_e32 v1, v2, v1
	ds_bpermute_b32 v2, v3, v1
	v_xor_b32_e32 v3, 4, v74
	s_delay_alu instid0(VALU_DEP_1) | instskip(SKIP_3) | instid1(VALU_DEP_1)
	v_cmp_gt_i32_e32 vcc_lo, 32, v3
	s_wait_alu 0xfffd
	v_cndmask_b32_e32 v3, v74, v3, vcc_lo
	s_wait_dscnt 0x0
	v_dual_max_num_f32 v2, v2, v2 :: v_dual_lshlrev_b32 v3, 2, v3
	s_delay_alu instid0(VALU_DEP_1) | instskip(SKIP_2) | instid1(VALU_DEP_1)
	v_max_num_f32_e32 v1, v1, v2
	ds_bpermute_b32 v2, v3, v1
	v_xor_b32_e32 v3, 2, v74
	v_cmp_gt_i32_e32 vcc_lo, 32, v3
	s_wait_alu 0xfffd
	v_cndmask_b32_e32 v3, v74, v3, vcc_lo
	s_wait_dscnt 0x0
	s_delay_alu instid0(VALU_DEP_1) | instskip(NEXT) | instid1(VALU_DEP_1)
	v_dual_max_num_f32 v2, v2, v2 :: v_dual_lshlrev_b32 v3, 2, v3
	v_max_num_f32_e32 v1, v1, v2
	ds_bpermute_b32 v2, v3, v1
	v_xor_b32_e32 v3, 1, v74
	s_delay_alu instid0(VALU_DEP_1) | instskip(SKIP_3) | instid1(VALU_DEP_1)
	v_cmp_gt_i32_e32 vcc_lo, 32, v3
	s_wait_alu 0xfffd
	v_cndmask_b32_e32 v3, v74, v3, vcc_lo
	s_wait_dscnt 0x0
	v_dual_max_num_f32 v2, v2, v2 :: v_dual_lshlrev_b32 v3, 2, v3
	s_delay_alu instid0(VALU_DEP_1) | instskip(SKIP_3) | instid1(VALU_DEP_1)
	v_max_num_f32_e32 v1, v1, v2
	ds_bpermute_b32 v2, v3, v1
	s_wait_dscnt 0x0
	v_max_num_f32_e32 v2, v2, v2
	v_max_num_f32_e32 v63, v1, v2
	s_delay_alu instid0(VALU_DEP_1) | instskip(NEXT) | instid1(VALU_DEP_1)
	v_sub_f32_e32 v0, v0, v63
	v_mul_f32_e32 v1, 0x3fb8aa3b, v0
	v_cmp_ngt_f32_e32 vcc_lo, 0xc2ce8ed0, v0
	s_delay_alu instid0(VALU_DEP_2) | instskip(SKIP_1) | instid1(VALU_DEP_1)
	v_fma_f32 v2, 0x3fb8aa3b, v0, -v1
	v_rndne_f32_e32 v3, v1
	v_dual_fmac_f32 v2, 0x32a5705f, v0 :: v_dual_sub_f32 v1, v1, v3
	s_delay_alu instid0(VALU_DEP_1) | instskip(SKIP_1) | instid1(VALU_DEP_2)
	v_add_f32_e32 v1, v1, v2
	v_cvt_i32_f32_e32 v2, v3
	v_exp_f32_e32 v1, v1
	s_delay_alu instid0(TRANS32_DEP_1) | instskip(SKIP_1) | instid1(VALU_DEP_1)
	v_ldexp_f32 v1, v1, v2
	s_wait_alu 0xfffd
	v_cndmask_b32_e32 v1, 0, v1, vcc_lo
	v_cmp_nlt_f32_e32 vcc_lo, 0x42b17218, v0
	s_wait_alu 0xfffd
	s_delay_alu instid0(VALU_DEP_2) | instskip(NEXT) | instid1(VALU_DEP_1)
	v_cndmask_b32_e32 v60, 0x7f800000, v1, vcc_lo
	v_cvt_f16_f32_e32 v0, v60
	ds_store_b16 v66, v0
	s_and_saveexec_b32 s5, s4
	s_cbranch_execz .LBB65_19
; %bb.18:                               ;   in Loop: Header=BB65_10 Depth=1
	s_wait_alu 0xfffe
	v_add_co_u32 v0, vcc_lo, s6, v47
	s_wait_alu 0xfffd
	v_add_co_ci_u32_e64 v1, null, s7, v48, vcc_lo
	s_delay_alu instid0(VALU_DEP_2) | instskip(SKIP_1) | instid1(VALU_DEP_2)
	v_add_co_u32 v0, vcc_lo, v0, v71
	s_wait_alu 0xfffd
	v_add_co_ci_u32_e64 v1, null, 0, v1, vcc_lo
	global_load_b128 v[0:3], v[0:1], off offset:128
	s_wait_loadcnt 0x0
	ds_store_b128 v69, v[0:3]
.LBB65_19:                              ;   in Loop: Header=BB65_10 Depth=1
	s_wait_alu 0xfffe
	s_or_b32 exec_lo, exec_lo, s5
	v_add_co_u32 v0, vcc_lo, s6, v49
	s_wait_alu 0xfffd
	v_add_co_ci_u32_e64 v1, null, s7, v50, vcc_lo
	v_add_nc_u32_e32 v78, 0x400, v51
	s_delay_alu instid0(VALU_DEP_3) | instskip(SKIP_1) | instid1(VALU_DEP_3)
	v_add_co_u32 v0, vcc_lo, v0, v72
	s_wait_alu 0xfffd
	v_add_co_ci_u32_e64 v1, null, 0, v1, vcc_lo
	v_add_nc_u32_e32 v77, 0x800, v51
	v_sub_f32_e32 v76, v76, v63
	s_or_b32 s6, s24, 16
	global_load_b128 v[0:3], v[0:1], off
	s_wait_alu 0xfffe
	s_ashr_i32 s7, s6, 31
	s_wait_alu 0xfffe
	s_mul_u64 s[6:7], s[6:7], s[14:15]
	v_cmp_nlt_f32_e64 s5, 0x42b17218, v76
	s_wait_alu 0xfffe
	s_lshl_b64 s[6:7], s[6:7], 2
	v_cmp_ngt_f32_e32 vcc_lo, 0xc2ce8ed0, v76
	s_wait_alu 0xfffe
	s_add_nc_u64 s[42:43], s[10:11], s[6:7]
	s_wait_loadcnt 0x0
	ds_store_b128 v70, v[0:3]
	s_wait_dscnt 0x0
	s_barrier_signal -1
	s_barrier_wait -1
	global_inv scope:SCOPE_SE
	ds_load_2addr_b64 v[36:39], v51 offset1:24
	ds_load_b128 v[28:31], v53
	ds_load_b128 v[4:7], v53 offset:16
	ds_load_2addr_b64 v[32:35], v51 offset0:48 offset1:72
	ds_load_2addr_b64 v[24:27], v51 offset0:96 offset1:120
	;; [unrolled: 1-line block ×7, first 2 shown]
	s_wait_loadcnt_dscnt 0x0
	s_barrier_signal -1
	s_barrier_wait -1
	global_inv scope:SCOPE_SE
	s_and_saveexec_b32 s7, s4
	s_cbranch_execz .LBB65_21
; %bb.20:                               ;   in Loop: Header=BB65_10 Depth=1
	s_wait_alu 0xfffe
	v_add_co_u32 v79, s6, s42, v47
	s_wait_alu 0xf1ff
	v_add_co_ci_u32_e64 v80, null, s43, v48, s6
	s_delay_alu instid0(VALU_DEP_2) | instskip(SKIP_1) | instid1(VALU_DEP_2)
	v_add_co_u32 v79, s6, v79, v71
	s_wait_alu 0xf1ff
	v_add_co_ci_u32_e64 v80, null, 0, v80, s6
	global_load_b128 v[79:82], v[79:80], off offset:128
	s_wait_loadcnt 0x0
	ds_store_b128 v69, v[79:82]
.LBB65_21:                              ;   in Loop: Header=BB65_10 Depth=1
	s_wait_alu 0xfffe
	s_or_b32 exec_lo, exec_lo, s7
	v_add_co_u32 v79, s6, s42, v49
	s_wait_alu 0xf1ff
	v_add_co_ci_u32_e64 v80, null, s43, v50, s6
	v_mul_f32_e32 v83, 0x3fb8aa3b, v76
	s_delay_alu instid0(VALU_DEP_3) | instskip(SKIP_1) | instid1(VALU_DEP_3)
	v_add_co_u32 v79, s6, v79, v72
	s_wait_alu 0xf1ff
	v_add_co_ci_u32_e64 v80, null, 0, v80, s6
	s_delay_alu instid0(VALU_DEP_3)
	v_fma_f32 v84, 0x3fb8aa3b, v76, -v83
	v_rndne_f32_e32 v85, v83
	global_load_b128 v[79:82], v[79:80], off
	v_fmac_f32_e32 v84, 0x32a5705f, v76
	v_sub_f32_e32 v76, v83, v85
	v_cvt_i32_f32_e32 v83, v85
	v_and_b32_e32 v85, 0xffff, v29
	v_lshrrev_b32_e32 v29, 16, v29
	s_delay_alu instid0(VALU_DEP_4) | instskip(NEXT) | instid1(VALU_DEP_2)
	v_add_f32_e32 v76, v76, v84
	v_mul_u32_u24_e32 v29, 0x10001, v29
	s_delay_alu instid0(VALU_DEP_2) | instskip(NEXT) | instid1(TRANS32_DEP_1)
	v_exp_f32_e32 v76, v76
	v_ldexp_f32 v76, v76, v83
	v_and_b32_e32 v83, 0xffff, v28
	v_lshrrev_b32_e32 v28, 16, v28
	s_wait_alu 0xfffd
	s_delay_alu instid0(VALU_DEP_3) | instskip(NEXT) | instid1(VALU_DEP_3)
	v_cndmask_b32_e32 v76, 0, v76, vcc_lo
	v_mul_u32_u24_e32 v83, 0x10001, v83
	s_delay_alu instid0(VALU_DEP_3) | instskip(NEXT) | instid1(VALU_DEP_3)
	v_mul_u32_u24_e32 v28, 0x10001, v28
	v_cndmask_b32_e64 v76, 0x7f800000, v76, s5
	s_delay_alu instid0(VALU_DEP_3) | instskip(SKIP_1) | instid1(VALU_DEP_3)
	v_pk_mul_f16 v36, v36, v83
	v_pk_mul_f16 v37, v37, v83
	v_cvt_f16_f32_e32 v84, v76
	v_fmac_f32_e32 v60, v75, v76
	s_delay_alu instid0(VALU_DEP_2) | instskip(NEXT) | instid1(VALU_DEP_1)
	v_and_b32_e32 v84, 0xffff, v84
	v_mul_u32_u24_e32 v84, 0x10001, v84
	s_delay_alu instid0(VALU_DEP_1) | instskip(SKIP_2) | instid1(VALU_DEP_3)
	v_pk_fma_f16 v36, v54, v84, v36
	v_pk_fma_f16 v37, v56, v84, v37
	v_mul_u32_u24_e32 v54, 0x10001, v85
	v_pk_fma_f16 v36, v38, v28, v36
	s_delay_alu instid0(VALU_DEP_3) | instskip(SKIP_2) | instid1(VALU_DEP_4)
	v_pk_fma_f16 v28, v39, v28, v37
	v_and_b32_e32 v38, 0xffff, v30
	v_lshrrev_b32_e32 v30, 16, v30
	v_pk_fma_f16 v32, v32, v54, v36
	s_delay_alu instid0(VALU_DEP_4) | instskip(NEXT) | instid1(VALU_DEP_4)
	v_pk_fma_f16 v28, v33, v54, v28
	v_mul_u32_u24_e32 v36, 0x10001, v38
	v_and_b32_e32 v33, 0xffff, v31
	v_mul_u32_u24_e32 v30, 0x10001, v30
	v_pk_fma_f16 v32, v34, v29, v32
	v_pk_fma_f16 v28, v35, v29, v28
	v_lshrrev_b32_e32 v29, 16, v31
	v_mul_u32_u24_e32 v31, 0x10001, v33
	s_delay_alu instid0(VALU_DEP_4) | instskip(NEXT) | instid1(VALU_DEP_4)
	v_pk_fma_f16 v24, v24, v36, v32
	v_pk_fma_f16 v25, v25, v36, v28
	s_delay_alu instid0(VALU_DEP_4) | instskip(NEXT) | instid1(VALU_DEP_3)
	v_mul_u32_u24_e32 v28, 0x10001, v29
	v_pk_fma_f16 v24, v26, v30, v24
	s_delay_alu instid0(VALU_DEP_3) | instskip(SKIP_2) | instid1(VALU_DEP_4)
	v_pk_fma_f16 v25, v27, v30, v25
	v_and_b32_e32 v26, 0xffff, v4
	v_lshrrev_b32_e32 v4, 16, v4
	v_pk_fma_f16 v20, v20, v31, v24
	s_delay_alu instid0(VALU_DEP_4) | instskip(NEXT) | instid1(VALU_DEP_4)
	v_pk_fma_f16 v21, v21, v31, v25
	v_mul_u32_u24_e32 v24, 0x10001, v26
	s_delay_alu instid0(VALU_DEP_4) | instskip(NEXT) | instid1(VALU_DEP_4)
	v_mul_u32_u24_e32 v4, 0x10001, v4
	v_pk_fma_f16 v20, v22, v28, v20
	s_delay_alu instid0(VALU_DEP_4) | instskip(SKIP_2) | instid1(VALU_DEP_4)
	v_pk_fma_f16 v21, v23, v28, v21
	v_and_b32_e32 v22, 0xffff, v5
	v_lshrrev_b32_e32 v5, 16, v5
	v_pk_fma_f16 v16, v16, v24, v20
	s_delay_alu instid0(VALU_DEP_4) | instskip(NEXT) | instid1(VALU_DEP_4)
	v_pk_fma_f16 v17, v17, v24, v21
	v_mul_u32_u24_e32 v22, 0x10001, v22
	v_and_b32_e32 v20, 0xffff, v6
	v_mul_u32_u24_e32 v5, 0x10001, v5
	v_pk_fma_f16 v16, v18, v4, v16
	v_pk_fma_f16 v4, v19, v4, v17
	v_lshrrev_b32_e32 v6, 16, v6
	v_mul_u32_u24_e32 v20, 0x10001, v20
	s_delay_alu instid0(VALU_DEP_4) | instskip(NEXT) | instid1(VALU_DEP_4)
	v_pk_fma_f16 v12, v12, v22, v16
	v_pk_fma_f16 v4, v13, v22, v4
	v_and_b32_e32 v13, 0xffff, v7
	s_delay_alu instid0(VALU_DEP_3) | instskip(NEXT) | instid1(VALU_DEP_3)
	v_pk_fma_f16 v12, v14, v5, v12
	v_pk_fma_f16 v15, v15, v5, v4
	v_mul_u32_u24_e32 v14, 0x10001, v6
	s_delay_alu instid0(VALU_DEP_4) | instskip(NEXT) | instid1(VALU_DEP_4)
	v_mul_u32_u24_e32 v21, 0x10001, v13
	v_pk_fma_f16 v8, v8, v20, v12
	v_lshrrev_b32_e32 v12, 16, v7
	v_pk_fma_f16 v9, v9, v20, v15
	s_delay_alu instid0(VALU_DEP_3) | instskip(NEXT) | instid1(VALU_DEP_3)
	v_pk_fma_f16 v8, v10, v14, v8
	v_mul_u32_u24_e32 v20, 0x10001, v12
	s_delay_alu instid0(VALU_DEP_3) | instskip(NEXT) | instid1(VALU_DEP_3)
	v_pk_fma_f16 v22, v11, v14, v9
	v_pk_fma_f16 v0, v0, v21, v8
	s_delay_alu instid0(VALU_DEP_2) | instskip(NEXT) | instid1(VALU_DEP_2)
	v_pk_fma_f16 v1, v1, v21, v22
	v_pk_fma_f16 v21, v2, v20, v0
	s_delay_alu instid0(VALU_DEP_2)
	v_pk_fma_f16 v20, v3, v20, v1
	s_wait_loadcnt 0x0
	ds_store_b128 v70, v[79:82]
	s_wait_dscnt 0x0
	s_barrier_signal -1
	s_barrier_wait -1
	global_inv scope:SCOPE_SE
	ds_load_b128 v[16:19], v53 offset:32
	ds_load_2addr_b64 v[4:7], v51 offset1:24
	ds_load_b128 v[8:11], v53 offset:48
	ds_load_2addr_b64 v[12:15], v51 offset0:48 offset1:72
	ds_load_2addr_b64 v[0:3], v51 offset0:96 offset1:120
	s_wait_dscnt 0x4
	v_and_b32_e32 v23, 0xffff, v16
	v_lshrrev_b32_e32 v16, 16, v16
	v_and_b32_e32 v24, 0xffff, v18
	v_and_b32_e32 v28, 0xffff, v19
	s_delay_alu instid0(VALU_DEP_4)
	v_mul_u32_u24_e32 v22, 0x10001, v23
	v_and_b32_e32 v23, 0xffff, v17
	v_mul_u32_u24_e32 v16, 0x10001, v16
	v_lshrrev_b32_e32 v17, 16, v17
	s_wait_dscnt 0x3
	v_pk_fma_f16 v4, v4, v22, v21
	v_pk_fma_f16 v5, v5, v22, v20
	v_mul_u32_u24_e32 v20, 0x10001, v23
	v_mul_u32_u24_e32 v17, 0x10001, v17
	s_delay_alu instid0(VALU_DEP_4) | instskip(NEXT) | instid1(VALU_DEP_4)
	v_pk_fma_f16 v21, v6, v16, v4
	v_pk_fma_f16 v16, v7, v16, v5
	ds_load_2addr_b64 v[4:7], v51 offset0:144 offset1:168
	s_wait_dscnt 0x2
	v_pk_fma_f16 v12, v12, v20, v21
	v_pk_fma_f16 v13, v13, v20, v16
	v_lshrrev_b32_e32 v16, 16, v18
	v_mul_u32_u24_e32 v18, 0x10001, v24
	ds_load_2addr_b64 v[20:23], v51 offset0:192 offset1:216
	v_pk_fma_f16 v24, v14, v17, v12
	v_pk_fma_f16 v17, v15, v17, v13
	v_mul_u32_u24_e32 v16, 0x10001, v16
	ds_load_2addr_b64 v[12:15], v78 offset0:112 offset1:136
	s_wait_dscnt 0x3
	v_pk_fma_f16 v0, v0, v18, v24
	v_pk_fma_f16 v1, v1, v18, v17
	v_lshrrev_b32_e32 v17, 16, v19
	v_mul_u32_u24_e32 v18, 0x10001, v28
	v_and_b32_e32 v28, 0xffff, v8
	v_pk_fma_f16 v19, v2, v16, v0
	v_pk_fma_f16 v16, v3, v16, v1
	v_mul_u32_u24_e32 v17, 0x10001, v17
	v_lshrrev_b32_e32 v8, 16, v8
	ds_load_2addr_b64 v[24:27], v77 offset0:32 offset1:56
	s_wait_dscnt 0x3
	v_pk_fma_f16 v4, v4, v18, v19
	v_pk_fma_f16 v5, v5, v18, v16
	v_mul_u32_u24_e32 v16, 0x10001, v28
	ds_load_2addr_b64 v[0:3], v77 offset0:80 offset1:104
	s_wait_loadcnt_dscnt 0x0
	v_pk_fma_f16 v4, v6, v17, v4
	v_pk_fma_f16 v5, v7, v17, v5
	v_and_b32_e32 v6, 0xffff, v9
	v_mul_u32_u24_e32 v7, 0x10001, v8
	v_lshrrev_b32_e32 v8, 16, v9
	v_pk_fma_f16 v4, v20, v16, v4
	v_pk_fma_f16 v5, v21, v16, v5
	v_mul_u32_u24_e32 v6, 0x10001, v6
	s_barrier_signal -1
	v_mul_u32_u24_e32 v8, 0x10001, v8
	v_pk_fma_f16 v4, v22, v7, v4
	v_pk_fma_f16 v5, v23, v7, v5
	v_and_b32_e32 v7, 0xffff, v10
	s_barrier_wait -1
	global_inv scope:SCOPE_SE
	v_pk_fma_f16 v4, v12, v6, v4
	v_pk_fma_f16 v5, v13, v6, v5
	s_load_b32 s5, s[40:41], 0x4
	v_lshrrev_b32_e32 v6, 16, v10
	v_mul_u32_u24_e32 v7, 0x10001, v7
	v_pk_fma_f16 v4, v14, v8, v4
	v_pk_fma_f16 v5, v15, v8, v5
	v_and_b32_e32 v8, 0xffff, v11
	v_mul_u32_u24_e32 v6, 0x10001, v6
	s_delay_alu instid0(VALU_DEP_4) | instskip(NEXT) | instid1(VALU_DEP_4)
	v_pk_fma_f16 v4, v24, v7, v4
	v_pk_fma_f16 v5, v25, v7, v5
	v_lshrrev_b32_e32 v7, 16, v11
	v_mul_u32_u24_e32 v8, 0x10001, v8
	s_delay_alu instid0(VALU_DEP_4) | instskip(NEXT) | instid1(VALU_DEP_4)
	v_pk_fma_f16 v4, v26, v6, v4
	v_pk_fma_f16 v5, v27, v6, v5
	s_delay_alu instid0(VALU_DEP_4) | instskip(NEXT) | instid1(VALU_DEP_3)
	v_mul_u32_u24_e32 v6, 0x10001, v7
	v_pk_fma_f16 v0, v0, v8, v4
	s_delay_alu instid0(VALU_DEP_3)
	v_pk_fma_f16 v1, v1, v8, v5
	s_wait_kmcnt 0x0
	s_lshl_b32 s5, s5, 5
	s_wait_alu 0xfffe
	s_add_co_i32 s24, s5, s24
	v_pk_fma_f16 v54, v2, v6, v0
	v_pk_fma_f16 v56, v3, v6, v1
	s_wait_alu 0xfffe
	s_cmp_lt_i32 s24, s9
	s_cbranch_scc0 .LBB65_24
; %bb.22:                               ;   in Loop: Header=BB65_10 Depth=1
	v_dual_mov_b32 v76, v63 :: v_dual_mov_b32 v75, v60
	s_branch .LBB65_10
.LBB65_23:
	v_dual_mov_b32 v56, 0 :: v_dual_mov_b32 v63, 0xfeffffff
	v_mov_b32_e32 v60, 0
	v_mov_b32_e32 v54, 0
.LBB65_24:
	s_cmp_gt_i32 s36, s24
	s_cbranch_scc1 .LBB65_27
; %bb.25:
	v_mbcnt_lo_u32_b32 v0, -1, 0
	v_mov_b32_e32 v49, 32
	s_delay_alu instid0(VALU_DEP_2)
	v_xor_b32_e32 v44, 16, v0
	v_xor_b32_e32 v45, 8, v0
	;; [unrolled: 1-line block ×5, first 2 shown]
	s_cbranch_execz .LBB65_28
; %bb.26:
	v_dual_mov_b32 v35, v63 :: v_dual_mov_b32 v52, v0
	s_branch .LBB65_42
.LBB65_27:
                                        ; implicit-def: $vgpr0
                                        ; implicit-def: $vgpr49
                                        ; implicit-def: $vgpr44
                                        ; implicit-def: $vgpr45
                                        ; implicit-def: $vgpr46
                                        ; implicit-def: $vgpr47
                                        ; implicit-def: $vgpr48
.LBB65_28:
	v_lshl_add_u32 v2, v55, 4, v65
	v_and_b32_e32 v1, 4, v57
	s_ashr_i32 s25, s24, 31
	s_ashr_i32 s39, s38, 31
	s_sub_co_i32 s9, s36, s24
	v_mul_lo_u32 v0, s38, v2
	v_mul_u32_u24_e32 v3, 0x70, v2
	v_lshlrev_b32_e32 v8, 2, v1
	s_mov_b64 s[4:5], src_private_base
	s_wait_alu 0xfffe
	s_mul_u64 s[6:7], s[24:25], s[38:39]
	v_cmp_gt_u32_e64 s4, 32, v2
	v_cmp_gt_i32_e64 s3, s9, v2
	v_add3_u32 v7, v3, v8, 64
	v_ashrrev_i32_e32 v1, 31, v0
	s_wait_alu 0xfffe
	s_lshl_b64 s[6:7], s[6:7], 2
	s_wait_alu 0xfffe
	s_add_nc_u64 s[6:7], s[26:27], s[6:7]
	v_lshlrev_b64_e32 v[3:4], 2, v[0:1]
	s_and_saveexec_b32 s15, s4
	s_cbranch_execz .LBB65_30
; %bb.29:
	s_wait_alu 0xfffe
	s_delay_alu instid0(VALU_DEP_1) | instskip(SKIP_2) | instid1(VALU_DEP_2)
	v_add_co_u32 v0, vcc_lo, s6, v3
	s_wait_alu 0xfffd
	v_add_co_ci_u32_e64 v1, null, s7, v4, vcc_lo
	v_add_co_u32 v2, vcc_lo, v0, v8
	s_wait_alu 0xfffd
	s_delay_alu instid0(VALU_DEP_2) | instskip(SKIP_1) | instid1(VALU_DEP_3)
	v_add_co_ci_u32_e64 v1, null, 0, v1, vcc_lo
	v_mov_b32_e32 v0, 0
	v_add_co_u32 v5, vcc_lo, v2, 64
	s_wait_alu 0xfffd
	s_delay_alu instid0(VALU_DEP_3) | instskip(NEXT) | instid1(VALU_DEP_3)
	v_add_co_ci_u32_e64 v6, null, 0, v1, vcc_lo
	v_dual_mov_b32 v1, v0 :: v_dual_mov_b32 v2, v0
	s_delay_alu instid0(VALU_DEP_3) | instskip(NEXT) | instid1(VALU_DEP_3)
	v_cndmask_b32_e64 v5, 0, v5, s3
	v_cndmask_b32_e64 v6, s5, v6, s3
	s_clause 0x1
	scratch_store_b32 off, v0, off
	scratch_store_b96 off, v[0:2], off offset:4
	flat_load_b128 v[9:12], v[5:6]
	s_wait_loadcnt_dscnt 0x0
	ds_store_b128 v7, v[9:12]
.LBB65_30:
	s_wait_alu 0xfffe
	s_or_b32 exec_lo, exec_lo, s15
	v_lshl_add_u32 v42, v55, 3, v64
	v_and_b32_e32 v5, 12, v57
	s_mov_b64 s[26:27], src_private_base
	s_delay_alu instid0(VALU_DEP_2) | instskip(NEXT) | instid1(VALU_DEP_1)
	v_mul_lo_u32 v0, s38, v42
	v_ashrrev_i32_e32 v1, 31, v0
	s_delay_alu instid0(VALU_DEP_1) | instskip(NEXT) | instid1(VALU_DEP_1)
	v_lshlrev_b64_e32 v[0:1], 2, v[0:1]
	v_add_co_u32 v2, vcc_lo, s6, v0
	v_dual_mov_b32 v0, 0 :: v_dual_lshlrev_b32 v43, 2, v5
	s_wait_alu 0xfffd
	s_delay_alu instid0(VALU_DEP_3) | instskip(NEXT) | instid1(VALU_DEP_2)
	v_add_co_ci_u32_e64 v1, null, s7, v1, vcc_lo
	v_mov_b32_e32 v6, v0
	s_delay_alu instid0(VALU_DEP_3) | instskip(SKIP_1) | instid1(VALU_DEP_3)
	v_add_co_u32 v9, vcc_lo, v2, v43
	s_wait_alu 0xfffd
	v_add_co_ci_u32_e64 v10, null, 0, v1, vcc_lo
	v_cmp_gt_i32_e32 vcc_lo, s9, v42
	v_dual_mov_b32 v1, v0 :: v_dual_mov_b32 v2, v0
	s_wait_alu 0xfffc
	s_delay_alu instid0(VALU_DEP_3)
	v_cndmask_b32_e32 v12, s27, v10, vcc_lo
	v_cndmask_b32_e32 v11, 0, v9, vcc_lo
	s_clause 0x1
	scratch_store_b32 off, v0, off
	scratch_store_b96 off, v[0:2], off offset:4
	flat_load_b128 v[12:15], v[11:12]
	v_mad_u32_u24 v11, 0x70, v42, v43
	s_wait_loadcnt_dscnt 0x0
	ds_store_b128 v11, v[12:15]
	s_wait_storecnt_dscnt 0x0
	s_barrier_signal -1
	s_barrier_wait -1
	global_inv scope:SCOPE_SE
	ds_load_b128 v[12:15], v62
	ds_load_b128 v[16:19], v61
	s_wait_dscnt 0x0
	;;#ASMSTART
	v_dot2_f32_f16 v6, v12, v16, v6
	;;#ASMEND
	;;#ASMSTART
	v_dot2_f32_f16 v6, v13, v17, v6
	;;#ASMEND
	;;#ASMSTART
	v_dot2_f32_f16 v6, v14, v18, v6
	;;#ASMEND
	;;#ASMSTART
	v_dot2_f32_f16 v6, v15, v19, v6
	;;#ASMEND
	ds_load_b128 v[12:15], v62 offset:16
	ds_load_b128 v[16:19], v61 offset:16
	s_wait_dscnt 0x0
	;;#ASMSTART
	v_dot2_f32_f16 v6, v12, v16, v6
	;;#ASMEND
	;;#ASMSTART
	v_dot2_f32_f16 v6, v13, v17, v6
	;;#ASMEND
	;;#ASMSTART
	v_dot2_f32_f16 v6, v14, v18, v6
	;;#ASMEND
	;;#ASMSTART
	v_dot2_f32_f16 v6, v15, v19, v6
	;;#ASMEND
	ds_load_b128 v[12:15], v62 offset:32
	ds_load_b128 v[16:19], v61 offset:32
	;; [unrolled: 15-line block ×5, first 2 shown]
	s_wait_dscnt 0x0
	;;#ASMSTART
	v_dot2_f32_f16 v6, v12, v16, v6
	;;#ASMEND
	;;#ASMSTART
	v_dot2_f32_f16 v6, v13, v17, v6
	;;#ASMEND
	;; [unrolled: 3-line block ×4, first 2 shown]
	s_wait_loadcnt 0x0
	s_barrier_signal -1
	s_barrier_wait -1
	global_inv scope:SCOPE_SE
	s_and_saveexec_b32 s15, s4
	s_cbranch_execz .LBB65_32
; %bb.31:
	v_add_co_u32 v3, s4, s6, v3
	s_wait_alu 0xf1ff
	v_add_co_ci_u32_e64 v4, null, s7, v4, s4
	s_clause 0x1
	scratch_store_b32 off, v0, off
	scratch_store_b96 off, v[0:2], off offset:4
	v_add_co_u32 v3, s4, v3, v8
	s_wait_alu 0xf1ff
	v_add_co_ci_u32_e64 v4, null, 0, v4, s4
	s_delay_alu instid0(VALU_DEP_2) | instskip(SKIP_1) | instid1(VALU_DEP_2)
	v_add_co_u32 v3, s4, 0xa0, v3
	s_wait_alu 0xf1ff
	v_add_co_ci_u32_e64 v4, null, 0, v4, s4
	s_delay_alu instid0(VALU_DEP_2) | instskip(NEXT) | instid1(VALU_DEP_2)
	v_cndmask_b32_e64 v3, 0, v3, s3
	v_cndmask_b32_e64 v4, s5, v4, s3
	flat_load_b128 v[12:15], v[3:4]
	s_wait_loadcnt_dscnt 0x0
	ds_store_b128 v7, v[12:15]
.LBB65_32:
	s_wait_alu 0xfffe
	s_or_b32 exec_lo, exec_lo, s15
	v_add_co_u32 v3, s3, 0x60, v9
	s_wait_alu 0xf1ff
	v_add_co_ci_u32_e64 v4, null, 0, v10, s3
	s_clause 0x1
	scratch_store_b32 off, v0, off
	scratch_store_b96 off, v[0:2], off offset:4
	v_cndmask_b32_e32 v3, 0, v3, vcc_lo
	s_mov_b32 s4, exec_lo
	v_cndmask_b32_e32 v4, s27, v4, vcc_lo
	flat_load_b128 v[0:3], v[3:4]
	s_wait_loadcnt_dscnt 0x0
	ds_store_b128 v11, v[0:3]
	s_wait_storecnt_dscnt 0x0
	s_barrier_signal -1
	s_barrier_wait -1
	global_inv scope:SCOPE_SE
	ds_load_b128 v[0:3], v62
	ds_load_b128 v[7:10], v61 offset:96
	s_wait_dscnt 0x0
	;;#ASMSTART
	v_dot2_f32_f16 v6, v0, v7, v6
	;;#ASMEND
	;;#ASMSTART
	v_dot2_f32_f16 v6, v1, v8, v6
	;;#ASMEND
	;;#ASMSTART
	v_dot2_f32_f16 v6, v2, v9, v6
	;;#ASMEND
	;;#ASMSTART
	v_dot2_f32_f16 v6, v3, v10, v6
	;;#ASMEND
	ds_load_b128 v[0:3], v62 offset:16
	ds_load_b128 v[7:10], v61 offset:112
	s_wait_dscnt 0x0
	;;#ASMSTART
	v_dot2_f32_f16 v6, v0, v7, v6
	;;#ASMEND
	;;#ASMSTART
	v_dot2_f32_f16 v6, v1, v8, v6
	;;#ASMEND
	;;#ASMSTART
	v_dot2_f32_f16 v6, v2, v9, v6
	;;#ASMEND
	;;#ASMSTART
	v_dot2_f32_f16 v6, v3, v10, v6
	;;#ASMEND
	ds_load_b128 v[0:3], v62 offset:32
	;; [unrolled: 15-line block ×5, first 2 shown]
	ds_load_b128 v[7:10], v61 offset:176
	v_mov_b32_e32 v0, v63
	s_wait_dscnt 0x0
	;;#ASMSTART
	v_dot2_f32_f16 v6, v1, v7, v6
	;;#ASMEND
	;;#ASMSTART
	v_dot2_f32_f16 v6, v2, v8, v6
	;;#ASMEND
	;;#ASMSTART
	v_dot2_f32_f16 v6, v3, v9, v6
	;;#ASMEND
	;;#ASMSTART
	v_dot2_f32_f16 v6, v4, v10, v6
	;;#ASMEND
	v_cmpx_gt_i32_e64 s9, v40
	s_cbranch_execz .LBB65_37
; %bb.33:
	s_cmp_eq_u64 s[34:35], 0
	s_cbranch_scc1 .LBB65_35
; %bb.34:
	v_mul_hi_u32 v0, s20, v41
	s_delay_alu instid0(VALU_DEP_1) | instskip(NEXT) | instid1(VALU_DEP_1)
	v_add_nc_u32_e32 v0, v41, v0
	v_lshrrev_b32_e32 v0, s21, v0
	s_delay_alu instid0(VALU_DEP_1) | instskip(NEXT) | instid1(VALU_DEP_1)
	v_mul_lo_u32 v0, v0, s22
	v_sub_nc_u32_e32 v0, v41, v0
	s_delay_alu instid0(VALU_DEP_1) | instskip(NEXT) | instid1(VALU_DEP_1)
	v_mul_lo_u32 v0, v0, s33
	v_add3_u32 v0, v0, v40, s24
	s_delay_alu instid0(VALU_DEP_1) | instskip(NEXT) | instid1(VALU_DEP_1)
	v_ashrrev_i32_e32 v1, 31, v0
	v_lshlrev_b64_e32 v[0:1], 1, v[0:1]
	s_delay_alu instid0(VALU_DEP_1) | instskip(SKIP_1) | instid1(VALU_DEP_2)
	v_add_co_u32 v0, s3, s34, v0
	s_wait_alu 0xf1ff
	v_add_co_ci_u32_e64 v1, null, s35, v1, s3
	global_load_u16 v0, v[0:1], off
	s_wait_loadcnt 0x0
	v_cvt_f32_f16_e32 v0, v0
	s_delay_alu instid0(VALU_DEP_1)
	v_mul_f32_e32 v0, v59, v0
	s_branch .LBB65_36
.LBB65_35:
	v_mov_b32_e32 v0, 0
.LBB65_36:
	s_delay_alu instid0(VALU_DEP_1) | instskip(NEXT) | instid1(VALU_DEP_1)
	v_dual_add_f32 v6, v6, v0 :: v_dual_max_num_f32 v1, v63, v63
	v_add_f32_e32 v0, 0x40051340, v6
	s_delay_alu instid0(VALU_DEP_1)
	v_max_num_f32_e32 v0, v1, v0
.LBB65_37:
	s_wait_alu 0xfffe
	s_or_b32 exec_lo, exec_lo, s4
	v_xor_b32_e32 v44, 16, v52
	v_xor_b32_e32 v45, 8, v52
	;; [unrolled: 1-line block ×5, first 2 shown]
	v_cmp_gt_i32_e64 s3, 32, v44
	s_ashr_i32 s15, s14, 31
	s_mov_b64 s[4:5], src_private_base
	s_wait_alu 0xfffe
	s_mul_u64 s[6:7], s[24:25], s[14:15]
	s_wait_loadcnt 0x0
	v_cndmask_b32_e64 v1, v52, v44, s3
	v_cmp_gt_i32_e64 s3, 32, v45
	s_wait_alu 0xfffe
	s_lshl_b64 s[6:7], s[6:7], 2
	s_barrier_signal -1
	s_wait_alu 0xfffe
	s_add_nc_u64 s[20:21], s[10:11], s[6:7]
	v_lshlrev_b32_e32 v1, 2, v1
	v_cndmask_b32_e64 v2, v52, v45, s3
	v_cmp_gt_i32_e64 s3, 32, v46
	s_barrier_wait -1
	global_inv scope:SCOPE_SE
	ds_bpermute_b32 v1, v1, v0
	v_max_num_f32_e32 v0, v0, v0
	v_dual_mov_b32 v49, 32 :: v_dual_lshlrev_b32 v2, 2, v2
	s_wait_dscnt 0x0
	v_max_num_f32_e32 v1, v1, v1
	s_delay_alu instid0(VALU_DEP_1)
	v_max_num_f32_e32 v0, v0, v1
	ds_bpermute_b32 v1, v2, v0
	s_wait_alu 0xf1ff
	v_cndmask_b32_e64 v2, v52, v46, s3
	v_cmp_gt_i32_e64 s3, 32, v47
	s_wait_dscnt 0x0
	s_delay_alu instid0(VALU_DEP_2) | instskip(NEXT) | instid1(VALU_DEP_1)
	v_dual_max_num_f32 v1, v1, v1 :: v_dual_lshlrev_b32 v2, 2, v2
	v_max_num_f32_e32 v0, v0, v1
	ds_bpermute_b32 v1, v2, v0
	s_wait_alu 0xf1ff
	v_cndmask_b32_e64 v2, v52, v47, s3
	v_cmp_gt_i32_e64 s3, 32, v48
	s_wait_dscnt 0x0
	s_delay_alu instid0(VALU_DEP_2) | instskip(NEXT) | instid1(VALU_DEP_1)
	v_dual_max_num_f32 v1, v1, v1 :: v_dual_lshlrev_b32 v2, 2, v2
	v_max_num_f32_e32 v0, v0, v1
	ds_bpermute_b32 v1, v2, v0
	s_wait_alu 0xf1ff
	v_cndmask_b32_e64 v2, v52, v48, s3
	s_wait_dscnt 0x0
	s_delay_alu instid0(VALU_DEP_1) | instskip(NEXT) | instid1(VALU_DEP_1)
	v_dual_max_num_f32 v1, v1, v1 :: v_dual_lshlrev_b32 v2, 2, v2
	v_max_num_f32_e32 v0, v0, v1
	ds_bpermute_b32 v1, v2, v0
	s_wait_dscnt 0x0
	v_max_num_f32_e32 v1, v1, v1
	s_delay_alu instid0(VALU_DEP_1) | instskip(NEXT) | instid1(VALU_DEP_1)
	v_max_num_f32_e32 v35, v0, v1
	v_sub_f32_e32 v1, v6, v35
	s_delay_alu instid0(VALU_DEP_1) | instskip(SKIP_1) | instid1(VALU_DEP_2)
	v_mul_f32_e32 v0, 0x3fb8aa3b, v1
	v_cmp_ngt_f32_e64 s3, 0xc2ce8ed0, v1
	v_fma_f32 v2, 0x3fb8aa3b, v1, -v0
	v_rndne_f32_e32 v3, v0
	s_delay_alu instid0(VALU_DEP_2) | instskip(NEXT) | instid1(VALU_DEP_2)
	v_fmac_f32_e32 v2, 0x32a5705f, v1
	v_sub_f32_e32 v0, v0, v3
	s_delay_alu instid0(VALU_DEP_1) | instskip(SKIP_2) | instid1(VALU_DEP_3)
	v_add_f32_e32 v0, v0, v2
	v_cvt_i32_f32_e32 v2, v3
	v_mul_u32_u24_e32 v3, 0xc0, v42
	v_exp_f32_e32 v0, v0
	s_delay_alu instid0(VALU_DEP_1) | instskip(NEXT) | instid1(VALU_DEP_1)
	v_lshl_or_b32 v3, v5, 2, v3
	v_add_nc_u32_e32 v59, 0x80, v3
	s_delay_alu instid0(TRANS32_DEP_1) | instskip(SKIP_1) | instid1(VALU_DEP_1)
	v_ldexp_f32 v0, v0, v2
	s_wait_alu 0xf1ff
	v_cndmask_b32_e64 v2, 0, v0, s3
	v_cmp_nlt_f32_e64 s3, 0x42b17218, v1
	v_mul_lo_u32 v0, s14, v42
	s_wait_alu 0xf1ff
	s_delay_alu instid0(VALU_DEP_2) | instskip(SKIP_3) | instid1(VALU_DEP_2)
	v_cndmask_b32_e64 v1, 0x7f800000, v2, s3
	v_cmp_gt_u32_e64 s3, s9, v40
	v_lshl_add_u32 v2, v40, 1, v53
	s_wait_alu 0xf1ff
	v_cndmask_b32_e64 v50, 0, v1, s3
	v_ashrrev_i32_e32 v1, 31, v0
	v_cmp_gt_u32_e64 s3, 16, v42
	s_delay_alu instid0(VALU_DEP_3) | instskip(NEXT) | instid1(VALU_DEP_3)
	v_cvt_f16_f32_e32 v4, v50
	v_lshlrev_b64_e32 v[36:37], 2, v[0:1]
	ds_store_b16 v2, v4
	s_and_saveexec_b32 s6, s3
	s_cbranch_execz .LBB65_39
; %bb.38:
	s_wait_alu 0xfffe
	v_add_co_u32 v0, s4, s20, v36
	s_wait_alu 0xf1ff
	v_add_co_ci_u32_e64 v1, null, s21, v37, s4
	s_delay_alu instid0(VALU_DEP_2) | instskip(SKIP_1) | instid1(VALU_DEP_2)
	v_add_co_u32 v2, s4, v0, v43
	s_wait_alu 0xf1ff
	v_add_co_ci_u32_e64 v1, null, 0, v1, s4
	s_delay_alu instid0(VALU_DEP_2) | instskip(SKIP_2) | instid1(VALU_DEP_3)
	v_add_co_u32 v3, s4, 0x80, v2
	v_mov_b32_e32 v0, 0
	s_wait_alu 0xf1ff
	v_add_co_ci_u32_e64 v4, null, 0, v1, s4
	s_delay_alu instid0(VALU_DEP_3) | instskip(NEXT) | instid1(VALU_DEP_3)
	v_cndmask_b32_e32 v3, 0, v3, vcc_lo
	v_dual_mov_b32 v1, v0 :: v_dual_mov_b32 v2, v0
	s_delay_alu instid0(VALU_DEP_3)
	v_cndmask_b32_e32 v4, s5, v4, vcc_lo
	s_clause 0x1
	scratch_store_b32 off, v0, off
	scratch_store_b96 off, v[0:2], off offset:4
	flat_load_b128 v[0:3], v[3:4]
	s_wait_loadcnt_dscnt 0x0
	ds_store_b128 v59, v[0:3]
.LBB65_39:
	s_wait_alu 0xfffe
	s_or_b32 exec_lo, exec_lo, s6
	v_lshl_add_u32 v61, v55, 2, v58
	v_sub_f32_e32 v4, v63, v35
	v_mov_b32_e32 v32, 0
	s_mov_b64 s[6:7], src_private_base
	v_add_nc_u32_e32 v58, 0x400, v51
	v_mul_lo_u32 v0, s14, v61
	v_dual_mul_f32 v5, 0x3fb8aa3b, v4 :: v_dual_and_b32 v2, 28, v57
	v_mov_b32_e32 v33, v32
	v_add_nc_u32_e32 v57, 0x800, v51
	s_delay_alu instid0(VALU_DEP_3) | instskip(NEXT) | instid1(VALU_DEP_4)
	v_fma_f32 v6, 0x3fb8aa3b, v4, -v5
	v_lshlrev_b32_e32 v64, 2, v2
	v_ashrrev_i32_e32 v1, 31, v0
	v_rndne_f32_e32 v7, v5
	v_mov_b32_e32 v34, v32
	v_fmac_f32_e32 v6, 0x32a5705f, v4
	s_delay_alu instid0(VALU_DEP_4) | instskip(NEXT) | instid1(VALU_DEP_4)
	v_lshlrev_b64_e32 v[38:39], 2, v[0:1]
	v_sub_f32_e32 v5, v5, v7
	s_clause 0x1
	scratch_store_b32 off, v32, off
	scratch_store_b96 off, v[32:34], off offset:4
	v_add_co_u32 v0, vcc_lo, s20, v38
	s_wait_alu 0xfffd
	v_add_co_ci_u32_e64 v1, null, s21, v39, vcc_lo
	s_or_b32 s20, s24, 16
	v_add_co_u32 v0, vcc_lo, v0, v64
	s_wait_alu 0xfffd
	v_add_co_ci_u32_e64 v1, null, 0, v1, vcc_lo
	v_cmp_gt_i32_e32 vcc_lo, s9, v61
	s_wait_alu 0xfffe
	s_ashr_i32 s21, s20, 31
	s_add_co_i32 s9, s9, -16
	v_add_f32_e32 v5, v5, v6
	v_cvt_i32_f32_e32 v6, v7
	s_wait_alu 0xfffd
	v_cndmask_b32_e32 v1, s7, v1, vcc_lo
	v_cndmask_b32_e32 v0, 0, v0, vcc_lo
	v_cmp_ngt_f32_e32 vcc_lo, 0xc2ce8ed0, v4
	v_exp_f32_e32 v5, v5
	v_mad_u32_u24 v62, 0xc0, v61, v64
	s_wait_alu 0xfffe
	s_mul_u64 s[14:15], s[20:21], s[14:15]
	flat_load_b128 v[0:3], v[0:1]
	s_wait_alu 0xfffe
	s_lshl_b64 s[14:15], s[14:15], 2
	s_wait_alu 0xfffe
	s_add_nc_u64 s[10:11], s[10:11], s[14:15]
	v_ldexp_f32 v5, v5, v6
	s_wait_alu 0xfffd
	s_delay_alu instid0(VALU_DEP_1) | instskip(SKIP_2) | instid1(VALU_DEP_2)
	v_cndmask_b32_e32 v5, 0, v5, vcc_lo
	v_cmp_nlt_f32_e32 vcc_lo, 0x42b17218, v4
	s_wait_alu 0xfffd
	v_cndmask_b32_e32 v55, 0x7f800000, v5, vcc_lo
	s_delay_alu instid0(VALU_DEP_1)
	v_cvt_f16_f32_e32 v4, v55
	s_wait_loadcnt_dscnt 0x0
	ds_store_b128 v62, v[0:3]
	v_and_b32_e32 v0, 0xffff, v4
	s_wait_storecnt_dscnt 0x0
	s_barrier_signal -1
	s_barrier_wait -1
	global_inv scope:SCOPE_SE
	ds_load_b128 v[67:70], v53
	ds_load_b128 v[71:74], v53 offset:16
	v_mul_u32_u24_e32 v66, 0x10001, v0
	ds_load_2addr_b64 v[28:31], v51 offset1:24
	ds_load_2addr_b64 v[24:27], v51 offset0:48 offset1:72
	ds_load_2addr_b64 v[20:23], v51 offset0:96 offset1:120
	;; [unrolled: 1-line block ×7, first 2 shown]
	s_wait_loadcnt_dscnt 0x0
	s_barrier_signal -1
	s_barrier_wait -1
	global_inv scope:SCOPE_SE
	v_lshrrev_b32_e32 v63, 16, v67
	v_lshrrev_b32_e32 v65, 16, v68
	;; [unrolled: 1-line block ×4, first 2 shown]
	v_and_b32_e32 v67, 0xffff, v67
	v_and_b32_e32 v68, 0xffff, v68
	v_and_b32_e32 v69, 0xffff, v69
	v_and_b32_e32 v70, 0xffff, v70
	v_lshrrev_b32_e32 v82, 16, v71
	v_lshrrev_b32_e32 v83, 16, v72
	;; [unrolled: 1-line block ×4, first 2 shown]
	v_and_b32_e32 v71, 0xffff, v71
	v_and_b32_e32 v86, 0xffff, v72
	;; [unrolled: 1-line block ×4, first 2 shown]
	v_mul_u32_u24_e32 v80, 0x10001, v67
	v_mul_u32_u24_e32 v79, 0x10001, v63
	;; [unrolled: 1-line block ×16, first 2 shown]
	s_and_saveexec_b32 s4, s3
	s_cbranch_execz .LBB65_41
; %bb.40:
	s_wait_alu 0xfffe
	v_add_co_u32 v36, vcc_lo, s10, v36
	s_wait_alu 0xfffd
	v_add_co_ci_u32_e64 v37, null, s11, v37, vcc_lo
	s_clause 0x1
	scratch_store_b32 off, v32, off
	scratch_store_b96 off, v[32:34], off offset:4
	v_add_co_u32 v36, vcc_lo, v36, v43
	s_wait_alu 0xfffd
	v_add_co_ci_u32_e64 v37, null, 0, v37, vcc_lo
	s_delay_alu instid0(VALU_DEP_2) | instskip(SKIP_1) | instid1(VALU_DEP_2)
	v_add_co_u32 v36, vcc_lo, 0x80, v36
	s_wait_alu 0xfffd
	v_add_co_ci_u32_e64 v37, null, 0, v37, vcc_lo
	v_cmp_gt_i32_e32 vcc_lo, s9, v42
	s_wait_alu 0xfffd
	s_delay_alu instid0(VALU_DEP_2)
	v_cndmask_b32_e32 v37, s5, v37, vcc_lo
	v_cndmask_b32_e32 v36, 0, v36, vcc_lo
	flat_load_b128 v[81:84], v[36:37]
	s_wait_loadcnt_dscnt 0x0
	ds_store_b128 v59, v[81:84]
.LBB65_41:
	s_wait_alu 0xfffe
	s_or_b32 exec_lo, exec_lo, s4
	v_add_co_u32 v36, vcc_lo, s10, v38
	s_wait_alu 0xfffd
	v_add_co_ci_u32_e64 v37, null, s11, v39, vcc_lo
	s_clause 0x1
	scratch_store_b32 off, v32, off
	scratch_store_b96 off, v[32:34], off offset:4
	v_add_co_u32 v36, vcc_lo, v36, v64
	s_wait_alu 0xfffd
	v_add_co_ci_u32_e64 v37, null, 0, v37, vcc_lo
	v_cmp_gt_i32_e32 vcc_lo, s9, v61
	v_pk_mul_f16 v28, v28, v80
	v_pk_mul_f16 v29, v29, v80
	s_wait_alu 0xfffd
	v_dual_fmac_f32 v50, v60, v55 :: v_dual_cndmask_b32 v37, s7, v37
	v_cndmask_b32_e32 v36, 0, v36, vcc_lo
	v_pk_fma_f16 v28, v54, v66, v28
	v_pk_fma_f16 v29, v56, v66, v29
	s_delay_alu instid0(VALU_DEP_4) | instskip(SKIP_3) | instid1(VALU_DEP_2)
	v_mov_b32_e32 v60, v50
	flat_load_b128 v[36:39], v[36:37]
	v_pk_fma_f16 v28, v30, v79, v28
	v_pk_fma_f16 v29, v31, v79, v29
	v_pk_fma_f16 v24, v24, v78, v28
	s_delay_alu instid0(VALU_DEP_2) | instskip(NEXT) | instid1(VALU_DEP_2)
	v_pk_fma_f16 v25, v25, v78, v29
	v_pk_fma_f16 v24, v26, v77, v24
	s_delay_alu instid0(VALU_DEP_2) | instskip(NEXT) | instid1(VALU_DEP_2)
	v_pk_fma_f16 v25, v27, v77, v25
	v_pk_fma_f16 v20, v20, v76, v24
	;; [unrolled: 3-line block ×13, first 2 shown]
	s_delay_alu instid0(VALU_DEP_2)
	v_pk_fma_f16 v22, v3, v63, v1
	s_wait_loadcnt_dscnt 0x0
	ds_store_b128 v62, v[36:39]
	s_wait_storecnt_dscnt 0x0
	s_barrier_signal -1
	s_barrier_wait -1
	global_inv scope:SCOPE_SE
	ds_load_b128 v[12:15], v53 offset:32
	ds_load_2addr_b64 v[8:11], v51 offset1:24
	ds_load_b128 v[4:7], v53 offset:48
	ds_load_2addr_b64 v[16:19], v51 offset0:48 offset1:72
	ds_load_2addr_b64 v[0:3], v51 offset0:96 offset1:120
	s_wait_dscnt 0x4
	v_and_b32_e32 v21, 0xffff, v12
	v_lshrrev_b32_e32 v12, 16, v12
	v_and_b32_e32 v23, 0xffff, v13
	v_lshrrev_b32_e32 v13, 16, v13
	s_delay_alu instid0(VALU_DEP_4) | instskip(NEXT) | instid1(VALU_DEP_4)
	v_mul_u32_u24_e32 v21, 0x10001, v21
	v_mul_u32_u24_e32 v12, 0x10001, v12
	s_delay_alu instid0(VALU_DEP_3) | instskip(SKIP_1) | instid1(VALU_DEP_3)
	v_mul_u32_u24_e32 v13, 0x10001, v13
	s_wait_dscnt 0x3
	v_pk_fma_f16 v8, v8, v21, v20
	v_pk_fma_f16 v9, v9, v21, v22
	v_mul_u32_u24_e32 v20, 0x10001, v23
	v_and_b32_e32 v22, 0xffff, v14
	v_lshrrev_b32_e32 v14, 16, v14
	v_pk_fma_f16 v21, v10, v12, v8
	v_pk_fma_f16 v12, v11, v12, v9
	ds_load_2addr_b64 v[8:11], v51 offset0:144 offset1:168
	v_mul_u32_u24_e32 v14, 0x10001, v14
	s_wait_dscnt 0x2
	v_pk_fma_f16 v16, v16, v20, v21
	v_pk_fma_f16 v12, v17, v20, v12
	v_mul_u32_u24_e32 v20, 0x10001, v22
	s_delay_alu instid0(VALU_DEP_3) | instskip(NEXT) | instid1(VALU_DEP_3)
	v_pk_fma_f16 v21, v18, v13, v16
	v_pk_fma_f16 v12, v19, v13, v12
	ds_load_2addr_b64 v[16:19], v51 offset0:192 offset1:216
	v_and_b32_e32 v13, 0xffff, v15
	s_wait_dscnt 0x2
	v_pk_fma_f16 v0, v0, v20, v21
	v_pk_fma_f16 v1, v1, v20, v12
	v_lshrrev_b32_e32 v12, 16, v15
	v_mul_u32_u24_e32 v13, 0x10001, v13
	v_and_b32_e32 v20, 0xffff, v4
	v_pk_fma_f16 v15, v2, v14, v0
	v_pk_fma_f16 v14, v3, v14, v1
	ds_load_2addr_b64 v[0:3], v58 offset0:112 offset1:136
	v_mul_u32_u24_e32 v12, 0x10001, v12
	v_lshrrev_b32_e32 v4, 16, v4
	s_wait_dscnt 0x2
	v_pk_fma_f16 v8, v8, v13, v15
	v_pk_fma_f16 v9, v9, v13, v14
	v_mul_u32_u24_e32 v13, 0x10001, v20
	v_and_b32_e32 v15, 0xffff, v5
	v_mul_u32_u24_e32 v4, 0x10001, v4
	v_pk_fma_f16 v14, v10, v12, v8
	v_pk_fma_f16 v12, v11, v12, v9
	ds_load_2addr_b64 v[8:11], v57 offset0:32 offset1:56
	v_lshrrev_b32_e32 v5, 16, v5
	s_wait_dscnt 0x2
	v_pk_fma_f16 v14, v16, v13, v14
	v_pk_fma_f16 v12, v17, v13, v12
	v_mul_u32_u24_e32 v16, 0x10001, v15
	v_mul_u32_u24_e32 v5, 0x10001, v5
	s_delay_alu instid0(VALU_DEP_4) | instskip(NEXT) | instid1(VALU_DEP_4)
	v_pk_fma_f16 v17, v18, v4, v14
	v_pk_fma_f16 v4, v19, v4, v12
	ds_load_2addr_b64 v[12:15], v57 offset0:80 offset1:104
	v_and_b32_e32 v18, 0xffff, v6
	s_wait_loadcnt_dscnt 0x0
	v_pk_fma_f16 v0, v0, v16, v17
	v_pk_fma_f16 v1, v1, v16, v4
	v_lshrrev_b32_e32 v4, 16, v6
	v_mul_u32_u24_e32 v6, 0x10001, v18
	s_barrier_signal -1
	v_pk_fma_f16 v0, v2, v5, v0
	v_pk_fma_f16 v1, v3, v5, v1
	v_and_b32_e32 v2, 0xffff, v7
	v_mul_u32_u24_e32 v3, 0x10001, v4
	v_lshrrev_b32_e32 v4, 16, v7
	v_pk_fma_f16 v0, v8, v6, v0
	v_pk_fma_f16 v1, v9, v6, v1
	v_mul_u32_u24_e32 v2, 0x10001, v2
	s_barrier_wait -1
	global_inv scope:SCOPE_SE
	v_pk_fma_f16 v0, v10, v3, v0
	v_pk_fma_f16 v1, v11, v3, v1
	v_mul_u32_u24_e32 v3, 0x10001, v4
	s_delay_alu instid0(VALU_DEP_3) | instskip(NEXT) | instid1(VALU_DEP_3)
	v_pk_fma_f16 v0, v12, v2, v0
	v_pk_fma_f16 v1, v13, v2, v1
	s_delay_alu instid0(VALU_DEP_2) | instskip(NEXT) | instid1(VALU_DEP_2)
	v_pk_fma_f16 v54, v14, v3, v0
	v_pk_fma_f16 v56, v15, v3, v1
.LBB65_42:
	v_cmp_lt_i32_e32 vcc_lo, v44, v49
	s_cmp_eq_u64 s[12:13], 0
	s_cselect_b32 s3, -1, 0
	s_cmp_lg_u32 s8, 0
	s_wait_alu 0xfffd
	v_cndmask_b32_e32 v0, v52, v44, vcc_lo
	v_cmp_lt_i32_e32 vcc_lo, v45, v49
	s_cselect_b32 s4, -1, 0
	s_wait_alu 0xfffe
	s_or_b32 s3, s4, s3
	s_wait_alu 0xfffd
	v_cndmask_b32_e32 v1, v52, v45, vcc_lo
	v_cmp_lt_i32_e32 vcc_lo, v46, v49
	s_wait_alu 0xfffd
	v_cndmask_b32_e32 v2, v52, v46, vcc_lo
	v_cmp_lt_i32_e32 vcc_lo, v47, v49
	s_delay_alu instid0(VALU_DEP_2)
	v_lshlrev_b32_e32 v2, 2, v2
	v_lshlrev_b32_e32 v1, 2, v1
	;; [unrolled: 1-line block ×3, first 2 shown]
	ds_bpermute_b32 v0, v0, v60
	s_wait_dscnt 0x0
	v_add_f32_e32 v0, v60, v0
	ds_bpermute_b32 v1, v1, v0
	s_wait_dscnt 0x0
	v_add_f32_e32 v0, v0, v1
	ds_bpermute_b32 v1, v2, v0
	s_wait_alu 0xfffd
	v_cndmask_b32_e32 v2, v52, v47, vcc_lo
	v_cmp_lt_i32_e32 vcc_lo, v48, v49
	s_delay_alu instid0(VALU_DEP_2)
	v_lshlrev_b32_e32 v2, 2, v2
	s_wait_dscnt 0x0
	v_add_f32_e32 v0, v0, v1
	ds_bpermute_b32 v1, v2, v0
	s_wait_alu 0xfffd
	v_cndmask_b32_e32 v2, v52, v48, vcc_lo
	s_wait_alu 0xfffe
	s_and_b32 vcc_lo, exec_lo, s3
	s_delay_alu instid0(VALU_DEP_1)
	v_lshlrev_b32_e32 v2, 2, v2
	s_wait_dscnt 0x0
	v_add_f32_e32 v0, v0, v1
	ds_bpermute_b32 v1, v2, v0
	s_wait_dscnt 0x0
	v_add_f32_e32 v36, v0, v1
	s_wait_alu 0xfffe
	s_cbranch_vccnz .LBB65_44
; %bb.43:
	v_dual_mov_b32 v0, 0 :: v_dual_max_num_f32 v1, v35, v35
	s_lshl_b64 s[4:5], s[30:31], 2
	s_wait_alu 0xfffe
	s_add_nc_u64 s[4:5], s[12:13], s[4:5]
	global_load_b32 v0, v0, s[4:5]
	s_wait_loadcnt 0x0
	v_max_num_f32_e32 v2, v0, v0
	s_delay_alu instid0(VALU_DEP_1) | instskip(NEXT) | instid1(VALU_DEP_1)
	v_max_num_f32_e32 v1, v1, v2
	v_sub_f32_e32 v0, v0, v1
	s_delay_alu instid0(VALU_DEP_1) | instskip(NEXT) | instid1(VALU_DEP_1)
	v_mul_f32_e32 v6, 0x3fb8aa3b, v0
	v_fma_f32 v7, 0x3fb8aa3b, v0, -v6
	v_sub_f32_e32 v2, v35, v1
	v_rndne_f32_e32 v8, v6
	v_mov_b32_e32 v35, v1
	s_delay_alu instid0(VALU_DEP_4) | instskip(NEXT) | instid1(VALU_DEP_4)
	v_fmac_f32_e32 v7, 0x32a5705f, v0
	v_mul_f32_e32 v3, 0x3fb8aa3b, v2
	v_cmp_ngt_f32_e32 vcc_lo, 0xc2ce8ed0, v2
	s_delay_alu instid0(VALU_DEP_2) | instskip(SKIP_1) | instid1(VALU_DEP_1)
	v_fma_f32 v4, 0x3fb8aa3b, v2, -v3
	v_rndne_f32_e32 v5, v3
	v_dual_fmac_f32 v4, 0x32a5705f, v2 :: v_dual_sub_f32 v3, v3, v5
	v_cvt_i32_f32_e32 v5, v5
	s_delay_alu instid0(VALU_DEP_2) | instskip(SKIP_1) | instid1(VALU_DEP_2)
	v_add_f32_e32 v3, v3, v4
	v_sub_f32_e32 v4, v6, v8
	v_exp_f32_e32 v3, v3
	s_delay_alu instid0(VALU_DEP_1) | instskip(NEXT) | instid1(VALU_DEP_1)
	v_add_f32_e32 v4, v4, v7
	v_exp_f32_e32 v4, v4
	s_delay_alu instid0(TRANS32_DEP_2) | instskip(SKIP_2) | instid1(VALU_DEP_2)
	v_ldexp_f32 v3, v3, v5
	v_cvt_i32_f32_e32 v5, v8
	s_wait_alu 0xfffd
	v_cndmask_b32_e32 v3, 0, v3, vcc_lo
	v_cmp_nlt_f32_e32 vcc_lo, 0x42b17218, v2
	s_delay_alu instid0(TRANS32_DEP_1) | instid1(VALU_DEP_3)
	v_ldexp_f32 v4, v4, v5
	s_wait_alu 0xfffd
	s_delay_alu instid0(VALU_DEP_3)
	v_cndmask_b32_e32 v2, 0x7f800000, v3, vcc_lo
	v_cmp_ngt_f32_e32 vcc_lo, 0xc2ce8ed0, v0
	s_wait_alu 0xfffd
	v_cndmask_b32_e32 v3, 0, v4, vcc_lo
	v_cmp_nlt_f32_e32 vcc_lo, 0x42b17218, v0
	v_cvt_f16_f32_e32 v4, v2
	s_wait_alu 0xfffd
	s_delay_alu instid0(VALU_DEP_3) | instskip(NEXT) | instid1(VALU_DEP_1)
	v_cndmask_b32_e32 v0, 0x7f800000, v3, vcc_lo
	v_dual_fmac_f32 v0, v36, v2 :: v_dual_and_b32 v3, 0xffff, v4
	s_delay_alu instid0(VALU_DEP_1) | instskip(NEXT) | instid1(VALU_DEP_2)
	v_mov_b32_e32 v36, v0
	v_mul_u32_u24_e32 v2, 0x10001, v3
	s_delay_alu instid0(VALU_DEP_1)
	v_pk_mul_f16 v54, v54, v2
	v_pk_mul_f16 v56, v56, v2
.LBB65_44:
	s_mov_b32 s3, exec_lo
	v_cmpx_gt_i32_e64 s22, v41
	s_cbranch_execz .LBB65_49
; %bb.45:
	s_load_b32 s0, s[0:1], 0xd4
	v_mad_co_u64_u32 v[0:1], null, s28, s22, v[41:42]
	s_delay_alu instid0(VALU_DEP_1) | instskip(SKIP_1) | instid1(VALU_DEP_1)
	v_mad_co_u64_u32 v[0:1], null, v0, s23, s[30:31]
	s_wait_kmcnt 0x0
	v_mad_co_u64_u32 v[0:1], null, s0, v0, s[8:9]
	s_cmp_lg_u32 s0, 1
	s_cselect_b32 s0, -1, 0
	s_and_saveexec_b32 s1, s2
	s_cbranch_execz .LBB65_47
; %bb.46:
	v_div_scale_f32 v1, null, v36, v36, 1.0
	v_div_scale_f32 v4, vcc_lo, 1.0, v36, 1.0
	v_lshrrev_b32_e32 v6, 16, v54
	s_delay_alu instid0(VALU_DEP_3) | instskip(SKIP_1) | instid1(VALU_DEP_2)
	v_rcp_f32_e32 v2, v1
	v_cvt_f32_f16_e32 v9, v54
	v_cvt_f32_f16_e32 v8, v6
	s_delay_alu instid0(TRANS32_DEP_1) | instskip(NEXT) | instid1(VALU_DEP_1)
	v_fma_f32 v3, -v1, v2, 1.0
	v_fmac_f32_e32 v2, v3, v2
	s_delay_alu instid0(VALU_DEP_1) | instskip(NEXT) | instid1(VALU_DEP_1)
	v_mul_f32_e32 v3, v4, v2
	v_fma_f32 v5, -v1, v3, v4
	s_delay_alu instid0(VALU_DEP_1) | instskip(NEXT) | instid1(VALU_DEP_1)
	v_fmac_f32_e32 v3, v5, v2
	v_fma_f32 v1, -v1, v3, v4
	v_lshrrev_b32_e32 v4, 16, v56
	s_wait_alu 0xfffd
	s_delay_alu instid0(VALU_DEP_2) | instskip(SKIP_3) | instid1(VALU_DEP_4)
	v_div_fmas_f32 v1, v1, v2, v3
	v_mul_lo_u32 v3, 0x60, v0
	v_mov_b32_e32 v2, 0
	v_cvt_f32_f16_e32 v4, v4
	v_div_fixup_f32 v5, v1, v36, 1.0
	s_delay_alu instid0(VALU_DEP_4) | instskip(SKIP_1) | instid1(VALU_DEP_2)
	v_lshl_add_u32 v1, v40, 2, v3
	s_wait_alu 0xfffe
	v_cndmask_b32_e64 v7, v5, 1.0, s0
	v_cvt_f32_f16_e32 v3, v56
	s_delay_alu instid0(VALU_DEP_3) | instskip(NEXT) | instid1(VALU_DEP_3)
	v_lshlrev_b64_e32 v[5:6], 2, v[1:2]
	v_mul_f32_e32 v4, v7, v4
	s_delay_alu instid0(VALU_DEP_3)
	v_mul_f32_e32 v3, v7, v3
	v_mul_f32_e32 v2, v7, v8
	;; [unrolled: 1-line block ×3, first 2 shown]
	v_add_co_u32 v5, vcc_lo, s16, v5
	s_wait_alu 0xfffd
	v_add_co_ci_u32_e64 v6, null, s17, v6, vcc_lo
	global_store_b128 v[5:6], v[1:4], off
.LBB65_47:
	s_wait_alu 0xfffe
	s_or_b32 exec_lo, exec_lo, s1
	v_cmp_eq_u32_e32 vcc_lo, 0, v40
	s_and_b32 s0, vcc_lo, s0
	s_wait_alu 0xfffe
	s_and_b32 exec_lo, exec_lo, s0
	s_cbranch_execz .LBB65_49
; %bb.48:
	v_ashrrev_i32_e32 v1, 31, v0
	s_delay_alu instid0(VALU_DEP_1) | instskip(NEXT) | instid1(VALU_DEP_1)
	v_lshlrev_b64_e32 v[0:1], 3, v[0:1]
	v_add_co_u32 v0, vcc_lo, s18, v0
	s_wait_alu 0xfffd
	s_delay_alu instid0(VALU_DEP_2)
	v_add_co_ci_u32_e64 v1, null, s19, v1, vcc_lo
	global_store_b64 v[0:1], v[35:36], off
.LBB65_49:
	s_endpgm
	.section	.rodata,"a",@progbits
	.p2align	6, 0x0
	.amdhsa_kernel _ZL15flash_attn_tileILi96ELi96ELi4ELi1ELb0EEvPKcS1_S1_S1_S1_PKiPfP15HIP_vector_typeIfLj2EEffffjfiS5_IjLj3EEiiiiiiiiiiiliiliiiiil
		.amdhsa_group_segment_fixed_size 4736
		.amdhsa_private_segment_fixed_size 32
		.amdhsa_kernarg_size 464
		.amdhsa_user_sgpr_count 2
		.amdhsa_user_sgpr_dispatch_ptr 0
		.amdhsa_user_sgpr_queue_ptr 0
		.amdhsa_user_sgpr_kernarg_segment_ptr 1
		.amdhsa_user_sgpr_dispatch_id 0
		.amdhsa_user_sgpr_private_segment_size 0
		.amdhsa_wavefront_size32 1
		.amdhsa_uses_dynamic_stack 0
		.amdhsa_enable_private_segment 1
		.amdhsa_system_sgpr_workgroup_id_x 1
		.amdhsa_system_sgpr_workgroup_id_y 1
		.amdhsa_system_sgpr_workgroup_id_z 1
		.amdhsa_system_sgpr_workgroup_info 0
		.amdhsa_system_vgpr_workitem_id 1
		.amdhsa_next_free_vgpr 89
		.amdhsa_next_free_sgpr 46
		.amdhsa_reserve_vcc 1
		.amdhsa_float_round_mode_32 0
		.amdhsa_float_round_mode_16_64 0
		.amdhsa_float_denorm_mode_32 3
		.amdhsa_float_denorm_mode_16_64 3
		.amdhsa_fp16_overflow 0
		.amdhsa_workgroup_processor_mode 1
		.amdhsa_memory_ordered 1
		.amdhsa_forward_progress 1
		.amdhsa_inst_pref_size 86
		.amdhsa_round_robin_scheduling 0
		.amdhsa_exception_fp_ieee_invalid_op 0
		.amdhsa_exception_fp_denorm_src 0
		.amdhsa_exception_fp_ieee_div_zero 0
		.amdhsa_exception_fp_ieee_overflow 0
		.amdhsa_exception_fp_ieee_underflow 0
		.amdhsa_exception_fp_ieee_inexact 0
		.amdhsa_exception_int_div_zero 0
	.end_amdhsa_kernel
	.section	.text._ZL15flash_attn_tileILi96ELi96ELi4ELi1ELb0EEvPKcS1_S1_S1_S1_PKiPfP15HIP_vector_typeIfLj2EEffffjfiS5_IjLj3EEiiiiiiiiiiiliiliiiiil,"axG",@progbits,_ZL15flash_attn_tileILi96ELi96ELi4ELi1ELb0EEvPKcS1_S1_S1_S1_PKiPfP15HIP_vector_typeIfLj2EEffffjfiS5_IjLj3EEiiiiiiiiiiiliiliiiiil,comdat
.Lfunc_end65:
	.size	_ZL15flash_attn_tileILi96ELi96ELi4ELi1ELb0EEvPKcS1_S1_S1_S1_PKiPfP15HIP_vector_typeIfLj2EEffffjfiS5_IjLj3EEiiiiiiiiiiiliiliiiiil, .Lfunc_end65-_ZL15flash_attn_tileILi96ELi96ELi4ELi1ELb0EEvPKcS1_S1_S1_S1_PKiPfP15HIP_vector_typeIfLj2EEffffjfiS5_IjLj3EEiiiiiiiiiiiliiliiiiil
                                        ; -- End function
	.set _ZL15flash_attn_tileILi96ELi96ELi4ELi1ELb0EEvPKcS1_S1_S1_S1_PKiPfP15HIP_vector_typeIfLj2EEffffjfiS5_IjLj3EEiiiiiiiiiiiliiliiiiil.num_vgpr, 89
	.set _ZL15flash_attn_tileILi96ELi96ELi4ELi1ELb0EEvPKcS1_S1_S1_S1_PKiPfP15HIP_vector_typeIfLj2EEffffjfiS5_IjLj3EEiiiiiiiiiiiliiliiiiil.num_agpr, 0
	.set _ZL15flash_attn_tileILi96ELi96ELi4ELi1ELb0EEvPKcS1_S1_S1_S1_PKiPfP15HIP_vector_typeIfLj2EEffffjfiS5_IjLj3EEiiiiiiiiiiiliiliiiiil.numbered_sgpr, 46
	.set _ZL15flash_attn_tileILi96ELi96ELi4ELi1ELb0EEvPKcS1_S1_S1_S1_PKiPfP15HIP_vector_typeIfLj2EEffffjfiS5_IjLj3EEiiiiiiiiiiiliiliiiiil.num_named_barrier, 0
	.set _ZL15flash_attn_tileILi96ELi96ELi4ELi1ELb0EEvPKcS1_S1_S1_S1_PKiPfP15HIP_vector_typeIfLj2EEffffjfiS5_IjLj3EEiiiiiiiiiiiliiliiiiil.private_seg_size, 32
	.set _ZL15flash_attn_tileILi96ELi96ELi4ELi1ELb0EEvPKcS1_S1_S1_S1_PKiPfP15HIP_vector_typeIfLj2EEffffjfiS5_IjLj3EEiiiiiiiiiiiliiliiiiil.uses_vcc, 1
	.set _ZL15flash_attn_tileILi96ELi96ELi4ELi1ELb0EEvPKcS1_S1_S1_S1_PKiPfP15HIP_vector_typeIfLj2EEffffjfiS5_IjLj3EEiiiiiiiiiiiliiliiiiil.uses_flat_scratch, 1
	.set _ZL15flash_attn_tileILi96ELi96ELi4ELi1ELb0EEvPKcS1_S1_S1_S1_PKiPfP15HIP_vector_typeIfLj2EEffffjfiS5_IjLj3EEiiiiiiiiiiiliiliiiiil.has_dyn_sized_stack, 0
	.set _ZL15flash_attn_tileILi96ELi96ELi4ELi1ELb0EEvPKcS1_S1_S1_S1_PKiPfP15HIP_vector_typeIfLj2EEffffjfiS5_IjLj3EEiiiiiiiiiiiliiliiiiil.has_recursion, 0
	.set _ZL15flash_attn_tileILi96ELi96ELi4ELi1ELb0EEvPKcS1_S1_S1_S1_PKiPfP15HIP_vector_typeIfLj2EEffffjfiS5_IjLj3EEiiiiiiiiiiiliiliiiiil.has_indirect_call, 0
	.section	.AMDGPU.csdata,"",@progbits
; Kernel info:
; codeLenInByte = 10968
; TotalNumSgprs: 48
; NumVgprs: 89
; ScratchSize: 32
; MemoryBound: 0
; FloatMode: 240
; IeeeMode: 1
; LDSByteSize: 4736 bytes/workgroup (compile time only)
; SGPRBlocks: 0
; VGPRBlocks: 11
; NumSGPRsForWavesPerEU: 48
; NumVGPRsForWavesPerEU: 89
; Occupancy: 16
; WaveLimiterHint : 1
; COMPUTE_PGM_RSRC2:SCRATCH_EN: 1
; COMPUTE_PGM_RSRC2:USER_SGPR: 2
; COMPUTE_PGM_RSRC2:TRAP_HANDLER: 0
; COMPUTE_PGM_RSRC2:TGID_X_EN: 1
; COMPUTE_PGM_RSRC2:TGID_Y_EN: 1
; COMPUTE_PGM_RSRC2:TGID_Z_EN: 1
; COMPUTE_PGM_RSRC2:TIDIG_COMP_CNT: 1
	.section	.text._ZL33flash_attn_stream_k_fixup_uniformILi96ELi4ELi1EEvPfPK15HIP_vector_typeIfLj2EEiiiiiiS1_IjLj3EES5_S5_,"axG",@progbits,_ZL33flash_attn_stream_k_fixup_uniformILi96ELi4ELi1EEvPfPK15HIP_vector_typeIfLj2EEiiiiiiS1_IjLj3EES5_S5_,comdat
	.globl	_ZL33flash_attn_stream_k_fixup_uniformILi96ELi4ELi1EEvPfPK15HIP_vector_typeIfLj2EEiiiiiiS1_IjLj3EES5_S5_ ; -- Begin function _ZL33flash_attn_stream_k_fixup_uniformILi96ELi4ELi1EEvPfPK15HIP_vector_typeIfLj2EEiiiiiiS1_IjLj3EES5_S5_
	.p2align	8
	.type	_ZL33flash_attn_stream_k_fixup_uniformILi96ELi4ELi1EEvPfPK15HIP_vector_typeIfLj2EEiiiiiiS1_IjLj3EES5_S5_,@function
_ZL33flash_attn_stream_k_fixup_uniformILi96ELi4ELi1EEvPfPK15HIP_vector_typeIfLj2EEiiiiiiS1_IjLj3EES5_S5_: ; @_ZL33flash_attn_stream_k_fixup_uniformILi96ELi4ELi1EEvPfPK15HIP_vector_typeIfLj2EEiiiiiiS1_IjLj3EES5_S5_
; %bb.0:
	s_clause 0x1
	s_load_b256 s[4:11], s[0:1], 0x1c
	s_load_b128 s[12:15], s[0:1], 0x3c
	s_wait_kmcnt 0x0
	s_mul_hi_u32 s2, s7, ttmp9
	s_delay_alu instid0(SALU_CYCLE_1) | instskip(NEXT) | instid1(SALU_CYCLE_1)
	s_add_co_i32 s2, ttmp9, s2
	s_lshr_b32 s2, s2, s8
	s_delay_alu instid0(SALU_CYCLE_1) | instskip(SKIP_2) | instid1(SALU_CYCLE_1)
	s_mul_i32 s3, s2, s9
	s_load_b64 s[8:9], s[0:1], 0x10
	s_sub_co_i32 s3, ttmp9, s3
	s_mul_hi_u32 s7, s3, s10
	s_delay_alu instid0(SALU_CYCLE_1) | instskip(NEXT) | instid1(SALU_CYCLE_1)
	s_add_co_i32 s7, s3, s7
	s_lshr_b32 s7, s7, s11
	s_lshr_b32 s11, ttmp7, 16
	s_mul_i32 s10, s7, s12
	s_delay_alu instid0(SALU_CYCLE_1) | instskip(NEXT) | instid1(SALU_CYCLE_1)
	s_sub_co_i32 s3, s3, s10
	s_mul_hi_u32 s10, s3, s13
	s_delay_alu instid0(SALU_CYCLE_1) | instskip(NEXT) | instid1(SALU_CYCLE_1)
	s_add_co_i32 s10, s3, s10
	s_lshr_b32 s13, s10, s14
	s_delay_alu instid0(SALU_CYCLE_1) | instskip(NEXT) | instid1(SALU_CYCLE_1)
	s_mul_i32 s10, s13, s15
	s_sub_co_i32 s12, s3, s10
	s_and_b32 s10, ttmp7, 0xffff
	s_lshl_b32 s3, s12, 2
	s_delay_alu instid0(SALU_CYCLE_1) | instskip(SKIP_4) | instid1(SALU_CYCLE_1)
	s_add_co_i32 s3, s3, s10
	s_wait_kmcnt 0x0
	s_cmp_lt_i32 s3, s8
	s_cselect_b32 s3, -1, 0
	s_add_co_i32 s13, s13, s11
	s_cmp_lt_i32 s13, s5
	s_cselect_b32 s14, -1, 0
	s_delay_alu instid0(SALU_CYCLE_1) | instskip(NEXT) | instid1(SALU_CYCLE_1)
	s_and_b32 s3, s3, s14
	s_and_not1_b32 vcc_lo, exec_lo, s3
	s_cbranch_vccnz .LBB66_6
; %bb.1:
	s_mul_i32 s8, s2, s8
	s_mul_i32 s7, s7, s5
	s_add_co_i32 s8, s8, s10
	s_add_co_i32 s5, s13, s7
	s_mul_i32 s8, s8, s9
	s_load_b128 s[0:3], s[0:1], 0x0
	s_mul_i32 s7, s9, s12
	s_add_co_i32 s5, s5, s8
	s_mulk_i32 s7, 0x180
	s_mulk_i32 s5, 0x60
	s_add_co_i32 s10, s10, s11
	v_add3_u32 v1, s5, s7, v0
	s_mul_i32 s7, s6, ttmp9
	s_wait_alu 0xfffe
	s_add_co_i32 s5, s7, s6
	s_delay_alu instid0(VALU_DEP_1) | instskip(SKIP_2) | instid1(VALU_DEP_1)
	v_ashrrev_i32_e32 v2, 31, v1
	s_wait_alu 0xfffe
	s_add_co_i32 s8, s5, -2
	v_lshlrev_b64_e32 v[1:2], 2, v[1:2]
	s_wait_kmcnt 0x0
	s_delay_alu instid0(VALU_DEP_1) | instskip(NEXT) | instid1(VALU_DEP_1)
	v_add_co_u32 v1, vcc_lo, s0, v1
	v_add_co_ci_u32_e64 v2, null, s1, v2, vcc_lo
	s_lshl_b32 s0, s5, 2
	s_wait_alu 0xfffe
	s_add_co_i32 s0, s10, s0
	global_load_b32 v5, v[1:2], off
	s_wait_alu 0xfffe
	s_add_co_i32 s0, s0, -4
	s_wait_alu 0xfffe
	s_ashr_i32 s1, s0, 31
	s_wait_alu 0xfffe
	s_lshl_b64 s[0:1], s[0:1], 3
	s_cmp_lt_i32 s8, s7
	s_wait_alu 0xfffe
	s_add_nc_u64 s[0:1], s[2:3], s[0:1]
	s_load_b32 s11, s[0:1], 0x4
	s_cbranch_scc1 .LBB66_4
; %bb.2:
	s_load_b32 s0, s[0:1], 0x0
	s_add_co_i32 s1, ttmp9, 1
	s_lshl_b32 s8, s4, 4
	s_wait_alu 0xfffe
	s_mul_i32 s1, s6, s1
	s_mul_i32 s6, s10, 0x60
	s_wait_alu 0xfffe
	s_lshl_b32 s12, s1, 2
	s_mulk_i32 s1, 0x180
	s_ashr_i32 s9, s8, 31
	s_wait_alu 0xfffe
	s_add_co_i32 s6, s6, s1
	s_add_co_i32 s10, s10, s12
	s_lshl_b32 s1, s4, 2
	s_wait_alu 0xfffe
	v_add3_u32 v3, s6, v0, 0xfffffd00
	s_wait_kmcnt 0x0
	v_mov_b32_e32 v6, s11
	s_lshl_b64 s[8:9], s[8:9], 2
	s_add_co_i32 s4, s10, s1
	s_add_nc_u64 s[8:9], s[2:3], s[8:9]
	s_add_co_i32 s1, s5, -1
	s_wait_alu 0xfffe
	s_add_co_i32 s4, s4, -8
.LBB66_3:                               ; =>This Inner Loop Header: Depth=1
	v_ashrrev_i32_e32 v4, 31, v3
	s_wait_alu 0xfffe
	s_ashr_i32 s5, s4, 31
	v_mov_b32_e32 v10, v6
	s_wait_alu 0xfffe
	s_lshl_b64 s[10:11], s[4:5], 3
	s_wait_loadcnt 0x0
	v_mov_b32_e32 v9, v5
	v_lshlrev_b64_e32 v[7:8], 2, v[3:4]
	s_wait_alu 0xfffe
	s_add_nc_u64 s[10:11], s[2:3], s[10:11]
	v_max_num_f32_e64 v4, s0, s0
	s_load_b64 s[10:11], s[10:11], 0x0
	v_add_nc_u32_e32 v3, 0xfffffe80, v3
	v_add_co_u32 v7, vcc_lo, s8, v7
	s_wait_alu 0xfffd
	v_add_co_ci_u32_e64 v8, null, s9, v8, vcc_lo
	v_readfirstlane_b32 s5, v4
	global_load_b32 v0, v[7:8], off
	s_wait_kmcnt 0x0
	v_max_num_f32_e64 v4, s10, s10
	s_delay_alu instid0(VALU_DEP_1) | instskip(SKIP_2) | instid1(SALU_CYCLE_2)
	v_readfirstlane_b32 s6, v4
	s_max_num_f32 s5, s5, s6
	s_wait_alu 0xfffe
	s_sub_f32 s0, s0, s5
	s_sub_f32 s6, s10, s5
	s_wait_alu 0xfffe
	s_delay_alu instid0(SALU_CYCLE_1) | instskip(NEXT) | instid1(SALU_CYCLE_1)
	s_mul_f32 s10, s0, 0x3fb8aa3b
	s_mul_f32 s12, s6, 0x3fb8aa3b
	s_wait_alu 0xfffe
	s_delay_alu instid0(SALU_CYCLE_1)
	s_xor_b32 s13, s10, 0x80000000
	s_rndne_f32 s14, s10
	s_fmamk_f32 s13, s0, 0x3fb8aa3b, s13
	s_cmp_nlt_f32 s0, 0xc2ce8ed0
	s_rndne_f32 s15, s12
	s_wait_alu 0xfffe
	s_sub_f32 s10, s10, s14
	s_fmamk_f32 s13, s0, 0x32a5705f, s13
	s_cvt_i32_f32 s14, s14
	s_cselect_b32 vcc_lo, -1, 0
	s_cmp_ngt_f32 s0, 0x42b17218
	s_wait_alu 0xfffe
	s_add_f32 s10, s10, s13
	s_sub_f32 s13, s12, s15
	s_wait_alu 0xfffe
	s_delay_alu instid0(SALU_CYCLE_1) | instskip(SKIP_1) | instid1(TRANS32_DEP_1)
	v_s_exp_f32 s10, s10
	s_wait_alu 0xf1ff
	v_ldexp_f32 v4, s10, s14
	s_cvt_i32_f32 s10, s15
	s_delay_alu instid0(VALU_DEP_1) | instskip(SKIP_3) | instid1(VALU_DEP_1)
	v_cndmask_b32_e32 v4, 0, v4, vcc_lo
	s_cselect_b32 vcc_lo, -1, 0
	s_cmp_ge_f32 s0, 0xc1a00000
	s_wait_alu 0xfffe
	v_cndmask_b32_e32 v4, 0x7f800000, v4, vcc_lo
	s_cselect_b32 vcc_lo, -1, 0
	s_xor_b32 s0, s12, 0x80000000
	s_cmp_nlt_f32 s6, 0xc2ce8ed0
	s_wait_alu 0xfffe
	s_fmamk_f32 s0, s6, 0x3fb8aa3b, s0
	s_wait_alu 0xfffe
	s_delay_alu instid0(SALU_CYCLE_2) | instskip(SKIP_1) | instid1(SALU_CYCLE_2)
	s_fmamk_f32 s0, s6, 0x32a5705f, s0
	s_wait_alu 0xfffe
	s_add_f32 s0, s13, s0
	s_wait_alu 0xfffe
	s_delay_alu instid0(SALU_CYCLE_2) | instskip(SKIP_1) | instid1(TRANS32_DEP_1)
	v_s_exp_f32 s0, s0
	s_wait_alu 0xf1ff
	v_ldexp_f32 v7, s0, s10
	s_cselect_b32 s0, -1, 0
	s_cmp_ngt_f32 s6, 0x42b17218
	s_wait_alu 0xfffe
	s_delay_alu instid0(VALU_DEP_1) | instskip(SKIP_3) | instid1(VALU_DEP_1)
	v_cndmask_b32_e64 v7, 0, v7, s0
	s_cselect_b32 s0, -1, 0
	s_cmp_ge_f32 s6, 0xc1a00000
	s_wait_alu 0xfffe
	v_cndmask_b32_e64 v7, 0x7f800000, v7, s0
	s_cselect_b32 s0, -1, 0
	s_add_co_i32 s1, s1, -1
	s_add_co_i32 s4, s4, -4
	s_wait_alu 0xfffe
	s_cmp_le_i32 s1, s7
	v_cndmask_b32_e64 v7, 0, v7, s0
	s_mov_b32 s0, s5
	s_wait_loadcnt 0x0
	s_delay_alu instid0(VALU_DEP_1) | instskip(NEXT) | instid1(VALU_DEP_1)
	v_dual_mul_f32 v5, v0, v7 :: v_dual_cndmask_b32 v4, 0, v4
	v_dual_mul_f32 v8, s11, v7 :: v_dual_fmac_f32 v5, v9, v4
	s_delay_alu instid0(VALU_DEP_1) | instskip(NEXT) | instid1(VALU_DEP_1)
	v_mov_b32_e32 v6, v8
	v_fmac_f32_e32 v6, v10, v4
	s_cbranch_scc0 .LBB66_3
	s_branch .LBB66_5
.LBB66_4:
	s_wait_kmcnt 0x0
	v_mov_b32_e32 v6, s11
.LBB66_5:
	s_wait_loadcnt 0x0
	s_delay_alu instid0(VALU_DEP_1) | instskip(NEXT) | instid1(VALU_DEP_1)
	v_div_scale_f32 v0, null, v6, v6, v5
	v_rcp_f32_e32 v3, v0
	s_delay_alu instid0(TRANS32_DEP_1) | instskip(NEXT) | instid1(VALU_DEP_1)
	v_fma_f32 v4, -v0, v3, 1.0
	v_fmac_f32_e32 v3, v4, v3
	v_div_scale_f32 v4, vcc_lo, v5, v6, v5
	s_delay_alu instid0(VALU_DEP_1) | instskip(NEXT) | instid1(VALU_DEP_1)
	v_mul_f32_e32 v7, v4, v3
	v_fma_f32 v8, -v0, v7, v4
	s_delay_alu instid0(VALU_DEP_1) | instskip(NEXT) | instid1(VALU_DEP_1)
	v_fmac_f32_e32 v7, v8, v3
	v_fma_f32 v0, -v0, v7, v4
	s_wait_alu 0xfffd
	s_delay_alu instid0(VALU_DEP_1) | instskip(NEXT) | instid1(VALU_DEP_1)
	v_div_fmas_f32 v0, v0, v3, v7
	v_div_fixup_f32 v0, v0, v6, v5
	global_store_b32 v[1:2], v0, off
.LBB66_6:
	s_endpgm
	.section	.rodata,"a",@progbits
	.p2align	6, 0x0
	.amdhsa_kernel _ZL33flash_attn_stream_k_fixup_uniformILi96ELi4ELi1EEvPfPK15HIP_vector_typeIfLj2EEiiiiiiS1_IjLj3EES5_S5_
		.amdhsa_group_segment_fixed_size 0
		.amdhsa_private_segment_fixed_size 0
		.amdhsa_kernarg_size 76
		.amdhsa_user_sgpr_count 2
		.amdhsa_user_sgpr_dispatch_ptr 0
		.amdhsa_user_sgpr_queue_ptr 0
		.amdhsa_user_sgpr_kernarg_segment_ptr 1
		.amdhsa_user_sgpr_dispatch_id 0
		.amdhsa_user_sgpr_private_segment_size 0
		.amdhsa_wavefront_size32 1
		.amdhsa_uses_dynamic_stack 0
		.amdhsa_enable_private_segment 0
		.amdhsa_system_sgpr_workgroup_id_x 1
		.amdhsa_system_sgpr_workgroup_id_y 1
		.amdhsa_system_sgpr_workgroup_id_z 1
		.amdhsa_system_sgpr_workgroup_info 0
		.amdhsa_system_vgpr_workitem_id 0
		.amdhsa_next_free_vgpr 11
		.amdhsa_next_free_sgpr 16
		.amdhsa_reserve_vcc 1
		.amdhsa_float_round_mode_32 0
		.amdhsa_float_round_mode_16_64 0
		.amdhsa_float_denorm_mode_32 3
		.amdhsa_float_denorm_mode_16_64 3
		.amdhsa_fp16_overflow 0
		.amdhsa_workgroup_processor_mode 1
		.amdhsa_memory_ordered 1
		.amdhsa_forward_progress 1
		.amdhsa_inst_pref_size 9
		.amdhsa_round_robin_scheduling 0
		.amdhsa_exception_fp_ieee_invalid_op 0
		.amdhsa_exception_fp_denorm_src 0
		.amdhsa_exception_fp_ieee_div_zero 0
		.amdhsa_exception_fp_ieee_overflow 0
		.amdhsa_exception_fp_ieee_underflow 0
		.amdhsa_exception_fp_ieee_inexact 0
		.amdhsa_exception_int_div_zero 0
	.end_amdhsa_kernel
	.section	.text._ZL33flash_attn_stream_k_fixup_uniformILi96ELi4ELi1EEvPfPK15HIP_vector_typeIfLj2EEiiiiiiS1_IjLj3EES5_S5_,"axG",@progbits,_ZL33flash_attn_stream_k_fixup_uniformILi96ELi4ELi1EEvPfPK15HIP_vector_typeIfLj2EEiiiiiiS1_IjLj3EES5_S5_,comdat
.Lfunc_end66:
	.size	_ZL33flash_attn_stream_k_fixup_uniformILi96ELi4ELi1EEvPfPK15HIP_vector_typeIfLj2EEiiiiiiS1_IjLj3EES5_S5_, .Lfunc_end66-_ZL33flash_attn_stream_k_fixup_uniformILi96ELi4ELi1EEvPfPK15HIP_vector_typeIfLj2EEiiiiiiS1_IjLj3EES5_S5_
                                        ; -- End function
	.set _ZL33flash_attn_stream_k_fixup_uniformILi96ELi4ELi1EEvPfPK15HIP_vector_typeIfLj2EEiiiiiiS1_IjLj3EES5_S5_.num_vgpr, 11
	.set _ZL33flash_attn_stream_k_fixup_uniformILi96ELi4ELi1EEvPfPK15HIP_vector_typeIfLj2EEiiiiiiS1_IjLj3EES5_S5_.num_agpr, 0
	.set _ZL33flash_attn_stream_k_fixup_uniformILi96ELi4ELi1EEvPfPK15HIP_vector_typeIfLj2EEiiiiiiS1_IjLj3EES5_S5_.numbered_sgpr, 16
	.set _ZL33flash_attn_stream_k_fixup_uniformILi96ELi4ELi1EEvPfPK15HIP_vector_typeIfLj2EEiiiiiiS1_IjLj3EES5_S5_.num_named_barrier, 0
	.set _ZL33flash_attn_stream_k_fixup_uniformILi96ELi4ELi1EEvPfPK15HIP_vector_typeIfLj2EEiiiiiiS1_IjLj3EES5_S5_.private_seg_size, 0
	.set _ZL33flash_attn_stream_k_fixup_uniformILi96ELi4ELi1EEvPfPK15HIP_vector_typeIfLj2EEiiiiiiS1_IjLj3EES5_S5_.uses_vcc, 1
	.set _ZL33flash_attn_stream_k_fixup_uniformILi96ELi4ELi1EEvPfPK15HIP_vector_typeIfLj2EEiiiiiiS1_IjLj3EES5_S5_.uses_flat_scratch, 0
	.set _ZL33flash_attn_stream_k_fixup_uniformILi96ELi4ELi1EEvPfPK15HIP_vector_typeIfLj2EEiiiiiiS1_IjLj3EES5_S5_.has_dyn_sized_stack, 0
	.set _ZL33flash_attn_stream_k_fixup_uniformILi96ELi4ELi1EEvPfPK15HIP_vector_typeIfLj2EEiiiiiiS1_IjLj3EES5_S5_.has_recursion, 0
	.set _ZL33flash_attn_stream_k_fixup_uniformILi96ELi4ELi1EEvPfPK15HIP_vector_typeIfLj2EEiiiiiiS1_IjLj3EES5_S5_.has_indirect_call, 0
	.section	.AMDGPU.csdata,"",@progbits
; Kernel info:
; codeLenInByte = 1128
; TotalNumSgprs: 18
; NumVgprs: 11
; ScratchSize: 0
; MemoryBound: 0
; FloatMode: 240
; IeeeMode: 1
; LDSByteSize: 0 bytes/workgroup (compile time only)
; SGPRBlocks: 0
; VGPRBlocks: 1
; NumSGPRsForWavesPerEU: 18
; NumVGPRsForWavesPerEU: 11
; Occupancy: 16
; WaveLimiterHint : 0
; COMPUTE_PGM_RSRC2:SCRATCH_EN: 0
; COMPUTE_PGM_RSRC2:USER_SGPR: 2
; COMPUTE_PGM_RSRC2:TRAP_HANDLER: 0
; COMPUTE_PGM_RSRC2:TGID_X_EN: 1
; COMPUTE_PGM_RSRC2:TGID_Y_EN: 1
; COMPUTE_PGM_RSRC2:TGID_Z_EN: 1
; COMPUTE_PGM_RSRC2:TIDIG_COMP_CNT: 0
	.section	.text._ZL33flash_attn_stream_k_fixup_generalILi96ELi4ELi1EEvPfPK15HIP_vector_typeIfLj2EEiiiiS1_IjLj3EES5_S5_S5_,"axG",@progbits,_ZL33flash_attn_stream_k_fixup_generalILi96ELi4ELi1EEvPfPK15HIP_vector_typeIfLj2EEiiiiS1_IjLj3EES5_S5_S5_,comdat
	.globl	_ZL33flash_attn_stream_k_fixup_generalILi96ELi4ELi1EEvPfPK15HIP_vector_typeIfLj2EEiiiiS1_IjLj3EES5_S5_S5_ ; -- Begin function _ZL33flash_attn_stream_k_fixup_generalILi96ELi4ELi1EEvPfPK15HIP_vector_typeIfLj2EEiiiiS1_IjLj3EES5_S5_S5_
	.p2align	8
	.type	_ZL33flash_attn_stream_k_fixup_generalILi96ELi4ELi1EEvPfPK15HIP_vector_typeIfLj2EEiiiiS1_IjLj3EES5_S5_S5_,@function
_ZL33flash_attn_stream_k_fixup_generalILi96ELi4ELi1EEvPfPK15HIP_vector_typeIfLj2EEiiiiS1_IjLj3EES5_S5_S5_: ; @_ZL33flash_attn_stream_k_fixup_generalILi96ELi4ELi1EEvPfPK15HIP_vector_typeIfLj2EEiiiiS1_IjLj3EES5_S5_S5_
; %bb.0:
	s_clause 0x1
	s_load_b128 s[4:7], s[0:1], 0x10
	s_load_b32 s16, s[0:1], 0x50
	s_mov_b32 s2, ttmp9
	s_ashr_i32 s3, ttmp9, 31
	s_mov_b32 s17, 0
	s_delay_alu instid0(SALU_CYCLE_1) | instskip(SKIP_3) | instid1(SALU_CYCLE_1)
	s_mov_b32 s8, s17
	s_wait_kmcnt 0x0
	s_ashr_i32 s19, s7, 31
	s_mov_b32 s18, s7
	s_mul_u64 s[2:3], s[18:19], s[2:3]
	s_delay_alu instid0(SALU_CYCLE_1) | instskip(NEXT) | instid1(SALU_CYCLE_1)
	s_mov_b32 s9, s3
	s_cmp_lg_u64 s[8:9], 0
	s_cbranch_scc0 .LBB67_21
; %bb.1:
	s_add_nc_u64 s[8:9], s[16:17], 0
	s_mov_b32 s15, s17
	s_xor_b64 s[8:9], s[8:9], 0
	s_mov_b32 s23, s17
	s_cvt_f32_u32 s7, s8
	s_cvt_f32_u32 s10, s9
	s_sub_nc_u64 s[12:13], 0, s[8:9]
	s_delay_alu instid0(SALU_CYCLE_2) | instskip(NEXT) | instid1(SALU_CYCLE_3)
	s_fmamk_f32 s7, s10, 0x4f800000, s7
	v_s_rcp_f32 s7, s7
	s_delay_alu instid0(TRANS32_DEP_1) | instskip(SKIP_1) | instid1(SALU_CYCLE_2)
	s_mul_f32 s7, s7, 0x5f7ffffc
	s_wait_alu 0xfffe
	s_mul_f32 s10, s7, 0x2f800000
	s_delay_alu instid0(SALU_CYCLE_3) | instskip(NEXT) | instid1(SALU_CYCLE_3)
	s_trunc_f32 s10, s10
	s_fmamk_f32 s7, s10, 0xcf800000, s7
	s_cvt_u32_f32 s11, s10
	s_wait_alu 0xfffe
	s_delay_alu instid0(SALU_CYCLE_1) | instskip(NEXT) | instid1(SALU_CYCLE_3)
	s_cvt_u32_f32 s10, s7
	s_mul_u64 s[20:21], s[12:13], s[10:11]
	s_delay_alu instid0(SALU_CYCLE_1)
	s_mul_hi_u32 s25, s10, s21
	s_mul_i32 s24, s10, s21
	s_mul_hi_u32 s14, s10, s20
	s_mul_i32 s22, s11, s20
	s_add_nc_u64 s[14:15], s[14:15], s[24:25]
	s_mul_hi_u32 s7, s11, s20
	s_mul_hi_u32 s26, s11, s21
	s_add_co_u32 s14, s14, s22
	s_wait_alu 0xfffe
	s_add_co_ci_u32 s22, s15, s7
	s_mul_i32 s20, s11, s21
	s_add_co_ci_u32 s21, s26, 0
	s_delay_alu instid0(SALU_CYCLE_1)
	s_add_nc_u64 s[14:15], s[22:23], s[20:21]
	s_mov_b32 s21, s17
	s_add_co_u32 s10, s10, s14
	s_cselect_b32 s7, -1, 0
	s_wait_alu 0xfffe
	s_cmp_lg_u32 s7, 0
	s_add_co_ci_u32 s11, s11, s15
	s_mov_b32 s15, s17
	s_mul_u64 s[12:13], s[12:13], s[10:11]
	s_delay_alu instid0(SALU_CYCLE_1)
	s_mul_hi_u32 s23, s10, s13
	s_mul_i32 s22, s10, s13
	s_mul_hi_u32 s14, s10, s12
	s_mul_i32 s20, s11, s12
	s_add_nc_u64 s[14:15], s[14:15], s[22:23]
	s_mul_hi_u32 s7, s11, s12
	s_mul_hi_u32 s24, s11, s13
	s_mul_i32 s12, s11, s13
	s_add_co_u32 s13, s14, s20
	s_wait_alu 0xfffe
	s_add_co_ci_u32 s20, s15, s7
	s_add_co_ci_u32 s13, s24, 0
	s_mov_b32 s15, s17
	s_add_nc_u64 s[12:13], s[20:21], s[12:13]
	s_delay_alu instid0(SALU_CYCLE_1) | instskip(SKIP_1) | instid1(SALU_CYCLE_1)
	s_add_co_u32 s7, s10, s12
	s_cselect_b32 s10, -1, 0
	s_cmp_lg_u32 s10, 0
	s_add_co_ci_u32 s20, s11, s13
	s_ashr_i32 s10, s3, 31
	s_delay_alu instid0(SALU_CYCLE_1) | instskip(NEXT) | instid1(SALU_CYCLE_1)
	s_mov_b32 s11, s10
	s_add_nc_u64 s[12:13], s[2:3], s[10:11]
	s_delay_alu instid0(SALU_CYCLE_1) | instskip(NEXT) | instid1(SALU_CYCLE_1)
	s_xor_b64 s[12:13], s[12:13], s[10:11]
	s_mul_hi_u32 s23, s12, s20
	s_mul_i32 s22, s12, s20
	s_wait_alu 0xfffe
	s_mul_hi_u32 s14, s12, s7
	s_mul_hi_u32 s24, s13, s7
	s_mul_i32 s7, s13, s7
	s_add_nc_u64 s[14:15], s[14:15], s[22:23]
	s_mul_hi_u32 s3, s13, s20
	s_wait_alu 0xfffe
	s_add_co_u32 s7, s14, s7
	s_mul_i32 s22, s13, s20
	s_add_co_ci_u32 s20, s15, s24
	s_add_co_ci_u32 s23, s3, 0
	s_delay_alu instid0(SALU_CYCLE_1) | instskip(NEXT) | instid1(SALU_CYCLE_1)
	s_add_nc_u64 s[14:15], s[20:21], s[22:23]
	s_mul_u64 s[20:21], s[8:9], s[14:15]
	s_delay_alu instid0(SALU_CYCLE_1)
	s_sub_co_u32 s3, s12, s20
	s_cselect_b32 s7, -1, 0
	s_sub_co_i32 s12, s13, s21
	s_wait_alu 0xfffe
	s_cmp_lg_u32 s7, 0
	s_sub_co_ci_u32 s12, s12, s9
	s_sub_co_u32 s20, s3, s8
	s_cselect_b32 s22, -1, 0
	s_delay_alu instid0(SALU_CYCLE_1) | instskip(SKIP_2) | instid1(SALU_CYCLE_1)
	s_cmp_lg_u32 s22, 0
	s_add_nc_u64 s[22:23], s[14:15], 1
	s_sub_co_ci_u32 s12, s12, 0
	s_cmp_ge_u32 s12, s9
	s_cselect_b32 s24, -1, 0
	s_cmp_ge_u32 s20, s8
	s_cselect_b32 s20, -1, 0
	s_cmp_eq_u32 s12, s9
	s_cselect_b32 s12, s20, s24
	s_add_nc_u64 s[24:25], s[14:15], 2
	s_cmp_lg_u32 s12, 0
	s_cselect_b32 s12, s24, s22
	s_cselect_b32 s20, s25, s23
	s_cmp_lg_u32 s7, 0
	s_sub_co_ci_u32 s7, s13, s21
	s_wait_alu 0xfffe
	s_cmp_ge_u32 s7, s9
	s_cselect_b32 s13, -1, 0
	s_cmp_ge_u32 s3, s8
	s_cselect_b32 s3, -1, 0
	s_cmp_eq_u32 s7, s9
	s_cselect_b32 s3, s3, s13
	s_delay_alu instid0(SALU_CYCLE_1) | instskip(SKIP_4) | instid1(SALU_CYCLE_1)
	s_cmp_lg_u32 s3, 0
	s_mov_b32 s3, s17
	s_cselect_b32 s9, s20, s15
	s_cselect_b32 s8, s12, s14
	s_xor_b64 s[10:11], s[10:11], 0
	s_xor_b64 s[8:9], s[8:9], s[10:11]
	s_delay_alu instid0(SALU_CYCLE_1)
	s_sub_nc_u64 s[20:21], s[8:9], s[10:11]
	s_and_not1_b32 vcc_lo, exec_lo, s3
	s_cbranch_vccnz .LBB67_3
.LBB67_2:
	v_cvt_f32_u32_e32 v1, s16
	s_sub_co_i32 s7, 0, s16
	s_delay_alu instid0(VALU_DEP_1) | instskip(NEXT) | instid1(TRANS32_DEP_1)
	v_rcp_iflag_f32_e32 v1, v1
	v_mul_f32_e32 v1, 0x4f7ffffe, v1
	s_delay_alu instid0(VALU_DEP_1) | instskip(NEXT) | instid1(VALU_DEP_1)
	v_cvt_u32_f32_e32 v1, v1
	v_readfirstlane_b32 s3, v1
	s_wait_alu 0xfffe
	s_mul_i32 s7, s7, s3
	s_wait_alu 0xfffe
	s_mul_hi_u32 s7, s3, s7
	s_wait_alu 0xfffe
	s_add_co_i32 s3, s3, s7
	s_delay_alu instid0(SALU_CYCLE_1) | instskip(NEXT) | instid1(SALU_CYCLE_1)
	s_mul_hi_u32 s3, s2, s3
	s_mul_i32 s7, s3, s16
	s_wait_alu 0xfffe
	s_sub_co_i32 s2, s2, s7
	s_add_co_i32 s7, s3, 1
	s_sub_co_i32 s8, s2, s16
	s_cmp_ge_u32 s2, s16
	s_wait_alu 0xfffe
	s_cselect_b32 s3, s7, s3
	s_cselect_b32 s2, s8, s2
	s_add_co_i32 s7, s3, 1
	s_cmp_ge_u32 s2, s16
	s_wait_alu 0xfffe
	s_cselect_b32 s20, s7, s3
.LBB67_3:
	s_add_co_i32 s2, ttmp9, 1
	s_mov_b32 s8, 0
	s_ashr_i32 s3, s2, 31
	s_delay_alu instid0(SALU_CYCLE_1) | instskip(NEXT) | instid1(SALU_CYCLE_1)
	s_mul_u64 s[2:3], s[18:19], s[2:3]
	s_mov_b32 s9, s3
	s_delay_alu instid0(SALU_CYCLE_1)
	s_cmp_lg_u64 s[8:9], 0
	s_cbranch_scc0 .LBB67_22
; %bb.4:
	s_add_nc_u64 s[10:11], s[16:17], 0
	s_mov_b32 s23, s8
	s_xor_b64 s[10:11], s[10:11], 0
	s_mov_b32 s27, s8
	s_cvt_f32_u32 s7, s10
	s_cvt_f32_u32 s9, s11
	s_sub_nc_u64 s[14:15], 0, s[10:11]
	s_wait_alu 0xfffe
	s_delay_alu instid0(SALU_CYCLE_1) | instskip(SKIP_1) | instid1(SALU_CYCLE_2)
	s_fmamk_f32 s7, s9, 0x4f800000, s7
	s_wait_alu 0xfffe
	v_s_rcp_f32 s7, s7
	s_delay_alu instid0(TRANS32_DEP_1) | instskip(SKIP_1) | instid1(SALU_CYCLE_2)
	s_mul_f32 s7, s7, 0x5f7ffffc
	s_wait_alu 0xfffe
	s_mul_f32 s9, s7, 0x2f800000
	s_delay_alu instid0(SALU_CYCLE_3) | instskip(NEXT) | instid1(SALU_CYCLE_3)
	s_trunc_f32 s9, s9
	s_fmamk_f32 s7, s9, 0xcf800000, s7
	s_cvt_u32_f32 s13, s9
	s_wait_alu 0xfffe
	s_delay_alu instid0(SALU_CYCLE_1) | instskip(NEXT) | instid1(SALU_CYCLE_3)
	s_cvt_u32_f32 s12, s7
	s_mul_u64 s[24:25], s[14:15], s[12:13]
	s_delay_alu instid0(SALU_CYCLE_1)
	s_mul_hi_u32 s29, s12, s25
	s_mul_i32 s28, s12, s25
	s_mul_hi_u32 s22, s12, s24
	s_mul_i32 s9, s13, s24
	s_add_nc_u64 s[22:23], s[22:23], s[28:29]
	s_mul_hi_u32 s7, s13, s24
	s_mul_hi_u32 s21, s13, s25
	s_add_co_u32 s9, s22, s9
	s_wait_alu 0xfffe
	s_add_co_ci_u32 s26, s23, s7
	s_mul_i32 s24, s13, s25
	s_add_co_ci_u32 s25, s21, 0
	s_delay_alu instid0(SALU_CYCLE_1)
	s_add_nc_u64 s[22:23], s[26:27], s[24:25]
	s_mov_b32 s25, s8
	s_add_co_u32 s12, s12, s22
	s_cselect_b32 s7, -1, 0
	s_wait_alu 0xfffe
	s_cmp_lg_u32 s7, 0
	s_add_co_ci_u32 s13, s13, s23
	s_mov_b32 s23, s8
	s_mul_u64 s[14:15], s[14:15], s[12:13]
	s_delay_alu instid0(SALU_CYCLE_1)
	s_mul_hi_u32 s27, s12, s15
	s_mul_i32 s26, s12, s15
	s_mul_hi_u32 s22, s12, s14
	s_mul_i32 s9, s13, s14
	s_add_nc_u64 s[22:23], s[22:23], s[26:27]
	s_mul_hi_u32 s7, s13, s14
	s_mul_hi_u32 s21, s13, s15
	s_add_co_u32 s9, s22, s9
	s_wait_alu 0xfffe
	s_add_co_ci_u32 s24, s23, s7
	s_mul_i32 s14, s13, s15
	s_add_co_ci_u32 s15, s21, 0
	s_mov_b32 s23, s8
	s_add_nc_u64 s[14:15], s[24:25], s[14:15]
	s_delay_alu instid0(SALU_CYCLE_1) | instskip(SKIP_1) | instid1(SALU_CYCLE_1)
	s_add_co_u32 s7, s12, s14
	s_cselect_b32 s9, -1, 0
	s_cmp_lg_u32 s9, 0
	s_add_co_ci_u32 s9, s13, s15
	s_ashr_i32 s12, s3, 31
	s_delay_alu instid0(SALU_CYCLE_1) | instskip(NEXT) | instid1(SALU_CYCLE_1)
	s_mov_b32 s13, s12
	s_add_nc_u64 s[14:15], s[2:3], s[12:13]
	s_delay_alu instid0(SALU_CYCLE_1) | instskip(NEXT) | instid1(SALU_CYCLE_1)
	s_xor_b64 s[14:15], s[14:15], s[12:13]
	s_mul_hi_u32 s27, s14, s9
	s_mul_i32 s26, s14, s9
	s_wait_alu 0xfffe
	s_mul_hi_u32 s22, s14, s7
	s_mul_hi_u32 s21, s15, s7
	s_mul_i32 s7, s15, s7
	s_add_nc_u64 s[22:23], s[22:23], s[26:27]
	s_mul_hi_u32 s3, s15, s9
	s_wait_alu 0xfffe
	s_add_co_u32 s7, s22, s7
	s_add_co_ci_u32 s24, s23, s21
	s_mul_i32 s26, s15, s9
	s_add_co_ci_u32 s27, s3, 0
	s_delay_alu instid0(SALU_CYCLE_1) | instskip(NEXT) | instid1(SALU_CYCLE_1)
	s_add_nc_u64 s[22:23], s[24:25], s[26:27]
	s_mul_u64 s[24:25], s[10:11], s[22:23]
	s_add_nc_u64 s[26:27], s[22:23], 1
	s_sub_co_u32 s3, s14, s24
	s_cselect_b32 s7, -1, 0
	s_sub_co_i32 s9, s15, s25
	s_wait_alu 0xfffe
	s_cmp_lg_u32 s7, 0
	s_add_nc_u64 s[28:29], s[22:23], 2
	s_sub_co_ci_u32 s9, s9, s11
	s_sub_co_u32 s14, s3, s10
	s_cselect_b32 s21, -1, 0
	s_delay_alu instid0(SALU_CYCLE_1) | instskip(SKIP_1) | instid1(SALU_CYCLE_1)
	s_cmp_lg_u32 s21, 0
	s_sub_co_ci_u32 s9, s9, 0
	s_cmp_ge_u32 s9, s11
	s_cselect_b32 s21, -1, 0
	s_cmp_ge_u32 s14, s10
	s_cselect_b32 s14, -1, 0
	s_cmp_eq_u32 s9, s11
	s_cselect_b32 s9, s14, s21
	s_delay_alu instid0(SALU_CYCLE_1)
	s_cmp_lg_u32 s9, 0
	s_cselect_b32 s9, s28, s26
	s_cselect_b32 s14, s29, s27
	s_cmp_lg_u32 s7, 0
	s_sub_co_ci_u32 s7, s15, s25
	s_wait_alu 0xfffe
	s_cmp_ge_u32 s7, s11
	s_cselect_b32 s15, -1, 0
	s_cmp_ge_u32 s3, s10
	s_cselect_b32 s3, -1, 0
	s_cmp_eq_u32 s7, s11
	s_cselect_b32 s3, s3, s15
	s_delay_alu instid0(SALU_CYCLE_1) | instskip(SKIP_3) | instid1(SALU_CYCLE_1)
	s_cmp_lg_u32 s3, 0
	s_cselect_b32 s11, s14, s23
	s_cselect_b32 s10, s9, s22
	s_xor_b64 s[12:13], s[12:13], 0
	s_xor_b64 s[10:11], s[10:11], s[12:13]
	s_delay_alu instid0(SALU_CYCLE_1)
	s_sub_nc_u64 s[10:11], s[10:11], s[12:13]
	s_load_b96 s[12:14], s[0:1], 0x44
	s_and_not1_b32 vcc_lo, exec_lo, s8
	s_cbranch_vccnz .LBB67_6
.LBB67_5:
	v_cvt_f32_u32_e32 v1, s16
	s_sub_co_i32 s7, 0, s16
	s_delay_alu instid0(VALU_DEP_1) | instskip(NEXT) | instid1(TRANS32_DEP_1)
	v_rcp_iflag_f32_e32 v1, v1
	v_mul_f32_e32 v1, 0x4f7ffffe, v1
	s_delay_alu instid0(VALU_DEP_1) | instskip(NEXT) | instid1(VALU_DEP_1)
	v_cvt_u32_f32_e32 v1, v1
	v_readfirstlane_b32 s3, v1
	s_wait_alu 0xfffe
	s_mul_i32 s7, s7, s3
	s_wait_alu 0xfffe
	s_mul_hi_u32 s7, s3, s7
	s_wait_alu 0xfffe
	s_add_co_i32 s3, s3, s7
	s_delay_alu instid0(SALU_CYCLE_1) | instskip(NEXT) | instid1(SALU_CYCLE_1)
	s_mul_hi_u32 s3, s2, s3
	s_mul_i32 s7, s3, s16
	s_wait_alu 0xfffe
	s_sub_co_i32 s2, s2, s7
	s_add_co_i32 s7, s3, 1
	s_sub_co_i32 s8, s2, s16
	s_cmp_ge_u32 s2, s16
	s_wait_alu 0xfffe
	s_cselect_b32 s3, s7, s3
	s_cselect_b32 s2, s8, s2
	s_add_co_i32 s7, s3, 1
	s_cmp_ge_u32 s2, s16
	s_wait_alu 0xfffe
	s_cselect_b32 s10, s7, s3
.LBB67_6:
	s_mov_b32 s21, 0
	s_wait_kmcnt 0x0
	s_mov_b32 s22, s12
	s_mov_b32 s23, s21
	s_cmp_eq_u32 s20, s10
	s_mul_u64 s[2:3], s[20:21], s[22:23]
	s_cselect_b32 s7, -1, 0
	s_add_co_i32 s2, s3, s20
	s_mov_b32 s11, s21
	s_lshr_b32 s12, s2, s13
	s_mul_u64 s[2:3], s[10:11], s[22:23]
	s_mul_i32 s2, s12, s14
	s_delay_alu instid0(SALU_CYCLE_1) | instskip(SKIP_2) | instid1(SALU_CYCLE_1)
	s_cmp_eq_u32 s2, s20
	s_cselect_b32 s2, -1, 0
	s_add_co_i32 s3, s3, s10
	s_lshr_b32 s3, s3, s13
	s_delay_alu instid0(SALU_CYCLE_1)
	s_cmp_eq_u32 s12, s3
	s_mul_i32 s3, s3, s14
	s_cselect_b32 s8, -1, 0
	s_cmp_lg_u32 s3, s10
	s_cselect_b32 s3, -1, 0
	s_wait_alu 0xfffe
	s_or_b32 s2, s7, s2
	s_and_b32 s3, s8, s3
	s_delay_alu instid0(SALU_CYCLE_1) | instskip(NEXT) | instid1(SALU_CYCLE_1)
	s_or_b32 s2, s2, s3
	s_and_b32 vcc_lo, exec_lo, s2
	s_cbranch_vccnz .LBB67_24
; %bb.7:
	s_load_b256 s[24:31], s[0:1], 0x20
	s_mov_b32 s3, s21
	s_and_b32 s15, ttmp7, 0xffff
	s_wait_kmcnt 0x0
	s_mov_b32 s2, s24
	s_delay_alu instid0(SALU_CYCLE_1) | instskip(NEXT) | instid1(SALU_CYCLE_1)
	s_mul_u64 s[2:3], s[20:21], s[2:3]
	s_add_co_i32 s2, s3, s20
	s_delay_alu instid0(SALU_CYCLE_1) | instskip(SKIP_4) | instid1(SALU_CYCLE_1)
	s_lshr_b32 s3, s2, s25
	s_load_b32 s2, s[0:1], 0x40
	s_mul_i32 s7, s3, s26
	s_wait_alu 0xfffe
	s_sub_co_i32 s8, s20, s7
	s_mul_hi_u32 s7, s8, s27
	s_wait_alu 0xfffe
	s_add_co_i32 s7, s8, s7
	s_wait_alu 0xfffe
	s_lshr_b32 s7, s7, s28
	s_wait_alu 0xfffe
	s_mul_i32 s9, s7, s29
	s_delay_alu instid0(SALU_CYCLE_1) | instskip(NEXT) | instid1(SALU_CYCLE_1)
	s_sub_co_i32 s8, s8, s9
	s_mul_hi_u32 s9, s8, s30
	s_delay_alu instid0(SALU_CYCLE_1) | instskip(NEXT) | instid1(SALU_CYCLE_1)
	s_add_co_i32 s9, s8, s9
	s_lshr_b32 s24, s9, s31
	s_mov_b32 s9, s21
	s_wait_kmcnt 0x0
	s_mul_i32 s2, s24, s2
	s_delay_alu instid0(SALU_CYCLE_1) | instskip(NEXT) | instid1(SALU_CYCLE_1)
	s_sub_co_i32 s8, s8, s2
	s_mul_u64 s[10:11], s[8:9], s[22:23]
	s_delay_alu instid0(SALU_CYCLE_1) | instskip(NEXT) | instid1(SALU_CYCLE_1)
	s_add_co_i32 s2, s8, s11
	s_lshr_b32 s21, s2, s13
	s_delay_alu instid0(SALU_CYCLE_1) | instskip(NEXT) | instid1(SALU_CYCLE_1)
	s_lshl_b32 s2, s21, 2
	s_add_co_i32 s8, s2, s15
	s_lshr_b32 s2, ttmp7, 16
	s_cmp_lt_i32 s8, s4
	s_cselect_b32 s8, -1, 0
	s_add_co_i32 s24, s24, s2
	s_delay_alu instid0(SALU_CYCLE_1) | instskip(SKIP_1) | instid1(SALU_CYCLE_1)
	s_cmp_lt_i32 s24, s6
	s_cselect_b32 s9, -1, 0
	s_and_b32 s8, s8, s9
	s_delay_alu instid0(SALU_CYCLE_1)
	s_and_not1_b32 vcc_lo, exec_lo, s8
	s_cbranch_vccnz .LBB67_24
; %bb.8:
	s_mul_i32 s3, s3, s4
	s_load_b128 s[8:11], s[0:1], 0x0
	s_add_co_i32 s0, s3, s15
	s_mul_i32 s7, s7, s6
	s_mul_i32 s0, s0, s5
	s_wait_alu 0xfffe
	s_add_co_i32 s1, s24, s7
	s_mul_i32 s3, s5, s21
	s_add_co_i32 s0, s1, s0
	s_mulk_i32 s3, 0x180
	s_mulk_i32 s0, 0x60
	s_add_co_i32 s15, s15, s2
	v_add3_u32 v1, s3, s0, v0
	s_add_nc_u64 s[0:1], s[16:17], 0
	v_cvt_f32_u32_e32 v3, s16
	s_wait_alu 0xfffe
	s_xor_b64 s[6:7], s[0:1], 0
	s_lshl_b32 s0, ttmp9, 2
	v_ashrrev_i32_e32 v2, 31, v1
	s_wait_alu 0xfffe
	s_cvt_f32_u32 s1, s6
	s_cvt_f32_u32 s2, s7
	s_add_co_i32 s0, s0, s15
	v_rcp_iflag_f32_e32 v3, v3
	v_lshlrev_b64_e32 v[1:2], 2, v[1:2]
	s_wait_alu 0xfffe
	s_fmamk_f32 s2, s2, 0x4f800000, s1
	s_ashr_i32 s1, s0, 31
	s_add_co_i32 s34, ttmp9, -1
	s_wait_alu 0xfffe
	s_lshl_b64 s[0:1], s[0:1], 3
	v_s_rcp_f32 s2, s2
	s_wait_kmcnt 0x0
	v_add_co_u32 v1, vcc_lo, s8, v1
	s_delay_alu instid0(VALU_DEP_1)
	v_add_co_ci_u32_e64 v2, null, s9, v2, vcc_lo
	s_wait_alu 0xfffe
	s_add_nc_u64 s[0:1], s[10:11], s[0:1]
	s_mov_b32 s8, 0
	s_load_b64 s[26:27], s[0:1], 0x0
	global_load_b32 v5, v[1:2], off
	s_mul_f32 s2, s2, 0x5f7ffffc
	s_lshl_b32 s0, s16, 4
	s_mov_b32 s1, s8
	v_mul_f32_e32 v6, 0x4f7ffffe, v3
	s_wait_alu 0xfffe
	s_mul_f32 s3, s2, 0x2f800000
	s_lshl_b64 s[0:1], s[0:1], 2
	v_mad_co_u64_u32 v[3:4], null, 0x60, s15, v[0:1]
	s_wait_alu 0xfffe
	s_trunc_f32 s3, s3
	s_add_nc_u64 s[24:25], s[10:11], s[0:1]
	v_cvt_u32_f32_e32 v0, v6
	s_sub_nc_u64 s[30:31], 0, s[6:7]
	s_wait_alu 0xfffe
	s_fmamk_f32 s0, s3, 0xcf800000, s2
	s_cvt_u32_f32 s29, s3
	s_wait_alu 0xfffe
	s_delay_alu instid0(SALU_CYCLE_1)
	s_cvt_u32_f32 s28, s0
	s_wait_kmcnt 0x0
	v_mov_b32_e32 v4, s27
.LBB67_9:                               ; =>This Inner Loop Header: Depth=1
	s_wait_alu 0xfffe
	s_ashr_i32 s35, s34, 31
	s_mov_b32 s2, -1
	s_wait_alu 0xfffe
	s_mul_u64 s[0:1], s[34:35], s[18:19]
                                        ; implicit-def: $sgpr38_sgpr39
	s_wait_alu 0xfffe
	s_mov_b32 s9, s1
	s_wait_alu 0xfffe
	s_cmp_lg_u64 s[8:9], 0
	s_cbranch_scc0 .LBB67_11
; %bb.10:                               ;   in Loop: Header=BB67_9 Depth=1
	s_mul_u64 s[2:3], s[30:31], s[28:29]
	s_mov_b32 s37, s8
	s_wait_alu 0xfffe
	s_mul_hi_u32 s5, s28, s3
	s_mul_i32 s4, s28, s3
	s_mul_hi_u32 s36, s28, s2
	s_mul_hi_u32 s9, s29, s2
	s_wait_alu 0xfffe
	s_add_nc_u64 s[4:5], s[36:37], s[4:5]
	s_mul_i32 s2, s29, s2
	s_mul_hi_u32 s17, s29, s3
	s_wait_alu 0xfffe
	s_add_co_u32 s2, s4, s2
	s_add_co_ci_u32 s2, s5, s9
	s_add_co_ci_u32 s5, s17, 0
	s_mul_i32 s4, s29, s3
	s_mov_b32 s3, s8
	s_mov_b32 s39, s8
	s_wait_alu 0xfffe
	s_add_nc_u64 s[2:3], s[2:3], s[4:5]
	s_wait_alu 0xfffe
	s_add_co_u32 s2, s28, s2
	s_cselect_b32 s4, -1, 0
	s_wait_alu 0xfffe
	s_cmp_lg_u32 s4, 0
	s_add_co_ci_u32 s3, s29, s3
	s_wait_alu 0xfffe
	s_mul_u64 s[4:5], s[30:31], s[2:3]
	s_wait_alu 0xfffe
	s_mul_hi_u32 s37, s2, s5
	s_mul_i32 s36, s2, s5
	s_mul_hi_u32 s38, s2, s4
	s_mul_hi_u32 s9, s3, s4
	s_mul_i32 s4, s3, s4
	s_wait_alu 0xfffe
	s_add_nc_u64 s[36:37], s[38:39], s[36:37]
	s_mul_hi_u32 s17, s3, s5
	s_wait_alu 0xfffe
	s_add_co_u32 s4, s36, s4
	s_add_co_ci_u32 s4, s37, s9
	s_add_co_ci_u32 s37, s17, 0
	s_mul_i32 s36, s3, s5
	s_mov_b32 s5, s8
	s_wait_alu 0xfffe
	s_add_nc_u64 s[4:5], s[4:5], s[36:37]
	s_mov_b32 s37, s8
	s_wait_alu 0xfffe
	s_add_co_u32 s9, s2, s4
	s_cselect_b32 s2, -1, 0
	s_wait_alu 0xfffe
	s_cmp_lg_u32 s2, 0
	s_add_co_ci_u32 s17, s3, s5
	s_ashr_i32 s2, s1, 31
	s_wait_alu 0xfffe
	s_mov_b32 s3, s2
	s_wait_alu 0xfffe
	s_add_nc_u64 s[4:5], s[0:1], s[2:3]
	s_wait_alu 0xfffe
	s_xor_b64 s[4:5], s[4:5], s[2:3]
	s_wait_alu 0xfffe
	s_mul_hi_u32 s39, s4, s17
	s_mul_i32 s38, s4, s17
	s_mul_hi_u32 s36, s4, s9
	s_mul_i32 s21, s5, s9
	s_wait_alu 0xfffe
	s_add_nc_u64 s[36:37], s[36:37], s[38:39]
	s_mul_hi_u32 s9, s5, s9
	s_mul_hi_u32 s1, s5, s17
	s_wait_alu 0xfffe
	s_add_co_u32 s21, s36, s21
	s_add_co_ci_u32 s36, s37, s9
	s_add_co_ci_u32 s39, s1, 0
	s_mul_i32 s38, s5, s17
	s_mov_b32 s37, s8
	s_wait_alu 0xfffe
	s_add_nc_u64 s[36:37], s[36:37], s[38:39]
	s_wait_alu 0xfffe
	s_mul_u64 s[38:39], s[6:7], s[36:37]
	s_add_nc_u64 s[40:41], s[36:37], 1
	s_sub_co_u32 s1, s4, s38
	s_cselect_b32 s4, -1, 0
	s_sub_co_i32 s9, s5, s39
	s_wait_alu 0xfffe
	s_cmp_lg_u32 s4, 0
	s_add_nc_u64 s[42:43], s[36:37], 2
	s_sub_co_ci_u32 s9, s9, s7
	s_sub_co_u32 s17, s1, s6
	s_cselect_b32 s21, -1, 0
	s_delay_alu instid0(SALU_CYCLE_1)
	s_cmp_lg_u32 s21, 0
	s_wait_alu 0xfffe
	s_sub_co_ci_u32 s9, s9, 0
	s_wait_alu 0xfffe
	s_cmp_ge_u32 s9, s7
	s_cselect_b32 s21, -1, 0
	s_cmp_ge_u32 s17, s6
	s_cselect_b32 s17, -1, 0
	s_cmp_eq_u32 s9, s7
	s_wait_alu 0xfffe
	s_cselect_b32 s9, s17, s21
	s_wait_alu 0xfffe
	s_cmp_lg_u32 s9, 0
	s_cselect_b32 s9, s42, s40
	s_cselect_b32 s17, s43, s41
	s_cmp_lg_u32 s4, 0
	s_sub_co_ci_u32 s4, s5, s39
	s_wait_alu 0xfffe
	s_cmp_ge_u32 s4, s7
	s_cselect_b32 s5, -1, 0
	s_cmp_ge_u32 s1, s6
	s_cselect_b32 s1, -1, 0
	s_cmp_eq_u32 s4, s7
	s_wait_alu 0xfffe
	s_cselect_b32 s1, s1, s5
	s_wait_alu 0xfffe
	s_cmp_lg_u32 s1, 0
	s_cselect_b32 s5, s17, s37
	s_cselect_b32 s4, s9, s36
	s_xor_b64 s[2:3], s[2:3], 0
	s_wait_alu 0xfffe
	s_xor_b64 s[4:5], s[4:5], s[2:3]
	s_wait_alu 0xfffe
	s_sub_nc_u64 s[38:39], s[4:5], s[2:3]
	s_mov_b32 s2, 0
.LBB67_11:                              ;   in Loop: Header=BB67_9 Depth=1
	s_wait_alu 0xfffe
	s_and_not1_b32 vcc_lo, exec_lo, s2
	s_wait_alu 0xfffe
	s_cbranch_vccnz .LBB67_13
; %bb.12:                               ;   in Loop: Header=BB67_9 Depth=1
	v_readfirstlane_b32 s1, v0
	s_sub_co_i32 s2, 0, s16
	s_wait_alu 0xfffe
	s_mul_i32 s2, s2, s1
	s_wait_alu 0xfffe
	s_mul_hi_u32 s2, s1, s2
	s_wait_alu 0xfffe
	s_add_co_i32 s1, s1, s2
	s_wait_alu 0xfffe
	s_mul_hi_u32 s1, s0, s1
	s_wait_alu 0xfffe
	s_mul_i32 s2, s1, s16
	s_wait_alu 0xfffe
	s_sub_co_i32 s0, s0, s2
	s_add_co_i32 s2, s1, 1
	s_wait_alu 0xfffe
	s_sub_co_i32 s3, s0, s16
	s_cmp_ge_u32 s0, s16
	s_cselect_b32 s1, s2, s1
	s_wait_alu 0xfffe
	s_cselect_b32 s0, s3, s0
	s_add_co_i32 s2, s1, 1
	s_wait_alu 0xfffe
	s_cmp_ge_u32 s0, s16
	s_cselect_b32 s38, s2, s1
.LBB67_13:                              ;   in Loop: Header=BB67_9 Depth=1
	v_readfirstlane_b32 s9, v0
	s_cmp_lg_u32 s20, s38
	s_mov_b32 s0, -1
                                        ; implicit-def: $sgpr21
                                        ; implicit-def: $vgpr6
                                        ; implicit-def: $vgpr7
                                        ; implicit-def: $sgpr17
                                        ; implicit-def: $sgpr27
	s_cbranch_scc1 .LBB67_16
; %bb.14:                               ;   in Loop: Header=BB67_9 Depth=1
	s_wait_alu 0xfffe
	s_and_not1_b32 vcc_lo, exec_lo, s0
	s_wait_alu 0xfffe
	s_cbranch_vccz .LBB67_19
.LBB67_15:                              ;   in Loop: Header=BB67_9 Depth=1
	s_and_not1_b32 vcc_lo, exec_lo, s21
	s_wait_alu 0xfffe
	s_cbranch_vccnz .LBB67_20
	s_branch .LBB67_23
.LBB67_16:                              ;   in Loop: Header=BB67_9 Depth=1
	s_add_co_i32 s0, s34, s16
	s_mov_b32 s1, s8
	s_wait_alu 0xfffe
	s_lshl_b32 s0, s0, 2
	v_max_num_f32_e64 v6, s26, s26
	s_wait_alu 0xfffe
	s_add_co_i32 s0, s0, s15
	s_mov_b32 s39, s8
	s_wait_alu 0xfffe
	s_lshl_b64 s[0:1], s[0:1], 3
	s_mul_u64 s[40:41], s[38:39], s[22:23]
	s_wait_alu 0xfffe
	s_add_nc_u64 s[0:1], s[10:11], s[0:1]
	s_mov_b32 s27, s20
	s_load_b64 s[36:37], s[0:1], 0x0
	v_readfirstlane_b32 s0, v6
	s_wait_kmcnt 0x0
	v_max_num_f32_e64 v7, s36, s36
	s_delay_alu instid0(VALU_DEP_1) | instskip(SKIP_2) | instid1(SALU_CYCLE_2)
	v_readfirstlane_b32 s1, v7
	s_max_num_f32 s9, s0, s1
	s_wait_alu 0xfffe
	s_sub_f32 s33, s26, s9
	s_sub_f32 s35, s36, s9
	s_wait_alu 0xfffe
	s_delay_alu instid0(SALU_CYCLE_1)
	s_cmp_nlt_f32 s33, 0xc2ce8ed0
	s_cselect_b32 s0, -1, 0
	s_cmp_ngt_f32 s33, 0x42b17218
	s_cselect_b32 s1, -1, 0
	s_cmp_ge_f32 s33, 0xc1a00000
	s_cselect_b32 s2, -1, 0
	s_cmp_nlt_f32 s35, 0xc2ce8ed0
	s_cselect_b32 s3, -1, 0
	s_cmp_ngt_f32 s35, 0x42b17218
	s_cselect_b32 s4, -1, 0
	s_cmp_ge_f32 s35, 0xc1a00000
	s_cselect_b32 s5, -1, 0
	s_add_co_i32 s17, s41, s38
	s_wait_alu 0xfffe
	s_lshr_b32 s17, s17, s13
	s_wait_alu 0xfffe
	s_mul_i32 s21, s17, s14
	s_delay_alu instid0(SALU_CYCLE_1)
	s_cmp_eq_u32 s21, s38
	s_cselect_b32 s21, -1, 0
	s_cmp_lt_u32 s17, s12
	s_cselect_b32 s17, -1, 0
	s_wait_alu 0xfffe
	s_or_b32 s17, s17, s21
	s_mov_b32 s21, -1
	s_wait_alu 0xfffe
	s_and_b32 vcc_lo, exec_lo, s17
	s_mov_b32 s17, s34
	s_wait_alu 0xfffe
	s_cbranch_vccnz .LBB67_18
; %bb.17:                               ;   in Loop: Header=BB67_9 Depth=1
	s_add_co_i32 s17, s34, -1
	s_mov_b32 s21, 0
	s_mov_b32 s27, s38
.LBB67_18:                              ;   in Loop: Header=BB67_9 Depth=1
	v_mad_co_u64_u32 v[6:7], null, 0x180, s34, v[3:4]
	s_mul_f32 s36, s35, 0x3fb8aa3b
	s_mul_f32 s38, s33, 0x3fb8aa3b
	s_wait_alu 0xfffe
	s_delay_alu instid0(SALU_CYCLE_1)
	s_xor_b32 s39, s36, 0x80000000
	s_rndne_f32 s40, s36
	v_ashrrev_i32_e32 v7, 31, v6
	s_fmamk_f32 s39, s35, 0x3fb8aa3b, s39
	s_xor_b32 s41, s38, 0x80000000
	s_sub_f32 s36, s36, s40
	s_rndne_f32 s42, s38
	v_lshlrev_b64_e32 v[6:7], 2, v[6:7]
	s_fmamk_f32 s35, s35, 0x32a5705f, s39
	s_fmamk_f32 s39, s33, 0x3fb8aa3b, s41
	s_sub_f32 s38, s38, s42
	s_wait_alu 0xfffe
	s_add_f32 s35, s36, s35
	v_add_co_u32 v6, vcc_lo, s24, v6
	s_wait_alu 0xfffd
	v_add_co_ci_u32_e64 v7, null, s25, v7, vcc_lo
	s_fmamk_f32 s33, s33, 0x32a5705f, s39
	s_wait_alu 0xfffe
	v_s_exp_f32 s35, s35
	s_cvt_i32_f32 s36, s40
	global_load_b32 v6, v[6:7], off
	s_add_f32 s33, s38, s33
	s_wait_alu 0xfffe
	s_delay_alu instid0(SALU_CYCLE_2) | instskip(SKIP_2) | instid1(VALU_DEP_1)
	v_s_exp_f32 s33, s33
	v_ldexp_f32 v7, s35, s36
	s_cvt_i32_f32 s35, s42
	v_cndmask_b32_e64 v7, 0, v7, s3
	s_wait_alu 0xf1fe
	s_delay_alu instid0(TRANS32_DEP_1) | instid1(SALU_CYCLE_1)
	v_ldexp_f32 v8, s33, s35
	s_delay_alu instid0(VALU_DEP_2) | instskip(NEXT) | instid1(VALU_DEP_2)
	v_cndmask_b32_e64 v7, 0x7f800000, v7, s4
	v_cndmask_b32_e64 v8, 0, v8, s0
	s_delay_alu instid0(VALU_DEP_2) | instskip(NEXT) | instid1(VALU_DEP_2)
	v_cndmask_b32_e64 v7, 0, v7, s5
	v_cndmask_b32_e64 v8, 0x7f800000, v8, s1
	s_delay_alu instid0(VALU_DEP_1) | instskip(SKIP_1) | instid1(VALU_DEP_3)
	v_cndmask_b32_e64 v8, 0, v8, s2
	s_wait_loadcnt 0x0
	v_mul_f32_e32 v6, v6, v7
	v_mul_f32_e32 v7, s37, v7
	s_delay_alu instid0(VALU_DEP_1) | instskip(NEXT) | instid1(VALU_DEP_3)
	v_fmac_f32_e32 v7, v4, v8
	v_fmac_f32_e32 v6, v5, v8
	s_cbranch_execnz .LBB67_15
.LBB67_19:                              ;   in Loop: Header=BB67_9 Depth=1
	s_wait_loadcnt 0x0
	v_dual_mov_b32 v7, v4 :: v_dual_mov_b32 v6, v5
	s_add_co_i32 s17, s34, -1
	s_mov_b32 s27, s20
	s_mov_b32 s9, s26
	s_cbranch_execz .LBB67_23
.LBB67_20:                              ;   in Loop: Header=BB67_9 Depth=1
	s_wait_loadcnt 0x0
	v_dual_mov_b32 v4, v7 :: v_dual_mov_b32 v5, v6
	s_wait_alu 0xfffe
	s_mov_b32 s20, s27
	s_mov_b32 s34, s17
	;; [unrolled: 1-line block ×3, first 2 shown]
	s_branch .LBB67_9
.LBB67_21:
                                        ; implicit-def: $sgpr20_sgpr21
	s_branch .LBB67_2
.LBB67_22:
                                        ; implicit-def: $sgpr10_sgpr11
	s_load_b96 s[12:14], s[0:1], 0x44
	s_branch .LBB67_5
.LBB67_23:
	v_div_scale_f32 v0, null, v7, v7, v6
	s_delay_alu instid0(VALU_DEP_1) | instskip(NEXT) | instid1(TRANS32_DEP_1)
	v_rcp_f32_e32 v3, v0
	v_fma_f32 v4, -v0, v3, 1.0
	s_delay_alu instid0(VALU_DEP_1) | instskip(SKIP_2) | instid1(VALU_DEP_1)
	v_fmac_f32_e32 v3, v4, v3
	v_div_scale_f32 v4, vcc_lo, v6, v7, v6
	s_wait_loadcnt 0x0
	v_mul_f32_e32 v5, v4, v3
	s_delay_alu instid0(VALU_DEP_1) | instskip(NEXT) | instid1(VALU_DEP_1)
	v_fma_f32 v8, -v0, v5, v4
	v_fmac_f32_e32 v5, v8, v3
	s_delay_alu instid0(VALU_DEP_1) | instskip(SKIP_1) | instid1(VALU_DEP_1)
	v_fma_f32 v0, -v0, v5, v4
	s_wait_alu 0xfffd
	v_div_fmas_f32 v0, v0, v3, v5
	s_delay_alu instid0(VALU_DEP_1)
	v_div_fixup_f32 v0, v0, v7, v6
	global_store_b32 v[1:2], v0, off
.LBB67_24:
	s_endpgm
	.section	.rodata,"a",@progbits
	.p2align	6, 0x0
	.amdhsa_kernel _ZL33flash_attn_stream_k_fixup_generalILi96ELi4ELi1EEvPfPK15HIP_vector_typeIfLj2EEiiiiS1_IjLj3EES5_S5_S5_
		.amdhsa_group_segment_fixed_size 0
		.amdhsa_private_segment_fixed_size 0
		.amdhsa_kernarg_size 336
		.amdhsa_user_sgpr_count 2
		.amdhsa_user_sgpr_dispatch_ptr 0
		.amdhsa_user_sgpr_queue_ptr 0
		.amdhsa_user_sgpr_kernarg_segment_ptr 1
		.amdhsa_user_sgpr_dispatch_id 0
		.amdhsa_user_sgpr_private_segment_size 0
		.amdhsa_wavefront_size32 1
		.amdhsa_uses_dynamic_stack 0
		.amdhsa_enable_private_segment 0
		.amdhsa_system_sgpr_workgroup_id_x 1
		.amdhsa_system_sgpr_workgroup_id_y 1
		.amdhsa_system_sgpr_workgroup_id_z 1
		.amdhsa_system_sgpr_workgroup_info 0
		.amdhsa_system_vgpr_workitem_id 0
		.amdhsa_next_free_vgpr 9
		.amdhsa_next_free_sgpr 44
		.amdhsa_reserve_vcc 1
		.amdhsa_float_round_mode_32 0
		.amdhsa_float_round_mode_16_64 0
		.amdhsa_float_denorm_mode_32 3
		.amdhsa_float_denorm_mode_16_64 3
		.amdhsa_fp16_overflow 0
		.amdhsa_workgroup_processor_mode 1
		.amdhsa_memory_ordered 1
		.amdhsa_forward_progress 1
		.amdhsa_inst_pref_size 28
		.amdhsa_round_robin_scheduling 0
		.amdhsa_exception_fp_ieee_invalid_op 0
		.amdhsa_exception_fp_denorm_src 0
		.amdhsa_exception_fp_ieee_div_zero 0
		.amdhsa_exception_fp_ieee_overflow 0
		.amdhsa_exception_fp_ieee_underflow 0
		.amdhsa_exception_fp_ieee_inexact 0
		.amdhsa_exception_int_div_zero 0
	.end_amdhsa_kernel
	.section	.text._ZL33flash_attn_stream_k_fixup_generalILi96ELi4ELi1EEvPfPK15HIP_vector_typeIfLj2EEiiiiS1_IjLj3EES5_S5_S5_,"axG",@progbits,_ZL33flash_attn_stream_k_fixup_generalILi96ELi4ELi1EEvPfPK15HIP_vector_typeIfLj2EEiiiiS1_IjLj3EES5_S5_S5_,comdat
.Lfunc_end67:
	.size	_ZL33flash_attn_stream_k_fixup_generalILi96ELi4ELi1EEvPfPK15HIP_vector_typeIfLj2EEiiiiS1_IjLj3EES5_S5_S5_, .Lfunc_end67-_ZL33flash_attn_stream_k_fixup_generalILi96ELi4ELi1EEvPfPK15HIP_vector_typeIfLj2EEiiiiS1_IjLj3EES5_S5_S5_
                                        ; -- End function
	.set _ZL33flash_attn_stream_k_fixup_generalILi96ELi4ELi1EEvPfPK15HIP_vector_typeIfLj2EEiiiiS1_IjLj3EES5_S5_S5_.num_vgpr, 9
	.set _ZL33flash_attn_stream_k_fixup_generalILi96ELi4ELi1EEvPfPK15HIP_vector_typeIfLj2EEiiiiS1_IjLj3EES5_S5_S5_.num_agpr, 0
	.set _ZL33flash_attn_stream_k_fixup_generalILi96ELi4ELi1EEvPfPK15HIP_vector_typeIfLj2EEiiiiS1_IjLj3EES5_S5_S5_.numbered_sgpr, 44
	.set _ZL33flash_attn_stream_k_fixup_generalILi96ELi4ELi1EEvPfPK15HIP_vector_typeIfLj2EEiiiiS1_IjLj3EES5_S5_S5_.num_named_barrier, 0
	.set _ZL33flash_attn_stream_k_fixup_generalILi96ELi4ELi1EEvPfPK15HIP_vector_typeIfLj2EEiiiiS1_IjLj3EES5_S5_S5_.private_seg_size, 0
	.set _ZL33flash_attn_stream_k_fixup_generalILi96ELi4ELi1EEvPfPK15HIP_vector_typeIfLj2EEiiiiS1_IjLj3EES5_S5_S5_.uses_vcc, 1
	.set _ZL33flash_attn_stream_k_fixup_generalILi96ELi4ELi1EEvPfPK15HIP_vector_typeIfLj2EEiiiiS1_IjLj3EES5_S5_S5_.uses_flat_scratch, 0
	.set _ZL33flash_attn_stream_k_fixup_generalILi96ELi4ELi1EEvPfPK15HIP_vector_typeIfLj2EEiiiiS1_IjLj3EES5_S5_S5_.has_dyn_sized_stack, 0
	.set _ZL33flash_attn_stream_k_fixup_generalILi96ELi4ELi1EEvPfPK15HIP_vector_typeIfLj2EEiiiiS1_IjLj3EES5_S5_S5_.has_recursion, 0
	.set _ZL33flash_attn_stream_k_fixup_generalILi96ELi4ELi1EEvPfPK15HIP_vector_typeIfLj2EEiiiiS1_IjLj3EES5_S5_S5_.has_indirect_call, 0
	.section	.AMDGPU.csdata,"",@progbits
; Kernel info:
; codeLenInByte = 3552
; TotalNumSgprs: 46
; NumVgprs: 9
; ScratchSize: 0
; MemoryBound: 0
; FloatMode: 240
; IeeeMode: 1
; LDSByteSize: 0 bytes/workgroup (compile time only)
; SGPRBlocks: 0
; VGPRBlocks: 1
; NumSGPRsForWavesPerEU: 46
; NumVGPRsForWavesPerEU: 9
; Occupancy: 16
; WaveLimiterHint : 0
; COMPUTE_PGM_RSRC2:SCRATCH_EN: 0
; COMPUTE_PGM_RSRC2:USER_SGPR: 2
; COMPUTE_PGM_RSRC2:TRAP_HANDLER: 0
; COMPUTE_PGM_RSRC2:TGID_X_EN: 1
; COMPUTE_PGM_RSRC2:TGID_Y_EN: 1
; COMPUTE_PGM_RSRC2:TGID_Z_EN: 1
; COMPUTE_PGM_RSRC2:TIDIG_COMP_CNT: 0
	.section	.text._ZL15flash_attn_tileILi96ELi96ELi2ELi1ELb0EEvPKcS1_S1_S1_S1_PKiPfP15HIP_vector_typeIfLj2EEffffjfiS5_IjLj3EEiiiiiiiiiiiliiliiiiil,"axG",@progbits,_ZL15flash_attn_tileILi96ELi96ELi2ELi1ELb0EEvPKcS1_S1_S1_S1_PKiPfP15HIP_vector_typeIfLj2EEffffjfiS5_IjLj3EEiiiiiiiiiiiliiliiiiil,comdat
	.globl	_ZL15flash_attn_tileILi96ELi96ELi2ELi1ELb0EEvPKcS1_S1_S1_S1_PKiPfP15HIP_vector_typeIfLj2EEffffjfiS5_IjLj3EEiiiiiiiiiiiliiliiiiil ; -- Begin function _ZL15flash_attn_tileILi96ELi96ELi2ELi1ELb0EEvPKcS1_S1_S1_S1_PKiPfP15HIP_vector_typeIfLj2EEffffjfiS5_IjLj3EEiiiiiiiiiiiliiliiiiil
	.p2align	8
	.type	_ZL15flash_attn_tileILi96ELi96ELi2ELi1ELb0EEvPKcS1_S1_S1_S1_PKiPfP15HIP_vector_typeIfLj2EEffffjfiS5_IjLj3EEiiiiiiiiiiiliiliiiiil,@function
_ZL15flash_attn_tileILi96ELi96ELi2ELi1ELb0EEvPKcS1_S1_S1_S1_PKiPfP15HIP_vector_typeIfLj2EEffffjfiS5_IjLj3EEiiiiiiiiiiiliiliiiiil: ; @_ZL15flash_attn_tileILi96ELi96ELi2ELi1ELb0EEvPKcS1_S1_S1_S1_PKiPfP15HIP_vector_typeIfLj2EEffffjfiS5_IjLj3EEiiiiiiiiiiiliiliiiiil
; %bb.0:
	s_clause 0x1
	s_load_b128 s[20:23], s[0:1], 0x5c
	s_load_b64 s[36:37], s[0:1], 0x80
	s_lshr_b32 s4, ttmp7, 16
	s_mov_b32 s39, 0
	s_mov_b64 s[34:35], 0
	s_wait_kmcnt 0x0
	s_cvt_f32_u32 s2, s23
	s_sub_co_i32 s3, 0, s23
	s_delay_alu instid0(SALU_CYCLE_2) | instskip(NEXT) | instid1(TRANS32_DEP_1)
	v_rcp_iflag_f32_e32 v1, s2
	v_readfirstlane_b32 s2, v1
	s_mul_f32 s2, s2, 0x4f7ffffe
	s_wait_alu 0xfffe
	s_delay_alu instid0(SALU_CYCLE_2) | instskip(SKIP_1) | instid1(SALU_CYCLE_2)
	s_cvt_u32_f32 s2, s2
	s_wait_alu 0xfffe
	s_mul_i32 s3, s3, s2
	s_wait_alu 0xfffe
	s_mul_hi_u32 s3, s2, s3
	s_wait_alu 0xfffe
	s_add_co_i32 s2, s2, s3
	s_wait_alu 0xfffe
	s_mul_hi_u32 s2, s4, s2
	s_wait_alu 0xfffe
	s_mul_i32 s3, s2, s23
	s_add_co_i32 s5, s2, 1
	s_wait_alu 0xfffe
	s_sub_co_i32 s3, s4, s3
	s_wait_alu 0xfffe
	s_sub_co_i32 s6, s3, s23
	s_cmp_ge_u32 s3, s23
	s_cselect_b32 s2, s5, s2
	s_cselect_b32 s3, s6, s3
	s_wait_alu 0xfffe
	s_add_co_i32 s5, s2, 1
	s_cmp_ge_u32 s3, s23
	s_cselect_b32 s28, s5, s2
	s_abs_i32 s2, s37
	s_abs_i32 s7, s23
	s_wait_alu 0xfffe
	s_cvt_f32_u32 s3, s2
	s_sub_co_i32 s5, 0, s2
	s_xor_b32 s6, s23, s37
	s_wait_alu 0xfffe
	v_rcp_iflag_f32_e32 v1, s3
	s_ashr_i32 s6, s6, 31
	s_delay_alu instid0(TRANS32_DEP_1) | instskip(SKIP_2) | instid1(SALU_CYCLE_2)
	v_readfirstlane_b32 s3, v1
	s_mul_f32 s3, s3, 0x4f7ffffe
	s_wait_alu 0xfffe
	s_cvt_u32_f32 s3, s3
	s_wait_alu 0xfffe
	s_delay_alu instid0(SALU_CYCLE_2) | instskip(NEXT) | instid1(SALU_CYCLE_1)
	s_mul_i32 s5, s5, s3
	s_mul_hi_u32 s5, s3, s5
	s_delay_alu instid0(SALU_CYCLE_1)
	s_add_co_i32 s3, s3, s5
	s_mul_i32 s5, s28, s23
	s_wait_alu 0xfffe
	s_mul_hi_u32 s3, s7, s3
	s_sub_co_i32 s30, s4, s5
	s_wait_alu 0xfffe
	s_mul_i32 s8, s3, s2
	s_add_co_i32 s5, s3, 1
	s_sub_co_i32 s4, s7, s8
	s_delay_alu instid0(SALU_CYCLE_1)
	s_sub_co_i32 s7, s4, s2
	s_cmp_ge_u32 s4, s2
	s_cselect_b32 s3, s5, s3
	s_cselect_b32 s4, s7, s4
	s_wait_alu 0xfffe
	s_add_co_i32 s5, s3, 1
	s_cmp_ge_u32 s4, s2
	s_cselect_b32 s2, s5, s3
	s_wait_alu 0xfffe
	s_xor_b32 s2, s2, s6
	s_wait_alu 0xfffe
	s_sub_co_i32 s29, s2, s6
	s_delay_alu instid0(SALU_CYCLE_1) | instskip(NEXT) | instid1(SALU_CYCLE_1)
	s_abs_i32 s37, s29
	s_cvt_f32_u32 s2, s37
	s_wait_alu 0xfffe
	s_delay_alu instid0(SALU_CYCLE_2) | instskip(SKIP_3) | instid1(TRANS32_DEP_1)
	v_rcp_iflag_f32_e32 v1, s2
	s_clause 0x1
	s_load_b512 s[4:19], s[0:1], 0x0
	s_load_b64 s[2:3], s[0:1], 0xb8
	v_readfirstlane_b32 s24, v1
	s_mul_f32 s24, s24, 0x4f7ffffe
	s_delay_alu instid0(SALU_CYCLE_3) | instskip(SKIP_4) | instid1(SALU_CYCLE_1)
	s_cvt_u32_f32 s31, s24
	s_sub_co_i32 s24, 0, s37
	s_wait_kmcnt 0x0
	s_cmp_eq_u64 s[10:11], 0
	s_mul_i32 s24, s24, s31
	s_mul_hi_u32 s33, s31, s24
	s_cbranch_scc1 .LBB68_2
; %bb.1:
	s_abs_i32 s2, s2
	s_wait_alu 0xfffe
	s_cvt_f32_u32 s24, s2
	s_delay_alu instid0(SALU_CYCLE_3) | instskip(NEXT) | instid1(TRANS32_DEP_1)
	v_rcp_iflag_f32_e32 v1, s24
	v_readfirstlane_b32 s24, v1
	s_mul_f32 s24, s24, 0x4f7ffffe
	s_wait_alu 0xfffe
	s_delay_alu instid0(SALU_CYCLE_2) | instskip(SKIP_2) | instid1(SALU_CYCLE_1)
	s_cvt_u32_f32 s26, s24
	s_sub_co_i32 s24, 0, s2
	s_wait_alu 0xfffe
	s_mul_i32 s24, s24, s26
	s_wait_alu 0xfffe
	s_mul_hi_u32 s27, s26, s24
	s_load_b64 s[24:25], s[0:1], 0xc8
	s_add_co_i32 s26, s26, s27
	s_delay_alu instid0(SALU_CYCLE_1) | instskip(NEXT) | instid1(SALU_CYCLE_1)
	s_mul_hi_u32 s26, s28, s26
	s_mul_i32 s26, s26, s2
	s_delay_alu instid0(SALU_CYCLE_1) | instskip(NEXT) | instid1(SALU_CYCLE_1)
	s_sub_co_i32 s26, s28, s26
	s_sub_co_i32 s27, s26, s2
	s_cmp_ge_u32 s26, s2
	s_cselect_b32 s26, s27, s26
	s_delay_alu instid0(SALU_CYCLE_1) | instskip(SKIP_2) | instid1(SALU_CYCLE_1)
	s_sub_co_i32 s27, s26, s2
	s_cmp_ge_u32 s26, s2
	s_cselect_b32 s26, s27, s26
	s_ashr_i32 s27, s26, 31
	s_wait_kmcnt 0x0
	s_mul_u64 s[24:25], s[24:25], s[26:27]
	s_wait_alu 0xfffe
	s_add_nc_u64 s[34:35], s[10:11], s[24:25]
.LBB68_2:
	s_clause 0x1
	s_load_b128 s[24:27], s[0:1], 0x40
	s_load_b32 s2, s[0:1], 0x50
	s_abs_i32 s38, s30
	s_add_co_i32 s10, s31, s33
	v_mov_b32_e32 v23, 1.0
	s_wait_kmcnt 0x0
	s_cmp_le_f32 s25, 0
	s_cbranch_scc1 .LBB68_4
; %bb.3:
	v_sub_co_u32 v1, s2, s30, s2
	s_and_b32 s25, s2, exec_lo
	s_cselect_b32 s25, s26, s27
	s_add_co_i32 s26, s30, 1
	v_readfirstlane_b32 s11, v1
	s_lshl_b32 s11, s11, 1
	s_delay_alu instid0(SALU_CYCLE_1)
	s_or_b32 s11, s11, 1
	s_and_b32 s2, s2, exec_lo
	s_cselect_b32 s2, s26, s11
	s_wait_alu 0xfffe
	s_cmp_neq_f32 s25, 1.0
	s_cvt_f32_i32 s2, s2
	s_wait_alu 0xfffe
	s_delay_alu instid0(SALU_CYCLE_2) | instskip(NEXT) | instid1(SALU_CYCLE_1)
	s_cselect_b32 s11, s2, 1.0
	s_cmp_neq_f32 s11, 0
	s_cselect_b32 s2, s25, 1.0
	s_wait_alu 0xfffe
	v_frexp_mant_f32_e64 v1, |s2|
	s_delay_alu instid0(VALU_DEP_1) | instskip(SKIP_3) | instid1(SALU_CYCLE_1)
	v_readfirstlane_b32 s25, v1
	v_cvt_f64_f32_e64 v[1:2], |s2|
	s_cmp_lt_f32 s25, 0x3f2aaaab
	s_cselect_b32 s26, -1, 0
	s_and_b32 s27, s26, exec_lo
	s_cselect_b32 s27, 2.0, 1.0
	s_delay_alu instid0(SALU_CYCLE_1) | instskip(SKIP_1) | instid1(SALU_CYCLE_2)
	s_mul_f32 s25, s25, s27
	s_wait_alu 0xfffe
	s_add_f32 s27, s25, 1.0
	s_add_f32 s33, s25, -1.0
	s_delay_alu instid0(SALU_CYCLE_2) | instskip(SKIP_1) | instid1(SALU_CYCLE_3)
	v_s_rcp_f32 s31, s27
	s_add_f32 s42, s27, -1.0
	s_sub_f32 s25, s25, s42
	s_delay_alu instid0(TRANS32_DEP_1) | instskip(NEXT) | instid1(SALU_CYCLE_3)
	s_mul_f32 s40, s33, s31
	s_mul_f32 s41, s27, s40
	s_delay_alu instid0(SALU_CYCLE_3) | instskip(NEXT) | instid1(VALU_DEP_1)
	s_xor_b32 s43, s41, 0x80000000
	v_frexp_exp_i32_f64_e32 v1, v[1:2]
	s_fmac_f32 s43, s40, s27
	s_wait_alu 0xfffe
	s_delay_alu instid0(SALU_CYCLE_2) | instskip(NEXT) | instid1(SALU_CYCLE_3)
	s_fmac_f32 s43, s40, s25
	s_add_f32 s25, s41, s43
	s_wait_alu 0xfffe
	s_delay_alu instid0(SALU_CYCLE_2) | instskip(SKIP_2) | instid1(SALU_CYCLE_1)
	s_sub_f32 s27, s33, s25
	s_sub_f32 s41, s25, s41
	s_wait_alu 0xfffe
	s_sub_f32 s33, s33, s27
	s_delay_alu instid0(SALU_CYCLE_1) | instskip(NEXT) | instid1(SALU_CYCLE_2)
	s_sub_f32 s41, s41, s43
	s_sub_f32 s25, s33, s25
	s_wait_alu 0xfffe
	s_delay_alu instid0(SALU_CYCLE_2) | instskip(SKIP_2) | instid1(SALU_CYCLE_1)
	s_add_f32 s25, s41, s25
	s_mov_b32 s41, 0x3e76c4e1
	s_wait_alu 0xfffe
	s_add_f32 s25, s27, s25
	s_wait_alu 0xfffe
	s_delay_alu instid0(SALU_CYCLE_2) | instskip(SKIP_1) | instid1(SALU_CYCLE_2)
	s_mul_f32 s25, s31, s25
	s_wait_alu 0xfffe
	s_add_f32 s27, s40, s25
	s_wait_alu 0xfffe
	s_delay_alu instid0(SALU_CYCLE_2) | instskip(SKIP_2) | instid1(SALU_CYCLE_1)
	s_sub_f32 s31, s27, s40
	s_mul_f32 s33, s27, s27
	s_wait_alu 0xfffe
	s_sub_f32 s25, s25, s31
	s_delay_alu instid0(SALU_CYCLE_1) | instskip(SKIP_4) | instid1(SALU_CYCLE_2)
	s_xor_b32 s31, s33, 0x80000000
	s_wait_alu 0xfffe
	s_fmac_f32 s31, s27, s27
	s_add_f32 s40, s25, s25
	s_wait_alu 0xfffe
	s_fmac_f32 s31, s27, s40
	s_wait_alu 0xfffe
	s_delay_alu instid0(SALU_CYCLE_2) | instskip(NEXT) | instid1(SALU_CYCLE_3)
	s_add_f32 s40, s33, s31
	s_fmaak_f32 s41, s40, s41, 0x3e91f4c4
	s_sub_f32 s33, s40, s33
	s_delay_alu instid0(SALU_CYCLE_2) | instskip(NEXT) | instid1(SALU_CYCLE_2)
	s_fmaak_f32 s41, s40, s41, 0x3ecccdef
	s_sub_f32 s31, s31, s33
	s_mul_f32 s33, s27, s40
	s_delay_alu instid0(SALU_CYCLE_1) | instskip(NEXT) | instid1(SALU_CYCLE_2)
	s_mul_f32 s42, s40, s41
	s_xor_b32 s44, s33, 0x80000000
	s_delay_alu instid0(SALU_CYCLE_2) | instskip(SKIP_2) | instid1(SALU_CYCLE_2)
	s_xor_b32 s43, s42, 0x80000000
	s_fmac_f32 s44, s40, s27
	s_fmac_f32 s43, s40, s41
	;; [unrolled: 1-line block ×3, first 2 shown]
	s_wait_alu 0xfffe
	s_delay_alu instid0(SALU_CYCLE_1) | instskip(NEXT) | instid1(SALU_CYCLE_1)
	s_fmac_f32 s43, s31, s41
	s_fmac_f32 s44, s31, s27
	s_delay_alu instid0(SALU_CYCLE_2) | instskip(NEXT) | instid1(SALU_CYCLE_3)
	s_add_f32 s41, s42, s43
	s_sub_f32 s42, s41, s42
	s_add_f32 s45, s41, 0x3f2aaaaa
	s_delay_alu instid0(SALU_CYCLE_2) | instskip(NEXT) | instid1(SALU_CYCLE_2)
	s_sub_f32 s42, s43, s42
	s_add_f32 s43, s45, 0xbf2aaaaa
	s_delay_alu instid0(SALU_CYCLE_2) | instskip(NEXT) | instid1(SALU_CYCLE_2)
	s_add_f32 s40, s42, 0x31739010
	s_sub_f32 s41, s41, s43
	s_delay_alu instid0(SALU_CYCLE_3) | instskip(SKIP_2) | instid1(SALU_CYCLE_1)
	s_add_f32 s31, s40, s41
	s_add_f32 s40, s33, s44
	s_wait_alu 0xfffe
	s_add_f32 s41, s45, s31
	s_delay_alu instid0(SALU_CYCLE_1) | instskip(NEXT) | instid1(SALU_CYCLE_2)
	s_sub_f32 s33, s40, s33
	s_mul_f32 s42, s40, s41
	s_sub_f32 s43, s45, s41
	s_delay_alu instid0(SALU_CYCLE_1) | instskip(NEXT) | instid1(SALU_CYCLE_1)
	s_sub_f32 s33, s44, s33
	s_xor_b32 s45, s42, 0x80000000
	s_delay_alu instid0(SALU_CYCLE_1)
	s_add_f32 s31, s31, s43
	s_fmac_f32 s45, s40, s41
	v_readfirstlane_b32 s43, v1
	v_ldexp_f32 v1, s27, 1
	s_cmp_lg_u32 s26, 0
	s_wait_alu 0xfffe
	s_fmac_f32 s45, s40, s31
	s_sub_co_ci_u32 s26, s43, 0
	v_readfirstlane_b32 s27, v1
	s_delay_alu instid0(SALU_CYCLE_1)
	s_fmac_f32 s45, s33, s41
	s_wait_alu 0xfffe
	s_cvt_f32_i32 s26, s26
	v_ldexp_f32 v1, s25, 1
	s_add_f32 s31, s42, s45
	s_wait_alu 0xfffe
	s_mul_f32 s25, s26, 0x3f317218
	s_delay_alu instid0(VALU_DEP_1)
	v_readfirstlane_b32 s41, v1
	s_add_f32 s33, s27, s31
	s_sub_f32 s40, s31, s42
	s_wait_alu 0xfffe
	s_xor_b32 s42, s25, 0x80000000
	s_sub_f32 s27, s33, s27
	s_sub_f32 s40, s45, s40
	s_fmamk_f32 s42, s26, 0x3f317218, s42
	s_wait_alu 0xfffe
	s_sub_f32 s27, s31, s27
	s_add_f32 s31, s41, s40
	s_fmamk_f32 s26, s26, 0xb102e308, s42
	s_wait_alu 0xfffe
	s_delay_alu instid0(SALU_CYCLE_1) | instskip(NEXT) | instid1(SALU_CYCLE_1)
	s_add_f32 s27, s31, s27
	s_add_f32 s31, s25, s26
	s_wait_alu 0xfffe
	s_delay_alu instid0(SALU_CYCLE_1) | instskip(NEXT) | instid1(SALU_CYCLE_1)
	s_add_f32 s40, s33, s27
	s_sub_f32 s25, s31, s25
	s_delay_alu instid0(SALU_CYCLE_2)
	s_add_f32 s41, s31, s40
	s_sub_f32 s33, s40, s33
	s_wait_alu 0xfffe
	s_sub_f32 s25, s26, s25
	s_sub_f32 s42, s41, s31
	s_sub_f32 s26, s27, s33
	s_delay_alu instid0(SALU_CYCLE_2)
	s_sub_f32 s43, s41, s42
	s_sub_f32 s27, s40, s42
	s_wait_alu 0xfffe
	s_add_f32 s33, s25, s26
	s_sub_f32 s31, s31, s43
	s_wait_alu 0xfffe
	s_delay_alu instid0(SALU_CYCLE_2) | instskip(SKIP_2) | instid1(SALU_CYCLE_1)
	s_add_f32 s27, s27, s31
	s_sub_f32 s31, s33, s25
	s_wait_alu 0xfffe
	s_add_f32 s27, s33, s27
	s_delay_alu instid0(SALU_CYCLE_1) | instskip(SKIP_4) | instid1(SALU_CYCLE_2)
	s_sub_f32 s33, s33, s31
	s_sub_f32 s26, s26, s31
	s_wait_alu 0xfffe
	s_add_f32 s40, s41, s27
	s_sub_f32 s25, s25, s33
	s_sub_f32 s31, s40, s41
	s_wait_alu 0xfffe
	s_delay_alu instid0(SALU_CYCLE_1) | instskip(NEXT) | instid1(SALU_CYCLE_1)
	s_add_f32 s25, s26, s25
	s_sub_f32 s26, s27, s31
	s_wait_alu 0xfffe
	s_delay_alu instid0(SALU_CYCLE_2) | instskip(SKIP_1) | instid1(SALU_CYCLE_2)
	s_add_f32 s25, s25, s26
	s_wait_alu 0xfffe
	s_add_f32 s26, s40, s25
	s_wait_alu 0xfffe
	s_delay_alu instid0(SALU_CYCLE_2) | instskip(SKIP_2) | instid1(SALU_CYCLE_1)
	s_mul_f32 s27, s11, s26
	s_sub_f32 s31, s26, s40
	s_wait_alu 0xfffe
	s_xor_b32 s33, s27, 0x80000000
	s_delay_alu instid0(SALU_CYCLE_1) | instskip(SKIP_2) | instid1(SALU_CYCLE_2)
	s_sub_f32 s25, s25, s31
	s_fmac_f32 s33, s11, s26
	s_wait_alu 0xfffe
	s_fmac_f32 s33, s11, s25
	v_cmp_class_f32_e64 s25, s27, 0x204
	s_delay_alu instid0(SALU_CYCLE_2) | instskip(SKIP_2) | instid1(SALU_CYCLE_1)
	s_add_f32 s26, s27, s33
	s_and_b32 s25, s25, exec_lo
	s_wait_alu 0xfffe
	s_sub_f32 s25, s26, s27
	s_cselect_b32 s26, s27, s26
	s_wait_alu 0xfffe
	s_and_b32 s27, s26, 0x7fffffff
	s_sub_f32 s25, s33, s25
	s_wait_alu 0xfffe
	s_cmp_neq_f32 s27, 0x7f800000
	s_delay_alu instid0(SALU_CYCLE_1)
	s_cselect_b32 s25, s25, 0
	s_cmp_eq_f32 s26, 0x42b17218
	s_cselect_b32 s27, 0x37000000, 0
	s_wait_alu 0xfffe
	s_sub_f32 s26, s26, s27
	s_add_f32 s25, s27, s25
	s_wait_alu 0xfffe
	s_delay_alu instid0(SALU_CYCLE_1) | instskip(SKIP_1) | instid1(SALU_CYCLE_2)
	s_mul_f32 s31, s26, 0x3fb8aa3b
	s_wait_alu 0xfffe
	s_xor_b32 s33, s31, 0x80000000
	s_rndne_f32 s40, s31
	s_fmamk_f32 s33, s26, 0x3fb8aa3b, s33
	s_cmp_nlt_f32 s26, 0xc2ce8ed0
	s_delay_alu instid0(SALU_CYCLE_1) | instskip(NEXT) | instid1(SALU_CYCLE_1)
	s_sub_f32 s31, s31, s40
	s_fmamk_f32 s33, s26, 0x32a5705f, s33
	s_cselect_b32 vcc_lo, -1, 0
	s_cmp_ngt_f32 s26, 0x42b17218
	s_trunc_f32 s26, s11
	s_wait_alu 0xfffe
	s_add_f32 s31, s31, s33
	s_cvt_i32_f32 s33, s40
	s_wait_alu 0xfffe
	s_delay_alu instid0(SALU_CYCLE_1) | instskip(SKIP_1) | instid1(TRANS32_DEP_1)
	v_s_exp_f32 s31, s31
	s_wait_alu 0xf1ff
	v_ldexp_f32 v1, s31, s33
	s_mul_f32 s31, s11, 0.5
	s_delay_alu instid0(VALU_DEP_1)
	v_cndmask_b32_e32 v1, 0, v1, vcc_lo
	s_cselect_b32 vcc_lo, -1, 0
	s_cmp_eq_f32 s26, s11
	s_wait_alu 0xfffe
	s_trunc_f32 s33, s31
	v_cndmask_b32_e32 v1, 0x7f800000, v1, vcc_lo
	s_cselect_b32 s40, -1, 0
	s_wait_alu 0xfffe
	s_cmp_neq_f32 s33, s31
	s_delay_alu instid0(VALU_DEP_1)
	v_fma_f32 v2, s25, v1, v1
	v_cmp_class_f32_e64 vcc_lo, v1, 0x204
	s_cselect_b32 s27, -1, 0
	s_wait_alu 0xfffe
	s_and_b32 s25, s40, s27
	s_wait_alu 0xfffd
	v_cndmask_b32_e32 v1, v2, v1, vcc_lo
	s_wait_alu 0xfffe
	s_and_b32 s27, s25, exec_lo
	s_cselect_b32 s27, s2, 1.0
	s_cmp_eq_f32 s26, s11
	v_cmp_class_f32_e64 s26, s2, 0x204
	s_wait_alu 0xfffe
	v_bfi_b32 v1, 0x7fffffff, v1, s27
	s_cselect_b32 vcc_lo, -1, 0
	s_cmp_lt_f32 s2, 0
	s_wait_alu 0xfffe
	s_delay_alu instid0(VALU_DEP_1) | instskip(SKIP_3) | instid1(VALU_DEP_1)
	v_cndmask_b32_e32 v2, 0x7fc00000, v1, vcc_lo
	s_cselect_b32 vcc_lo, -1, 0
	s_cmp_eq_f32 s2, 0
	s_wait_alu 0xfffe
	v_cndmask_b32_e32 v1, v1, v2, vcc_lo
	s_cselect_b32 s27, -1, 0
	s_wait_alu 0xfffe
	s_or_b32 vcc_lo, s27, s26
	s_cmp_lt_f32 s11, 0
	s_cselect_b32 s11, -1, 0
	s_delay_alu instid0(SALU_CYCLE_1) | instskip(NEXT) | instid1(SALU_CYCLE_1)
	s_xor_b32 s11, s11, s27
	s_and_b32 s11, s11, exec_lo
	s_cselect_b32 s11, 0, 0x7f800000
	s_and_b32 s25, s25, exec_lo
	s_cselect_b32 s25, s2, 0
	s_cmp_o_f32 s2, s2
	s_wait_alu 0xfffe
	v_mov_b32_e32 v2, s25
	s_delay_alu instid0(VALU_DEP_1) | instskip(NEXT) | instid1(VALU_DEP_1)
	v_bfi_b32 v2, 0x7fffffff, s11, v2
	v_cndmask_b32_e32 v1, v1, v2, vcc_lo
	s_cselect_b32 vcc_lo, -1, 0
	s_wait_alu 0xfffe
	s_delay_alu instid0(VALU_DEP_1)
	v_cndmask_b32_e32 v23, 0x7fc00000, v1, vcc_lo
.LBB68_4:
	v_and_b32_e32 v1, 0x3ff, v0
	v_bfe_u32 v19, v0, 10, 10
	s_lshl_b32 s11, ttmp9, 1
	s_movk_i32 s25, 0xc0
	s_delay_alu instid0(VALU_DEP_2)
	v_cmp_gt_u32_e64 s2, 24, v1
	s_wait_alu 0xfffe
	v_mad_u32_u24 v24, v19, s25, 0xe80
	v_lshlrev_b32_e32 v17, 3, v1
	v_add_nc_u32_e32 v0, s11, v19
	v_lshlrev_b32_e32 v27, 4, v1
	s_mov_b32 s11, s39
	s_and_saveexec_b32 s25, s2
	s_cbranch_execz .LBB68_6
; %bb.5:
	v_mul_hi_u32 v2, s20, v0
	s_load_b96 s[40:42], s[0:1], 0x70
	v_add_nc_u32_e32 v6, v24, v17
	s_delay_alu instid0(VALU_DEP_2) | instskip(NEXT) | instid1(VALU_DEP_1)
	v_add_nc_u32_e32 v2, v0, v2
	v_lshrrev_b32_e32 v2, s21, v2
	s_delay_alu instid0(VALU_DEP_1) | instskip(SKIP_3) | instid1(SALU_CYCLE_1)
	v_mul_lo_u32 v2, v2, s22
	s_wait_kmcnt 0x0
	s_mul_i32 s26, s30, s41
	s_ashr_i32 s41, s40, 31
	s_lshr_b64 s[44:45], s[40:41], 2
	s_lshr_b32 s27, s41, 2
	s_delay_alu instid0(VALU_DEP_1) | instskip(SKIP_1) | instid1(SALU_CYCLE_1)
	v_sub_nc_u32_e32 v4, v0, v2
	s_mul_i32 s40, s28, s42
	s_ashr_i32 s41, s40, 31
	s_delay_alu instid0(SALU_CYCLE_1) | instskip(NEXT) | instid1(VALU_DEP_1)
	s_add_nc_u64 s[4:5], s[4:5], s[40:41]
	v_mad_co_u64_u32 v[2:3], null, s44, v4, 0
	s_wait_alu 0xfffe
	s_delay_alu instid0(VALU_DEP_1) | instskip(SKIP_4) | instid1(VALU_DEP_1)
	v_mad_co_u64_u32 v[3:4], null, s27, v4, v[3:4]
	s_ashr_i32 s27, s26, 31
	s_wait_alu 0xfffe
	s_add_nc_u64 s[4:5], s[4:5], s[26:27]
	v_lshlrev_b64_e32 v[2:3], 2, v[2:3]
	v_add_co_u32 v2, vcc_lo, s4, v2
	s_wait_alu 0xfffd
	s_delay_alu instid0(VALU_DEP_2) | instskip(NEXT) | instid1(VALU_DEP_2)
	v_add_co_ci_u32_e64 v3, null, s5, v3, vcc_lo
	v_add_co_u32 v2, vcc_lo, v2, v27
	s_wait_alu 0xfffd
	s_delay_alu instid0(VALU_DEP_2)
	v_add_co_ci_u32_e64 v3, null, 0, v3, vcc_lo
	global_load_b128 v[2:5], v[2:3], off
	s_wait_loadcnt 0x0
	v_fma_mixlo_f16 v3, s24, v3, 0
	v_fma_mixlo_f16 v2, s24, v2, 0
	;; [unrolled: 1-line block ×4, first 2 shown]
	s_delay_alu instid0(VALU_DEP_4) | instskip(NEXT) | instid1(VALU_DEP_4)
	v_lshlrev_b32_e32 v3, 16, v3
	v_and_b32_e32 v2, 0xffff, v2
	s_delay_alu instid0(VALU_DEP_4) | instskip(NEXT) | instid1(VALU_DEP_4)
	v_and_b32_e32 v4, 0xffff, v4
	v_lshlrev_b32_e32 v5, 16, v5
	s_delay_alu instid0(VALU_DEP_3) | instskip(NEXT) | instid1(VALU_DEP_2)
	v_or_b32_e32 v2, v3, v2
	v_or3_b32 v3, v5, v4, 0
	s_delay_alu instid0(VALU_DEP_2)
	v_or3_b32 v2, 0, 0, v2
	ds_store_b64 v6, v[2:3]
.LBB68_6:
	s_wait_alu 0xfffe
	s_or_b32 exec_lo, exec_lo, s25
	s_ashr_i32 s31, s30, 31
	s_ashr_i32 s40, s29, 31
	s_mul_u64 s[4:5], s[38:39], s[10:11]
	s_cmp_eq_u64 s[14:15], 0
	s_wait_dscnt 0x0
	s_barrier_signal -1
	s_barrier_wait -1
	global_inv scope:SCOPE_SE
	s_cbranch_scc1 .LBB68_8
; %bb.7:
	s_load_b32 s4, s[0:1], 0xd0
	s_mov_b32 s11, 0
	s_wait_kmcnt 0x0
	s_mul_i32 s4, s4, s28
	s_wait_alu 0xfffe
	s_add_co_i32 s10, s4, ttmp9
	s_wait_alu 0xfffe
	s_lshl_b64 s[10:11], s[10:11], 2
	s_wait_alu 0xfffe
	s_add_nc_u64 s[10:11], s[14:15], s[10:11]
	s_load_b32 s36, s[10:11], 0x0
.LBB68_8:
	s_clause 0x2
	s_load_b64 s[10:11], s[0:1], 0x8c
	s_load_b128 s[24:27], s[0:1], 0x98
	s_load_b64 s[14:15], s[0:1], 0xa8
	s_ashr_i32 s33, s3, 1
	s_mul_i32 s3, s5, s37
	s_xor_b32 s39, s31, s40
	s_wait_alu 0xfffe
	s_sub_co_i32 s3, s38, s3
	s_add_co_i32 s40, s5, 1
	s_wait_alu 0xfffe
	s_sub_co_i32 s38, s3, s37
	s_mov_b32 s29, 0
	v_lshrrev_b32_e32 v29, 1, v1
	v_lshlrev_b32_e32 v21, 2, v1
	v_lshrrev_b32_e32 v28, 2, v1
	v_mul_u32_u24_e32 v26, 0x70, v1
	v_lshrrev_b32_e32 v22, 3, v1
	v_mbcnt_lo_u32_b32 v16, -1, 0
	s_wait_kmcnt 0x0
	s_ashr_i32 s4, s10, 2
	s_ashr_i32 s10, s26, 2
	s_cmp_ge_u32 s3, s37
	s_mul_u64 s[24:25], s[24:25], s[28:29]
	s_cselect_b32 s5, s40, s5
	s_cselect_b32 s3, s38, s3
	s_wait_alu 0xfffe
	s_add_co_i32 s26, s5, 1
	s_cmp_ge_u32 s3, s37
	s_mul_u64 s[14:15], s[14:15], s[28:29]
	s_wait_alu 0xfffe
	s_cselect_b32 s3, s26, s5
	s_add_nc_u64 s[6:7], s[6:7], s[24:25]
	s_wait_alu 0xfffe
	s_xor_b32 s5, s3, s39
	s_add_nc_u64 s[24:25], s[8:9], s[14:15]
	s_wait_alu 0xfffe
	s_sub_co_i32 s5, s5, s39
	s_and_b32 s8, ttmp7, 0xffff
	s_wait_alu 0xfffe
	s_mul_i32 s26, s5, s11
	s_mul_i32 s38, s5, s27
	s_sub_co_i32 s3, s36, 32
	s_lshl_b32 s14, s8, 5
	s_wait_alu 0xfffe
	s_ashr_i32 s27, s26, 31
	s_ashr_i32 s39, s38, 31
	s_cmp_ge_i32 s14, s3
	s_wait_alu 0xfffe
	s_add_nc_u64 s[6:7], s[6:7], s[26:27]
	s_add_nc_u64 s[24:25], s[24:25], s[38:39]
	s_cbranch_scc1 .LBB68_14
; %bb.9:
	v_mul_hi_u32 v2, s20, v0
	v_lshl_add_u32 v4, v19, 3, v28
	v_lshl_add_u32 v13, v19, 2, v22
	v_dual_mov_b32 v43, 0xfeffffff :: v_dual_and_b32 v20, 12, v21
	v_lshl_add_u32 v3, v19, 4, v29
	s_delay_alu instid0(VALU_DEP_4) | instskip(NEXT) | instid1(VALU_DEP_4)
	v_mul_lo_u32 v7, s4, v4
	v_mul_lo_u32 v12, s10, v13
	v_add_nc_u32_e32 v2, v0, v2
	v_dual_mov_b32 v18, 0 :: v_dual_and_b32 v11, 4, v21
	v_and_b32_e32 v25, 28, v21
	v_lshlrev_b32_e32 v15, 2, v20
	s_delay_alu instid0(VALU_DEP_4)
	v_lshrrev_b32_e32 v2, s21, v2
	v_mul_u32_u24_e32 v34, 0xc0, v4
	v_mul_lo_u32 v5, s4, v3
	v_mul_lo_u32 v14, s10, v4
	v_mul_u32_u24_e32 v3, 0x70, v3
	v_mul_lo_u32 v2, v2, s22
	v_lshlrev_b32_e32 v6, 2, v11
	v_mad_u32_u24 v30, 0x70, v4, v15
	v_lshl_add_u32 v9, s4, 4, v7
	v_or_b32_e32 v15, v34, v15
	v_lshl_add_u32 v41, s10, 3, v12
	v_dual_mov_b32 v20, 0 :: v_dual_lshlrev_b32 v39, 2, v20
	v_lshlrev_b32_e32 v35, 2, v25
	v_sub_nc_u32_e32 v2, v0, v2
	v_add3_u32 v31, v3, v6, 64
	v_ashrrev_i32_e32 v6, 31, v5
	v_ashrrev_i32_e32 v8, 31, v7
	;; [unrolled: 1-line block ×3, first 2 shown]
	v_mad_u32_u24 v35, 0xc0, v13, v35
	v_add_nc_u32_e32 v36, 0x80, v15
	v_ashrrev_i32_e32 v15, 31, v14
	v_ashrrev_i32_e32 v13, 31, v12
	v_ashrrev_i32_e32 v42, 31, v41
	v_lshl_add_u32 v33, v19, 6, 0x1000
	v_mad_co_u64_u32 v[3:4], null, v2, s33, v[1:2]
	v_lshlrev_b64_e32 v[4:5], 2, v[5:6]
	v_lshlrev_b32_e32 v38, 2, v11
	v_lshlrev_b64_e32 v[6:7], 2, v[7:8]
	v_lshlrev_b64_e32 v[8:9], 2, v[9:10]
	;; [unrolled: 1-line block ×5, first 2 shown]
	s_ashr_i32 s5, s4, 31
	v_add_nc_u32_e32 v32, 0x700, v30
	v_lshl_add_u32 v34, v1, 1, v33
	v_add_nc_u32_e32 v37, 0x600, v35
	v_lshlrev_b32_e32 v40, 2, v25
	v_mbcnt_lo_u32_b32 v41, -1, 0
	v_mov_b32_e32 v42, 0
	s_cmp_lg_u64 s[34:35], 0
	s_add_nc_u64 s[26:27], s[0:1], 0xd0
	s_cselect_b32 s9, -1, 0
	s_ashr_i32 s11, s10, 31
.LBB68_10:                              ; =>This Inner Loop Header: Depth=1
	s_ashr_i32 s15, s14, 31
	s_wait_alu 0xfffe
	s_mul_u64 s[38:39], s[14:15], s[4:5]
	s_wait_alu 0xfffe
	s_lshl_b64 s[38:39], s[38:39], 2
	s_wait_alu 0xfffe
	s_add_nc_u64 s[38:39], s[6:7], s[38:39]
	s_wait_alu 0xfffe
	v_add_co_u32 v2, vcc_lo, s38, v4
	s_wait_alu 0xfffd
	v_add_co_ci_u32_e64 v25, null, s39, v5, vcc_lo
	v_add_co_u32 v44, vcc_lo, s38, v6
	s_wait_alu 0xfffd
	v_add_co_ci_u32_e64 v45, null, s39, v7, vcc_lo
	;; [unrolled: 3-line block ×6, first 2 shown]
	s_clause 0x2
	global_load_b128 v[44:47], v[56:57], off offset:64
	global_load_b128 v[48:51], v[58:59], off
	global_load_b128 v[52:55], v[60:61], off
	v_dual_mov_b32 v2, 0 :: v_dual_mov_b32 v25, 0
	s_and_not1_b32 vcc_lo, exec_lo, s9
	s_wait_loadcnt 0x2
	ds_store_b128 v31, v[44:47]
	s_wait_loadcnt 0x1
	ds_store_b128 v30, v[48:51]
	;; [unrolled: 2-line block ×3, first 2 shown]
	s_wait_dscnt 0x0
	s_barrier_signal -1
	s_barrier_wait -1
	global_inv scope:SCOPE_SE
	ds_load_b128 v[44:47], v26
	ds_load_b128 v[48:51], v24
	s_wait_dscnt 0x0
	;;#ASMSTART
	v_dot2_f32_f16 v2, v44, v48, v2
	;;#ASMEND
	;;#ASMSTART
	v_dot2_f32_f16 v2, v45, v49, v2
	;;#ASMEND
	;;#ASMSTART
	v_dot2_f32_f16 v2, v46, v50, v2
	;;#ASMEND
	;;#ASMSTART
	v_dot2_f32_f16 v2, v47, v51, v2
	;;#ASMEND
	ds_load_b128 v[44:47], v26 offset:16
	ds_load_b128 v[48:51], v24 offset:16
	s_wait_dscnt 0x0
	;;#ASMSTART
	v_dot2_f32_f16 v2, v44, v48, v2
	;;#ASMEND
	;;#ASMSTART
	v_dot2_f32_f16 v2, v45, v49, v2
	;;#ASMEND
	;;#ASMSTART
	v_dot2_f32_f16 v2, v46, v50, v2
	;;#ASMEND
	;;#ASMSTART
	v_dot2_f32_f16 v2, v47, v51, v2
	;;#ASMEND
	ds_load_b128 v[44:47], v26 offset:32
	ds_load_b128 v[48:51], v24 offset:32
	;; [unrolled: 15-line block ×5, first 2 shown]
	s_wait_dscnt 0x0
	;;#ASMSTART
	v_dot2_f32_f16 v2, v44, v48, v2
	;;#ASMEND
	;;#ASMSTART
	v_dot2_f32_f16 v2, v45, v49, v2
	;;#ASMEND
	;; [unrolled: 3-line block ×4, first 2 shown]
	s_wait_loadcnt 0x0
	s_barrier_signal -1
	s_barrier_wait -1
	global_inv scope:SCOPE_SE
	s_clause 0x2
	global_load_b128 v[44:47], v[56:57], off offset:160
	global_load_b128 v[48:51], v[58:59], off offset:96
	;; [unrolled: 1-line block ×3, first 2 shown]
	s_wait_loadcnt 0x2
	ds_store_b128 v31, v[44:47]
	s_wait_loadcnt 0x1
	ds_store_b128 v30, v[48:51]
	;; [unrolled: 2-line block ×3, first 2 shown]
	s_wait_dscnt 0x0
	s_barrier_signal -1
	s_barrier_wait -1
	global_inv scope:SCOPE_SE
	ds_load_b128 v[44:47], v26
	ds_load_b128 v[48:51], v24 offset:96
	s_wait_dscnt 0x0
	;;#ASMSTART
	v_dot2_f32_f16 v2, v44, v48, v2
	;;#ASMEND
	;;#ASMSTART
	v_dot2_f32_f16 v2, v45, v49, v2
	;;#ASMEND
	;;#ASMSTART
	v_dot2_f32_f16 v2, v46, v50, v2
	;;#ASMEND
	;;#ASMSTART
	v_dot2_f32_f16 v2, v47, v51, v2
	;;#ASMEND
	ds_load_b128 v[44:47], v26 offset:16
	ds_load_b128 v[48:51], v24 offset:112
	s_wait_dscnt 0x0
	;;#ASMSTART
	v_dot2_f32_f16 v2, v44, v48, v2
	;;#ASMEND
	;;#ASMSTART
	v_dot2_f32_f16 v2, v45, v49, v2
	;;#ASMEND
	;;#ASMSTART
	v_dot2_f32_f16 v2, v46, v50, v2
	;;#ASMEND
	;;#ASMSTART
	v_dot2_f32_f16 v2, v47, v51, v2
	;;#ASMEND
	ds_load_b128 v[44:47], v26 offset:32
	;; [unrolled: 15-line block ×5, first 2 shown]
	ds_load_b128 v[48:51], v24 offset:176
	s_wait_dscnt 0x0
	;;#ASMSTART
	v_dot2_f32_f16 v2, v44, v48, v2
	;;#ASMEND
	;;#ASMSTART
	v_dot2_f32_f16 v2, v45, v49, v2
	;;#ASMEND
	;; [unrolled: 3-line block ×4, first 2 shown]
	s_wait_alu 0xfffe
	s_cbranch_vccnz .LBB68_12
; %bb.11:                               ;   in Loop: Header=BB68_10 Depth=1
	v_add_nc_u32_e32 v44, s14, v3
	s_delay_alu instid0(VALU_DEP_1) | instskip(NEXT) | instid1(VALU_DEP_1)
	v_ashrrev_i32_e32 v45, 31, v44
	v_lshlrev_b64_e32 v[44:45], 1, v[44:45]
	s_delay_alu instid0(VALU_DEP_1) | instskip(SKIP_1) | instid1(VALU_DEP_2)
	v_add_co_u32 v44, vcc_lo, s34, v44
	s_wait_alu 0xfffd
	v_add_co_ci_u32_e64 v45, null, s35, v45, vcc_lo
	global_load_u16 v25, v[44:45], off
	s_wait_loadcnt 0x0
	v_cvt_f32_f16_e32 v25, v25
	s_delay_alu instid0(VALU_DEP_1)
	v_mul_f32_e32 v25, v23, v25
.LBB68_12:                              ;   in Loop: Header=BB68_10 Depth=1
	s_mul_u64 s[38:39], s[14:15], s[10:11]
	s_wait_loadcnt 0x0
	s_wait_alu 0xfffe
	s_lshl_b64 s[38:39], s[38:39], 2
	s_barrier_signal -1
	s_wait_alu 0xfffe
	s_add_nc_u64 s[38:39], s[24:25], s[38:39]
	s_barrier_wait -1
	s_wait_alu 0xfffe
	v_add_co_u32 v44, vcc_lo, s38, v10
	s_wait_alu 0xfffd
	v_add_co_ci_u32_e64 v45, null, s39, v11, vcc_lo
	global_inv scope:SCOPE_SE
	v_add_co_u32 v44, vcc_lo, v44, v39
	s_wait_alu 0xfffd
	v_add_co_ci_u32_e64 v45, null, 0, v45, vcc_lo
	v_add_co_u32 v46, vcc_lo, s38, v12
	s_wait_alu 0xfffd
	v_add_co_ci_u32_e64 v47, null, s39, v13, vcc_lo
	;; [unrolled: 3-line block ×5, first 2 shown]
	s_clause 0x2
	global_load_b128 v[44:47], v[44:45], off offset:128
	global_load_b128 v[48:51], v[48:49], off
	global_load_b128 v[52:55], v[52:53], off
	v_xor_b32_e32 v56, 16, v41
	v_dual_add_f32 v25, v2, v25 :: v_dual_max_num_f32 v2, v43, v43
	s_or_b32 s38, s14, 16
	v_add_nc_u32_e32 v97, 0x800, v17
	s_delay_alu instid0(VALU_DEP_3) | instskip(NEXT) | instid1(VALU_DEP_3)
	v_cmp_gt_i32_e32 vcc_lo, 32, v56
	v_add_f32_e32 v57, 0x40051340, v25
	s_wait_alu 0xfffe
	s_ashr_i32 s39, s38, 31
	s_wait_alu 0xfffe
	s_mul_u64 s[38:39], s[38:39], s[10:11]
	s_wait_alu 0xfffd
	v_cndmask_b32_e32 v56, v41, v56, vcc_lo
	v_max_num_f32_e32 v2, v2, v57
	v_xor_b32_e32 v57, 8, v41
	s_wait_alu 0xfffe
	s_lshl_b64 s[38:39], s[38:39], 2
	s_wait_alu 0xfffe
	s_add_nc_u64 s[38:39], s[24:25], s[38:39]
	v_cmp_gt_i32_e32 vcc_lo, 32, v57
	s_wait_alu 0xfffd
	v_dual_cndmask_b32 v57, v41, v57 :: v_dual_lshlrev_b32 v56, 2, v56
	ds_bpermute_b32 v56, v56, v2
	s_wait_dscnt 0x0
	v_dual_max_num_f32 v56, v56, v56 :: v_dual_lshlrev_b32 v57, 2, v57
	s_delay_alu instid0(VALU_DEP_1) | instskip(SKIP_2) | instid1(VALU_DEP_1)
	v_max_num_f32_e32 v2, v2, v56
	ds_bpermute_b32 v56, v57, v2
	v_xor_b32_e32 v57, 4, v41
	v_cmp_gt_i32_e32 vcc_lo, 32, v57
	s_wait_alu 0xfffd
	v_cndmask_b32_e32 v57, v41, v57, vcc_lo
	s_wait_dscnt 0x0
	s_delay_alu instid0(VALU_DEP_1) | instskip(NEXT) | instid1(VALU_DEP_1)
	v_dual_max_num_f32 v56, v56, v56 :: v_dual_lshlrev_b32 v57, 2, v57
	v_max_num_f32_e32 v2, v2, v56
	ds_bpermute_b32 v56, v57, v2
	v_xor_b32_e32 v57, 2, v41
	s_delay_alu instid0(VALU_DEP_1) | instskip(SKIP_3) | instid1(VALU_DEP_1)
	v_cmp_gt_i32_e32 vcc_lo, 32, v57
	s_wait_alu 0xfffd
	v_cndmask_b32_e32 v57, v41, v57, vcc_lo
	s_wait_dscnt 0x0
	v_dual_max_num_f32 v56, v56, v56 :: v_dual_lshlrev_b32 v57, 2, v57
	s_delay_alu instid0(VALU_DEP_1) | instskip(SKIP_2) | instid1(VALU_DEP_1)
	v_max_num_f32_e32 v2, v2, v56
	ds_bpermute_b32 v56, v57, v2
	v_xor_b32_e32 v57, 1, v41
	v_cmp_gt_i32_e32 vcc_lo, 32, v57
	s_wait_alu 0xfffd
	v_cndmask_b32_e32 v57, v41, v57, vcc_lo
	s_wait_dscnt 0x0
	s_delay_alu instid0(VALU_DEP_1) | instskip(NEXT) | instid1(VALU_DEP_1)
	v_dual_max_num_f32 v56, v56, v56 :: v_dual_lshlrev_b32 v57, 2, v57
	v_max_num_f32_e32 v2, v2, v56
	ds_bpermute_b32 v56, v57, v2
	s_wait_dscnt 0x0
	v_max_num_f32_e32 v56, v56, v56
	s_delay_alu instid0(VALU_DEP_1) | instskip(NEXT) | instid1(VALU_DEP_1)
	v_max_num_f32_e32 v2, v2, v56
	v_sub_f32_e32 v25, v25, v2
	s_delay_alu instid0(VALU_DEP_1) | instskip(NEXT) | instid1(VALU_DEP_1)
	v_dual_sub_f32 v43, v43, v2 :: v_dual_mul_f32 v56, 0x3fb8aa3b, v25
	v_mul_f32_e32 v98, 0x3fb8aa3b, v43
	s_delay_alu instid0(VALU_DEP_2) | instskip(SKIP_1) | instid1(VALU_DEP_3)
	v_fma_f32 v57, 0x3fb8aa3b, v25, -v56
	v_rndne_f32_e32 v58, v56
	v_fma_f32 v99, 0x3fb8aa3b, v43, -v98
	v_rndne_f32_e32 v100, v98
	s_delay_alu instid0(VALU_DEP_3) | instskip(NEXT) | instid1(VALU_DEP_3)
	v_dual_fmac_f32 v57, 0x32a5705f, v25 :: v_dual_sub_f32 v56, v56, v58
	v_fmac_f32_e32 v99, 0x32a5705f, v43
	v_cvt_i32_f32_e32 v58, v58
	s_delay_alu instid0(VALU_DEP_4) | instskip(NEXT) | instid1(VALU_DEP_4)
	v_sub_f32_e32 v98, v98, v100
	v_add_f32_e32 v56, v56, v57
	s_wait_alu 0xfffe
	v_add_co_u32 v57, vcc_lo, s38, v10
	s_wait_alu 0xfffd
	v_add_co_ci_u32_e64 v59, null, s39, v11, vcc_lo
	v_exp_f32_e32 v56, v56
	v_add_co_u32 v60, vcc_lo, s38, v12
	s_wait_alu 0xfffd
	v_add_co_ci_u32_e64 v61, null, s39, v13, vcc_lo
	v_add_f32_e32 v98, v98, v99
	v_cvt_i32_f32_e32 v99, v100
	s_delay_alu instid0(TRANS32_DEP_1)
	v_ldexp_f32 v56, v56, v58
	v_add_co_u32 v58, vcc_lo, s38, v14
	s_wait_alu 0xfffd
	v_add_co_ci_u32_e64 v62, null, s39, v15, vcc_lo
	v_cmp_ngt_f32_e32 vcc_lo, 0xc2ce8ed0, v25
	v_exp_f32_e32 v98, v98
	s_wait_alu 0xfffd
	v_cndmask_b32_e32 v56, 0, v56, vcc_lo
	v_add_co_u32 v84, vcc_lo, v57, v39
	s_wait_alu 0xfffd
	v_add_co_ci_u32_e64 v85, null, 0, v59, vcc_lo
	v_cmp_nlt_f32_e32 vcc_lo, 0x42b17218, v25
	s_delay_alu instid0(TRANS32_DEP_1)
	v_ldexp_f32 v98, v98, v99
	s_wait_alu 0xfffd
	v_cndmask_b32_e32 v25, 0x7f800000, v56, vcc_lo
	v_add_co_u32 v88, vcc_lo, v60, v40
	s_wait_alu 0xfffd
	v_add_co_ci_u32_e64 v89, null, 0, v61, vcc_lo
	v_add_co_u32 v92, vcc_lo, v58, v40
	s_wait_alu 0xfffd
	v_add_co_ci_u32_e64 v93, null, 0, v62, vcc_lo
	v_cmp_ngt_f32_e32 vcc_lo, 0xc2ce8ed0, v43
	v_cvt_f16_f32_e32 v56, v25
	ds_store_b16 v34, v56
	s_wait_loadcnt 0x2
	ds_store_b128 v36, v[44:47]
	s_wait_loadcnt 0x1
	ds_store_b128 v35, v[48:51]
	;; [unrolled: 2-line block ×3, first 2 shown]
	s_wait_alu 0xfffd
	v_cndmask_b32_e32 v98, 0, v98, vcc_lo
	v_cmp_nlt_f32_e32 vcc_lo, 0x42b17218, v43
	s_wait_dscnt 0x0
	s_barrier_signal -1
	s_barrier_wait -1
	global_inv scope:SCOPE_SE
	s_wait_alu 0xfffd
	v_cndmask_b32_e32 v98, 0x7f800000, v98, vcc_lo
	s_delay_alu instid0(VALU_DEP_1)
	v_dual_fmac_f32 v25, v42, v98 :: v_dual_add_nc_u32 v96, 0x400, v17
	ds_load_2addr_b64 v[44:47], v17 offset1:24
	ds_load_b128 v[48:51], v33
	ds_load_b128 v[52:55], v33 offset:16
	ds_load_2addr_b64 v[56:59], v17 offset0:48 offset1:72
	ds_load_2addr_b64 v[60:63], v17 offset0:96 offset1:120
	;; [unrolled: 1-line block ×7, first 2 shown]
	s_wait_loadcnt_dscnt 0x0
	s_barrier_signal -1
	s_barrier_wait -1
	global_inv scope:SCOPE_SE
	s_clause 0x2
	global_load_b128 v[84:87], v[84:85], off offset:128
	global_load_b128 v[88:91], v[88:89], off
	global_load_b128 v[92:95], v[92:93], off
	v_cvt_f16_f32_e32 v43, v98
	s_wait_loadcnt 0x2
	ds_store_b128 v36, v[84:87]
	s_wait_loadcnt 0x1
	ds_store_b128 v35, v[88:91]
	;; [unrolled: 2-line block ×3, first 2 shown]
	v_and_b32_e32 v99, 0xffff, v48
	v_and_b32_e32 v43, 0xffff, v43
	v_lshrrev_b32_e32 v48, 16, v48
	v_and_b32_e32 v100, 0xffff, v49
	s_wait_dscnt 0x0
	v_mul_u32_u24_e32 v99, 0x10001, v99
	v_mul_u32_u24_e32 v43, 0x10001, v43
	;; [unrolled: 1-line block ×3, first 2 shown]
	s_barrier_signal -1
	s_barrier_wait -1
	v_pk_mul_f16 v44, v44, v99
	v_pk_mul_f16 v45, v45, v99
	global_inv scope:SCOPE_SE
	v_pk_fma_f16 v18, v18, v43, v44
	v_pk_fma_f16 v20, v20, v43, v45
	v_lshrrev_b32_e32 v44, 16, v49
	v_mul_u32_u24_e32 v49, 0x10001, v100
	v_and_b32_e32 v43, 0xffff, v50
	v_pk_fma_f16 v18, v46, v48, v18
	v_pk_fma_f16 v20, v47, v48, v20
	v_mul_u32_u24_e32 v44, 0x10001, v44
	v_lshrrev_b32_e32 v45, 16, v50
	v_mul_u32_u24_e32 v43, 0x10001, v43
	v_pk_fma_f16 v18, v56, v49, v18
	v_pk_fma_f16 v20, v57, v49, v20
	v_and_b32_e32 v46, 0xffff, v51
	v_mul_u32_u24_e32 v45, 0x10001, v45
	v_and_b32_e32 v47, 0xffff, v54
	v_pk_fma_f16 v18, v58, v44, v18
	v_pk_fma_f16 v20, v59, v44, v20
	v_lshrrev_b32_e32 v44, 16, v51
	v_mul_u32_u24_e32 v46, 0x10001, v46
	v_lshrrev_b32_e32 v49, 16, v54
	v_pk_fma_f16 v18, v60, v43, v18
	v_pk_fma_f16 v20, v61, v43, v20
	v_and_b32_e32 v43, 0xffff, v52
	v_mul_u32_u24_e32 v44, 0x10001, v44
	v_mul_u32_u24_e32 v51, 0x10001, v47
	v_pk_fma_f16 v18, v62, v45, v18
	v_pk_fma_f16 v20, v63, v45, v20
	v_lshrrev_b32_e32 v45, 16, v52
	v_mul_u32_u24_e32 v43, 0x10001, v43
	v_and_b32_e32 v47, 0xffff, v55
	v_pk_fma_f16 v18, v64, v46, v18
	v_pk_fma_f16 v20, v65, v46, v20
	v_and_b32_e32 v46, 0xffff, v53
	v_mul_u32_u24_e32 v45, 0x10001, v45
	v_mul_u32_u24_e32 v52, 0x10001, v49
	v_pk_fma_f16 v18, v66, v44, v18
	v_pk_fma_f16 v20, v67, v44, v20
	v_lshrrev_b32_e32 v44, 16, v53
	v_mul_u32_u24_e32 v48, 0x10001, v46
	v_mul_u32_u24_e32 v59, 0x10001, v47
	v_pk_fma_f16 v18, v68, v43, v18
	v_pk_fma_f16 v20, v69, v43, v20
	v_mul_u32_u24_e32 v50, 0x10001, v44
	v_lshrrev_b32_e32 v53, 16, v55
	s_delay_alu instid0(VALU_DEP_4) | instskip(NEXT) | instid1(VALU_DEP_4)
	v_pk_fma_f16 v18, v70, v45, v18
	v_pk_fma_f16 v20, v71, v45, v20
	ds_load_b128 v[43:46], v33 offset:32
	v_mul_u32_u24_e32 v60, 0x10001, v53
	v_pk_fma_f16 v18, v72, v48, v18
	v_pk_fma_f16 v20, v73, v48, v20
	s_delay_alu instid0(VALU_DEP_2) | instskip(NEXT) | instid1(VALU_DEP_2)
	v_pk_fma_f16 v18, v74, v50, v18
	v_pk_fma_f16 v20, v75, v50, v20
	ds_load_2addr_b64 v[47:50], v17 offset1:24
	v_pk_fma_f16 v18, v76, v51, v18
	v_pk_fma_f16 v20, v77, v51, v20
	s_delay_alu instid0(VALU_DEP_2) | instskip(NEXT) | instid1(VALU_DEP_2)
	v_pk_fma_f16 v18, v78, v52, v18
	v_pk_fma_f16 v20, v79, v52, v20
	ds_load_b128 v[51:54], v33 offset:48
	ds_load_2addr_b64 v[55:58], v17 offset0:48 offset1:72
	s_wait_dscnt 0x3
	v_and_b32_e32 v61, 0xffff, v43
	v_lshrrev_b32_e32 v43, 16, v43
	v_pk_fma_f16 v18, v80, v59, v18
	v_pk_fma_f16 v20, v81, v59, v20
	v_and_b32_e32 v64, 0xffff, v44
	v_mul_u32_u24_e32 v63, 0x10001, v61
	v_mul_u32_u24_e32 v43, 0x10001, v43
	v_pk_fma_f16 v18, v82, v60, v18
	v_pk_fma_f16 v20, v83, v60, v20
	ds_load_2addr_b64 v[59:62], v17 offset0:96 offset1:120
	v_lshrrev_b32_e32 v44, 16, v44
	ds_load_2addr_b64 v[67:70], v97 offset0:32 offset1:56
	s_wait_dscnt 0x4
	v_pk_fma_f16 v18, v47, v63, v18
	v_pk_fma_f16 v20, v48, v63, v20
	v_mul_u32_u24_e32 v63, 0x10001, v64
	v_mul_u32_u24_e32 v44, 0x10001, v44
	s_delay_alu instid0(VALU_DEP_4) | instskip(NEXT) | instid1(VALU_DEP_4)
	v_pk_fma_f16 v18, v49, v43, v18
	v_pk_fma_f16 v20, v50, v43, v20
	ds_load_2addr_b64 v[47:50], v17 offset0:144 offset1:168
	v_and_b32_e32 v43, 0xffff, v45
	v_lshrrev_b32_e32 v45, 16, v45
	s_wait_dscnt 0x3
	v_pk_fma_f16 v18, v55, v63, v18
	v_pk_fma_f16 v20, v56, v63, v20
	ds_load_2addr_b64 v[63:66], v17 offset0:192 offset1:216
	v_mul_u32_u24_e32 v43, 0x10001, v43
	v_mul_u32_u24_e32 v45, 0x10001, v45
	v_pk_fma_f16 v18, v57, v44, v18
	v_pk_fma_f16 v20, v58, v44, v20
	v_and_b32_e32 v44, 0xffff, v46
	ds_load_2addr_b64 v[55:58], v96 offset0:112 offset1:136
	s_wait_dscnt 0x4
	v_pk_fma_f16 v18, v59, v43, v18
	v_pk_fma_f16 v20, v60, v43, v20
	v_lshrrev_b32_e32 v59, 16, v46
	v_mul_u32_u24_e32 v60, 0x10001, v44
	s_delay_alu instid0(VALU_DEP_4) | instskip(NEXT) | instid1(VALU_DEP_4)
	v_pk_fma_f16 v18, v61, v45, v18
	v_pk_fma_f16 v20, v62, v45, v20
	v_and_b32_e32 v61, 0xffff, v51
	v_mul_u32_u24_e32 v59, 0x10001, v59
	ds_load_2addr_b64 v[43:46], v97 offset0:80 offset1:104
	s_wait_dscnt 0x3
	v_pk_fma_f16 v18, v47, v60, v18
	v_pk_fma_f16 v20, v48, v60, v20
	v_lshrrev_b32_e32 v47, 16, v51
	v_mul_u32_u24_e32 v48, 0x10001, v61
	s_wait_loadcnt_dscnt 0x0
	v_pk_fma_f16 v18, v49, v59, v18
	v_pk_fma_f16 v20, v50, v59, v20
	v_and_b32_e32 v49, 0xffff, v52
	v_mul_u32_u24_e32 v47, 0x10001, v47
	s_barrier_signal -1
	v_pk_fma_f16 v18, v63, v48, v18
	v_pk_fma_f16 v20, v64, v48, v20
	v_lshrrev_b32_e32 v48, 16, v52
	v_mul_u32_u24_e32 v49, 0x10001, v49
	s_barrier_wait -1
	v_pk_fma_f16 v18, v65, v47, v18
	v_pk_fma_f16 v20, v66, v47, v20
	v_and_b32_e32 v47, 0xffff, v53
	v_mul_u32_u24_e32 v48, 0x10001, v48
	global_inv scope:SCOPE_SE
	v_pk_fma_f16 v18, v55, v49, v18
	v_pk_fma_f16 v20, v56, v49, v20
	s_load_b32 s15, s[26:27], 0x4
	v_lshrrev_b32_e32 v49, 16, v53
	v_mul_u32_u24_e32 v47, 0x10001, v47
	v_pk_fma_f16 v18, v57, v48, v18
	v_pk_fma_f16 v20, v58, v48, v20
	v_and_b32_e32 v48, 0xffff, v54
	v_mul_u32_u24_e32 v49, 0x10001, v49
	s_delay_alu instid0(VALU_DEP_4) | instskip(NEXT) | instid1(VALU_DEP_4)
	v_pk_fma_f16 v18, v67, v47, v18
	v_pk_fma_f16 v20, v68, v47, v20
	v_lshrrev_b32_e32 v47, 16, v54
	v_mul_u32_u24_e32 v48, 0x10001, v48
	s_delay_alu instid0(VALU_DEP_4) | instskip(NEXT) | instid1(VALU_DEP_4)
	v_pk_fma_f16 v18, v69, v49, v18
	v_pk_fma_f16 v20, v70, v49, v20
	s_delay_alu instid0(VALU_DEP_4) | instskip(NEXT) | instid1(VALU_DEP_3)
	v_mul_u32_u24_e32 v47, 0x10001, v47
	v_pk_fma_f16 v18, v43, v48, v18
	s_delay_alu instid0(VALU_DEP_3)
	v_pk_fma_f16 v20, v44, v48, v20
	s_wait_kmcnt 0x0
	s_lshl_b32 s15, s15, 5
	s_wait_alu 0xfffe
	s_add_co_i32 s14, s15, s14
	v_pk_fma_f16 v18, v45, v47, v18
	v_pk_fma_f16 v20, v46, v47, v20
	s_wait_alu 0xfffe
	s_cmp_lt_i32 s14, s3
	s_cbranch_scc0 .LBB68_15
; %bb.13:                               ;   in Loop: Header=BB68_10 Depth=1
	v_dual_mov_b32 v43, v2 :: v_dual_mov_b32 v42, v25
	s_branch .LBB68_10
.LBB68_14:
	v_dual_mov_b32 v20, 0 :: v_dual_mov_b32 v25, 0
	v_mov_b32_e32 v2, 0xfeffffff
	v_mov_b32_e32 v18, 0
.LBB68_15:
	s_cmp_gt_i32 s36, s14
	s_cbranch_scc1 .LBB68_18
; %bb.16:
	v_mbcnt_lo_u32_b32 v9, -1, 0
	v_mov_b32_e32 v4, 32
	s_delay_alu instid0(VALU_DEP_2)
	v_xor_b32_e32 v6, 16, v9
	v_xor_b32_e32 v3, 8, v9
	;; [unrolled: 1-line block ×5, first 2 shown]
	s_cbranch_execz .LBB68_19
; %bb.17:
	v_mov_b32_e32 v16, v9
	s_branch .LBB68_24
.LBB68_18:
                                        ; implicit-def: $vgpr9
                                        ; implicit-def: $vgpr4
                                        ; implicit-def: $vgpr6
                                        ; implicit-def: $vgpr3
                                        ; implicit-def: $vgpr5
                                        ; implicit-def: $vgpr7
                                        ; implicit-def: $vgpr8
.LBB68_19:
	v_lshl_add_u32 v13, v19, 4, v29
	s_ashr_i32 s15, s14, 31
	s_ashr_i32 s5, s4, 31
	s_sub_co_i32 s9, s36, s14
	s_wait_alu 0xfffe
	s_mul_u64 s[38:39], s[14:15], s[4:5]
	v_mul_lo_u32 v3, s4, v13
	s_wait_alu 0xfffe
	s_lshl_b64 s[36:37], s[38:39], 2
	v_dual_mov_b32 v33, 0 :: v_dual_and_b32 v14, 16, v27
	s_add_nc_u64 s[6:7], s[6:7], s[36:37]
	v_cmp_gt_i32_e64 s3, s9, v13
	s_mov_b32 s36, 0
	s_mov_b64 s[26:27], src_private_base
	v_ashrrev_i32_e32 v4, 31, v3
	s_mov_b32 s37, s36
	s_mov_b32 s38, s36
	v_dual_mov_b32 v29, s36 :: v_dual_mov_b32 v30, s37
	s_delay_alu instid0(VALU_DEP_2)
	v_lshlrev_b64_e32 v[3:4], 2, v[3:4]
	s_wait_alu 0xfffe
	v_mov_b32_e32 v31, s38
	s_clause 0x1
	scratch_store_b32 off, v33, off
	scratch_store_b96 off, v[29:31], off offset:4
	v_add_co_u32 v3, vcc_lo, s6, v3
	s_wait_alu 0xfffd
	v_add_co_ci_u32_e64 v4, null, s7, v4, vcc_lo
	v_mad_u32_u24 v35, 0x70, v13, v14
	s_delay_alu instid0(VALU_DEP_3) | instskip(SKIP_1) | instid1(VALU_DEP_3)
	v_add_co_u32 v27, vcc_lo, v3, v14
	s_wait_alu 0xfffd
	v_add_co_ci_u32_e64 v32, null, 0, v4, vcc_lo
	s_delay_alu instid0(VALU_DEP_2) | instskip(SKIP_1) | instid1(VALU_DEP_2)
	v_add_co_u32 v3, vcc_lo, v27, 64
	s_wait_alu 0xfffd
	v_add_co_ci_u32_e64 v4, null, 0, v32, vcc_lo
	s_wait_alu 0xf1ff
	s_delay_alu instid0(VALU_DEP_2) | instskip(NEXT) | instid1(VALU_DEP_2)
	v_cndmask_b32_e64 v3, 0, v3, s3
	v_cndmask_b32_e64 v4, s27, v4, s3
	flat_load_b128 v[5:8], v[3:4]
	v_lshl_add_u32 v4, v19, 3, v28
	v_and_b32_e32 v3, 12, v21
	s_clause 0x1
	scratch_store_b32 off, v33, off
	scratch_store_b96 off, v[29:31], off offset:4
	v_mul_lo_u32 v10, s4, v4
	v_lshlrev_b32_e32 v9, 2, v3
	s_delay_alu instid0(VALU_DEP_1) | instskip(NEXT) | instid1(VALU_DEP_3)
	v_mad_u32_u24 v38, 0x70, v4, v9
	v_ashrrev_i32_e32 v11, 31, v10
	s_delay_alu instid0(VALU_DEP_1) | instskip(SKIP_1) | instid1(VALU_DEP_2)
	v_lshlrev_b64_e32 v[11:12], 2, v[10:11]
	v_lshl_add_u32 v10, s4, 4, v10
	v_add_co_u32 v3, vcc_lo, s6, v11
	s_wait_alu 0xfffd
	s_delay_alu instid0(VALU_DEP_3) | instskip(NEXT) | instid1(VALU_DEP_2)
	v_add_co_ci_u32_e64 v11, null, s7, v12, vcc_lo
	v_add_co_u32 v3, vcc_lo, v3, v9
	s_wait_alu 0xfffd
	s_delay_alu instid0(VALU_DEP_2) | instskip(SKIP_2) | instid1(VALU_DEP_2)
	v_add_co_ci_u32_e64 v34, null, 0, v11, vcc_lo
	v_cmp_gt_i32_e32 vcc_lo, s9, v4
	s_wait_alu 0xfffd
	v_cndmask_b32_e32 v12, s27, v34, vcc_lo
	v_cndmask_b32_e32 v11, 0, v3, vcc_lo
	s_wait_loadcnt_dscnt 0x0
	ds_store_b128 v35, v[5:8] offset:64
	flat_load_b128 v[5:8], v[11:12]
	v_ashrrev_i32_e32 v11, 31, v10
	v_add_nc_u32_e32 v12, 16, v4
	s_clause 0x1
	scratch_store_b32 off, v33, off
	scratch_store_b96 off, v[29:31], off offset:4
	v_lshlrev_b64_e32 v[10:11], 2, v[10:11]
	s_delay_alu instid0(VALU_DEP_1) | instskip(SKIP_1) | instid1(VALU_DEP_2)
	v_add_co_u32 v10, s4, s6, v10
	s_wait_alu 0xf1ff
	v_add_co_ci_u32_e64 v11, null, s7, v11, s4
	s_delay_alu instid0(VALU_DEP_2) | instskip(SKIP_1) | instid1(VALU_DEP_2)
	v_add_co_u32 v36, s4, v10, v9
	s_wait_alu 0xf1ff
	v_add_co_ci_u32_e64 v37, null, 0, v11, s4
	v_cmp_gt_i32_e64 s4, s9, v12
	s_wait_alu 0xf1ff
	s_delay_alu instid0(VALU_DEP_1)
	v_cndmask_b32_e64 v11, s27, v37, s4
	v_cndmask_b32_e64 v10, 0, v36, s4
	s_wait_loadcnt_dscnt 0x0
	ds_store_b128 v38, v[5:8]
	flat_load_b128 v[5:8], v[10:11]
	v_add_co_u32 v10, s5, 0xa0, v27
	s_wait_alu 0xf1ff
	v_add_co_ci_u32_e64 v27, null, 0, v32, s5
	s_delay_alu instid0(VALU_DEP_1) | instskip(NEXT) | instid1(VALU_DEP_3)
	v_cndmask_b32_e64 v28, s27, v27, s3
	v_cndmask_b32_e64 v27, 0, v10, s3
	v_add_co_u32 v3, s3, 0x60, v3
	v_mov_b32_e32 v11, 0
	s_wait_alu 0xf1ff
	v_add_co_ci_u32_e64 v10, null, 0, v34, s3
	s_wait_loadcnt_dscnt 0x0
	ds_store_b128 v38, v[5:8] offset:1792
	s_wait_storecnt_dscnt 0x0
	s_barrier_signal -1
	s_barrier_wait -1
	global_inv scope:SCOPE_SE
	ds_load_b128 v[5:8], v26
	ds_load_b128 v[12:15], v24
	s_wait_dscnt 0x0
	;;#ASMSTART
	v_dot2_f32_f16 v11, v5, v12, v11
	;;#ASMEND
	;;#ASMSTART
	v_dot2_f32_f16 v11, v6, v13, v11
	;;#ASMEND
	;;#ASMSTART
	v_dot2_f32_f16 v11, v7, v14, v11
	;;#ASMEND
	;;#ASMSTART
	v_dot2_f32_f16 v11, v8, v15, v11
	;;#ASMEND
	ds_load_b128 v[5:8], v26 offset:16
	ds_load_b128 v[12:15], v24 offset:16
	s_wait_dscnt 0x0
	;;#ASMSTART
	v_dot2_f32_f16 v11, v5, v12, v11
	;;#ASMEND
	;;#ASMSTART
	v_dot2_f32_f16 v11, v6, v13, v11
	;;#ASMEND
	;;#ASMSTART
	v_dot2_f32_f16 v11, v7, v14, v11
	;;#ASMEND
	;;#ASMSTART
	v_dot2_f32_f16 v11, v8, v15, v11
	;;#ASMEND
	ds_load_b128 v[5:8], v26 offset:32
	ds_load_b128 v[12:15], v24 offset:32
	s_wait_dscnt 0x0
	;;#ASMSTART
	v_dot2_f32_f16 v11, v5, v12, v11
	;;#ASMEND
	;;#ASMSTART
	v_dot2_f32_f16 v11, v6, v13, v11
	;;#ASMEND
	;;#ASMSTART
	v_dot2_f32_f16 v11, v7, v14, v11
	;;#ASMEND
	;;#ASMSTART
	v_dot2_f32_f16 v11, v8, v15, v11
	;;#ASMEND
	ds_load_b128 v[5:8], v26 offset:48
	ds_load_b128 v[12:15], v24 offset:48
	s_wait_dscnt 0x0
	;;#ASMSTART
	v_dot2_f32_f16 v11, v5, v12, v11
	;;#ASMEND
	;;#ASMSTART
	v_dot2_f32_f16 v11, v6, v13, v11
	;;#ASMEND
	;;#ASMSTART
	v_dot2_f32_f16 v11, v7, v14, v11
	;;#ASMEND
	;;#ASMSTART
	v_dot2_f32_f16 v11, v8, v15, v11
	;;#ASMEND
	ds_load_b128 v[5:8], v26 offset:64
	ds_load_b128 v[12:15], v24 offset:64
	s_wait_dscnt 0x0
	;;#ASMSTART
	v_dot2_f32_f16 v11, v5, v12, v11
	;;#ASMEND
	;;#ASMSTART
	v_dot2_f32_f16 v11, v6, v13, v11
	;;#ASMEND
	;;#ASMSTART
	v_dot2_f32_f16 v11, v7, v14, v11
	;;#ASMEND
	;;#ASMSTART
	v_dot2_f32_f16 v11, v8, v15, v11
	;;#ASMEND
	ds_load_b128 v[5:8], v26 offset:80
	ds_load_b128 v[12:15], v24 offset:80
	s_wait_dscnt 0x0
	;;#ASMSTART
	v_dot2_f32_f16 v11, v5, v12, v11
	;;#ASMEND
	;;#ASMSTART
	v_dot2_f32_f16 v11, v6, v13, v11
	;;#ASMEND
	;; [unrolled: 3-line block ×4, first 2 shown]
	s_wait_loadcnt 0x0
	s_barrier_signal -1
	s_barrier_wait -1
	global_inv scope:SCOPE_SE
	s_clause 0x1
	scratch_store_b32 off, v33, off
	scratch_store_b96 off, v[29:31], off offset:4
	flat_load_b128 v[5:8], v[27:28]
	v_cndmask_b32_e32 v13, s27, v10, vcc_lo
	v_cndmask_b32_e32 v12, 0, v3, vcc_lo
	s_clause 0x1
	scratch_store_b32 off, v33, off
	scratch_store_b96 off, v[29:31], off offset:4
	v_add_co_u32 v3, s3, 0x60, v36
	s_wait_alu 0xf1ff
	v_add_co_ci_u32_e64 v10, null, 0, v37, s3
	s_wait_loadcnt_dscnt 0x0
	ds_store_b128 v35, v[5:8] offset:64
	flat_load_b128 v[5:8], v[12:13]
	v_cndmask_b32_e64 v13, s27, v10, s4
	v_cndmask_b32_e64 v12, 0, v3, s4
	s_clause 0x1
	scratch_store_b32 off, v33, off
	scratch_store_b96 off, v[29:31], off offset:4
	v_mov_b32_e32 v3, 0
	s_mov_b32 s4, exec_lo
	s_wait_loadcnt_dscnt 0x0
	ds_store_b128 v38, v[5:8]
	flat_load_b128 v[5:8], v[12:13]
	s_wait_loadcnt_dscnt 0x0
	ds_store_b128 v38, v[5:8] offset:1792
	s_wait_storecnt_dscnt 0x0
	s_barrier_signal -1
	s_barrier_wait -1
	global_inv scope:SCOPE_SE
	ds_load_b128 v[5:8], v26
	ds_load_b128 v[12:15], v24 offset:96
	s_wait_dscnt 0x0
	;;#ASMSTART
	v_dot2_f32_f16 v11, v5, v12, v11
	;;#ASMEND
	;;#ASMSTART
	v_dot2_f32_f16 v11, v6, v13, v11
	;;#ASMEND
	;;#ASMSTART
	v_dot2_f32_f16 v11, v7, v14, v11
	;;#ASMEND
	;;#ASMSTART
	v_dot2_f32_f16 v11, v8, v15, v11
	;;#ASMEND
	ds_load_b128 v[5:8], v26 offset:16
	ds_load_b128 v[12:15], v24 offset:112
	s_wait_dscnt 0x0
	;;#ASMSTART
	v_dot2_f32_f16 v11, v5, v12, v11
	;;#ASMEND
	;;#ASMSTART
	v_dot2_f32_f16 v11, v6, v13, v11
	;;#ASMEND
	;;#ASMSTART
	v_dot2_f32_f16 v11, v7, v14, v11
	;;#ASMEND
	;;#ASMSTART
	v_dot2_f32_f16 v11, v8, v15, v11
	;;#ASMEND
	ds_load_b128 v[5:8], v26 offset:32
	;; [unrolled: 15-line block ×5, first 2 shown]
	ds_load_b128 v[26:29], v24 offset:176
	v_mov_b32_e32 v5, v2
	s_wait_dscnt 0x0
	;;#ASMSTART
	v_dot2_f32_f16 v11, v12, v26, v11
	;;#ASMEND
	;;#ASMSTART
	v_dot2_f32_f16 v11, v13, v27, v11
	;;#ASMEND
	;;#ASMSTART
	v_dot2_f32_f16 v11, v14, v28, v11
	;;#ASMEND
	;;#ASMSTART
	v_dot2_f32_f16 v11, v15, v29, v11
	;;#ASMEND
	v_cmpx_gt_i32_e64 s9, v1
	s_cbranch_execz .LBB68_23
; %bb.20:
	s_cmp_eq_u64 s[34:35], 0
	s_cbranch_scc1 .LBB68_22
; %bb.21:
	v_mul_hi_u32 v3, s20, v0
	s_delay_alu instid0(VALU_DEP_1) | instskip(NEXT) | instid1(VALU_DEP_1)
	v_add_nc_u32_e32 v3, v0, v3
	v_lshrrev_b32_e32 v3, s21, v3
	s_delay_alu instid0(VALU_DEP_1) | instskip(NEXT) | instid1(VALU_DEP_1)
	v_mul_lo_u32 v3, v3, s22
	v_sub_nc_u32_e32 v3, v0, v3
	s_delay_alu instid0(VALU_DEP_1) | instskip(NEXT) | instid1(VALU_DEP_1)
	v_mul_lo_u32 v3, v3, s33
	v_add3_u32 v5, v3, v1, s14
	s_delay_alu instid0(VALU_DEP_1) | instskip(NEXT) | instid1(VALU_DEP_1)
	v_ashrrev_i32_e32 v6, 31, v5
	v_lshlrev_b64_e32 v[5:6], 1, v[5:6]
	s_delay_alu instid0(VALU_DEP_1) | instskip(SKIP_1) | instid1(VALU_DEP_2)
	v_add_co_u32 v5, s3, s34, v5
	s_wait_alu 0xf1ff
	v_add_co_ci_u32_e64 v6, null, s35, v6, s3
	global_load_u16 v3, v[5:6], off
	s_wait_loadcnt 0x0
	v_cvt_f32_f16_e32 v3, v3
	s_delay_alu instid0(VALU_DEP_1)
	v_mul_f32_e32 v3, v23, v3
.LBB68_22:
	s_delay_alu instid0(VALU_DEP_1) | instskip(SKIP_1) | instid1(VALU_DEP_2)
	v_add_f32_e32 v11, v11, v3
	v_max_num_f32_e32 v5, v2, v2
	v_add_f32_e32 v3, 0x40051340, v11
	s_delay_alu instid0(VALU_DEP_1)
	v_max_num_f32_e32 v5, v5, v3
.LBB68_23:
	s_wait_alu 0xfffe
	s_or_b32 exec_lo, exec_lo, s4
	v_xor_b32_e32 v6, 16, v16
	s_mov_b32 s4, 0
	s_mov_b64 s[6:7], src_private_base
	s_wait_alu 0xfffe
	s_mov_b32 s5, s4
	s_mov_b32 s6, s4
	v_cmp_gt_i32_e64 s3, 32, v6
	v_dual_mov_b32 v70, 0 :: v_dual_and_b32 v21, 28, v21
	s_wait_alu 0xfffe
	v_mov_b32_e32 v64, s6
	s_ashr_i32 s11, s10, 31
	v_cndmask_b32_e64 v3, v16, v6, s3
	s_wait_alu 0xfffe
	s_mul_u64 s[20:21], s[14:15], s[10:11]
	v_mov_b32_e32 v62, s4
	s_wait_alu 0xfffe
	s_lshl_b64 s[20:21], s[20:21], 2
	s_wait_loadcnt 0x0
	v_lshlrev_b32_e32 v3, 2, v3
	s_wait_alu 0xfffe
	s_add_nc_u64 s[20:21], s[24:25], s[20:21]
	s_barrier_signal -1
	s_barrier_wait -1
	global_inv scope:SCOPE_SE
	ds_bpermute_b32 v7, v3, v5
	v_xor_b32_e32 v3, 8, v16
	v_lshlrev_b32_e32 v71, 2, v21
	v_add_nc_u32_e32 v75, 0x800, v17
	v_lshlrev_b32_e32 v27, 1, v1
	v_mov_b32_e32 v63, s5
	v_cmp_gt_i32_e64 s3, 32, v3
	s_or_b32 s4, s14, 16
	s_clause 0x1
	scratch_store_b32 off, v70, off
	scratch_store_b96 off, v[62:64], off offset:4
	s_wait_alu 0xfffe
	s_ashr_i32 s5, s4, 31
	v_cndmask_b32_e64 v8, v16, v3, s3
	v_max_num_f32_e32 v5, v5, v5
	s_wait_alu 0xfffe
	s_mul_u64 s[4:5], s[4:5], s[10:11]
	s_wait_alu 0xfffe
	s_lshl_b64 s[4:5], s[4:5], 2
	v_lshlrev_b32_e32 v8, 2, v8
	s_wait_alu 0xfffe
	s_add_nc_u64 s[4:5], s[24:25], s[4:5]
	s_wait_dscnt 0x0
	v_max_num_f32_e32 v7, v7, v7
	s_delay_alu instid0(VALU_DEP_1) | instskip(SKIP_4) | instid1(VALU_DEP_1)
	v_max_num_f32_e32 v7, v5, v7
	v_xor_b32_e32 v5, 4, v16
	ds_bpermute_b32 v8, v8, v7
	v_cmp_gt_i32_e64 s3, 32, v5
	s_wait_alu 0xf1ff
	v_cndmask_b32_e64 v10, v16, v5, s3
	s_delay_alu instid0(VALU_DEP_1) | instskip(SKIP_2) | instid1(VALU_DEP_1)
	v_lshlrev_b32_e32 v10, 2, v10
	s_wait_dscnt 0x0
	v_max_num_f32_e32 v8, v8, v8
	v_max_num_f32_e32 v8, v7, v8
	v_xor_b32_e32 v7, 2, v16
	ds_bpermute_b32 v10, v10, v8
	v_cmp_gt_i32_e64 s3, 32, v7
	s_wait_alu 0xf1ff
	s_delay_alu instid0(VALU_DEP_1) | instskip(NEXT) | instid1(VALU_DEP_1)
	v_cndmask_b32_e64 v12, v16, v7, s3
	v_lshlrev_b32_e32 v12, 2, v12
	s_wait_dscnt 0x0
	v_max_num_f32_e32 v10, v10, v10
	s_delay_alu instid0(VALU_DEP_1) | instskip(SKIP_4) | instid1(VALU_DEP_1)
	v_max_num_f32_e32 v10, v8, v10
	v_xor_b32_e32 v8, 1, v16
	ds_bpermute_b32 v12, v12, v10
	v_cmp_gt_i32_e64 s3, 32, v8
	s_wait_alu 0xf1ff
	v_cndmask_b32_e64 v13, v16, v8, s3
	s_wait_dscnt 0x0
	s_delay_alu instid0(VALU_DEP_1) | instskip(NEXT) | instid1(VALU_DEP_1)
	v_dual_max_num_f32 v12, v12, v12 :: v_dual_lshlrev_b32 v13, 2, v13
	v_max_num_f32_e32 v10, v10, v12
	ds_bpermute_b32 v12, v13, v10
	s_wait_dscnt 0x0
	v_max_num_f32_e32 v12, v12, v12
	s_delay_alu instid0(VALU_DEP_1) | instskip(NEXT) | instid1(VALU_DEP_1)
	v_max_num_f32_e32 v10, v10, v12
	v_sub_f32_e32 v13, v11, v10
	s_delay_alu instid0(VALU_DEP_1) | instskip(NEXT) | instid1(VALU_DEP_1)
	v_dual_sub_f32 v2, v2, v10 :: v_dual_mul_f32 v11, 0x3fb8aa3b, v13
	v_fma_f32 v12, 0x3fb8aa3b, v13, -v11
	v_rndne_f32_e32 v14, v11
	s_delay_alu instid0(VALU_DEP_1) | instskip(SKIP_2) | instid1(VALU_DEP_3)
	v_dual_fmac_f32 v12, 0x32a5705f, v13 :: v_dual_sub_f32 v15, v11, v14
	v_mul_lo_u32 v11, s10, v4
	v_cvt_i32_f32_e32 v14, v14
	v_dual_add_f32 v12, v15, v12 :: v_dual_lshlrev_b32 v15, 6, v19
	v_lshl_add_u32 v19, v19, 2, v22
	s_delay_alu instid0(VALU_DEP_2) | instskip(NEXT) | instid1(VALU_DEP_4)
	v_exp_f32_e32 v26, v12
	v_ashrrev_i32_e32 v12, 31, v11
	s_delay_alu instid0(VALU_DEP_2) | instskip(SKIP_1) | instid1(VALU_DEP_3)
	v_add_nc_u32_e32 v73, 8, v19
	v_mad_u32_u24 v74, 0xc0, v19, v71
	v_lshlrev_b64_e32 v[23:24], 2, v[11:12]
	s_delay_alu instid0(TRANS32_DEP_1) | instskip(NEXT) | instid1(VALU_DEP_2)
	v_ldexp_f32 v11, v26, v14
	v_add_co_u32 v12, s3, s20, v23
	s_wait_alu 0xf1ff
	s_delay_alu instid0(VALU_DEP_3) | instskip(SKIP_2) | instid1(VALU_DEP_1)
	v_add_co_ci_u32_e64 v14, null, s21, v24, s3
	v_cmp_ngt_f32_e64 s3, 0xc2ce8ed0, v13
	s_wait_alu 0xf1ff
	v_cndmask_b32_e64 v11, 0, v11, s3
	v_add_co_u32 v12, s3, v12, v9
	s_wait_alu 0xf1ff
	v_add_co_ci_u32_e64 v14, null, 0, v14, s3
	v_cmp_nlt_f32_e64 s3, 0x42b17218, v13
	s_wait_alu 0xf1ff
	s_delay_alu instid0(VALU_DEP_1)
	v_cndmask_b32_e64 v11, 0x7f800000, v11, s3
	v_add_co_u32 v13, s3, 0x80, v12
	s_wait_alu 0xf1ff
	v_add_co_ci_u32_e64 v12, null, 0, v14, s3
	v_cmp_gt_u32_e64 s3, s9, v1
	v_add3_u32 v14, 0x1000, v15, v27
	s_delay_alu instid0(VALU_DEP_3) | instskip(SKIP_1) | instid1(VALU_DEP_3)
	v_cndmask_b32_e32 v12, s7, v12, vcc_lo
	s_wait_alu 0xf1ff
	v_cndmask_b32_e64 v69, 0, v11, s3
	v_cndmask_b32_e32 v11, 0, v13, vcc_lo
	s_delay_alu instid0(VALU_DEP_2) | instskip(SKIP_3) | instid1(VALU_DEP_1)
	v_cvt_f16_f32_e32 v26, v69
	ds_store_b16 v14, v26
	flat_load_b128 v[11:14], v[11:12]
	v_mul_lo_u32 v26, s10, v19
	v_ashrrev_i32_e32 v27, 31, v26
	s_delay_alu instid0(VALU_DEP_1) | instskip(SKIP_1) | instid1(VALU_DEP_2)
	v_lshlrev_b64_e32 v[65:66], 2, v[26:27]
	v_mul_u32_u24_e32 v27, 0xc0, v4
	v_add_co_u32 v21, vcc_lo, s20, v65
	s_wait_alu 0xfffd
	s_delay_alu instid0(VALU_DEP_3) | instskip(NEXT) | instid1(VALU_DEP_3)
	v_add_co_ci_u32_e64 v22, null, s21, v66, vcc_lo
	v_or_b32_e32 v72, v27, v9
	s_delay_alu instid0(VALU_DEP_3) | instskip(SKIP_1) | instid1(VALU_DEP_3)
	v_add_co_u32 v21, vcc_lo, v21, v71
	s_wait_alu 0xfffd
	v_add_co_ci_u32_e64 v22, null, 0, v22, vcc_lo
	v_cmp_gt_i32_e32 vcc_lo, s9, v19
	s_wait_alu 0xfffd
	s_delay_alu instid0(VALU_DEP_2)
	v_cndmask_b32_e32 v22, s7, v22, vcc_lo
	v_cndmask_b32_e32 v21, 0, v21, vcc_lo
	s_clause 0x1
	scratch_store_b32 off, v70, off
	scratch_store_b96 off, v[62:64], off offset:4
	s_wait_loadcnt_dscnt 0x0
	ds_store_b128 v72, v[11:14] offset:128
	flat_load_b128 v[11:14], v[21:22]
	v_lshl_add_u32 v21, s10, 3, v26
	s_clause 0x1
	scratch_store_b32 off, v70, off
	scratch_store_b96 off, v[62:64], off offset:4
	v_ashrrev_i32_e32 v22, 31, v21
	s_delay_alu instid0(VALU_DEP_1) | instskip(NEXT) | instid1(VALU_DEP_1)
	v_lshlrev_b64_e32 v[67:68], 2, v[21:22]
	v_add_co_u32 v21, vcc_lo, s20, v67
	s_wait_alu 0xfffd
	s_delay_alu instid0(VALU_DEP_2) | instskip(NEXT) | instid1(VALU_DEP_2)
	v_add_co_ci_u32_e64 v22, null, s21, v68, vcc_lo
	v_add_co_u32 v21, vcc_lo, v21, v71
	s_wait_alu 0xfffd
	s_delay_alu instid0(VALU_DEP_2) | instskip(SKIP_3) | instid1(VALU_DEP_2)
	v_add_co_ci_u32_e64 v22, null, 0, v22, vcc_lo
	v_cmp_gt_i32_e32 vcc_lo, s9, v73
	s_add_co_i32 s9, s9, -16
	s_wait_alu 0xfffd
	v_cndmask_b32_e32 v22, s7, v22, vcc_lo
	v_cndmask_b32_e32 v21, 0, v21, vcc_lo
	s_wait_loadcnt_dscnt 0x0
	ds_store_b128 v74, v[11:14]
	flat_load_b128 v[11:14], v[21:22]
	s_wait_alu 0xfffe
	v_add_co_u32 v21, vcc_lo, s4, v23
	s_wait_alu 0xfffd
	v_add_co_ci_u32_e64 v22, null, s5, v24, vcc_lo
	s_delay_alu instid0(VALU_DEP_2) | instskip(SKIP_1) | instid1(VALU_DEP_2)
	v_add_co_u32 v9, vcc_lo, v21, v9
	s_wait_alu 0xfffd
	v_add_co_ci_u32_e64 v21, null, 0, v22, vcc_lo
	s_delay_alu instid0(VALU_DEP_2) | instskip(SKIP_1) | instid1(VALU_DEP_2)
	v_add_co_u32 v9, vcc_lo, 0x80, v9
	s_wait_alu 0xfffd
	v_add_co_ci_u32_e64 v21, null, 0, v21, vcc_lo
	v_cmp_gt_i32_e32 vcc_lo, s9, v4
	v_add_nc_u32_e32 v4, 0x400, v17
	s_wait_alu 0xfffd
	s_delay_alu instid0(VALU_DEP_3) | instskip(SKIP_4) | instid1(VALU_DEP_2)
	v_cndmask_b32_e32 v59, s7, v21, vcc_lo
	v_cndmask_b32_e32 v58, 0, v9, vcc_lo
	v_add_co_u32 v9, vcc_lo, s4, v65
	s_wait_alu 0xfffd
	v_add_co_ci_u32_e64 v65, null, s5, v66, vcc_lo
	v_add_co_u32 v9, vcc_lo, v9, v71
	s_wait_alu 0xfffd
	s_delay_alu instid0(VALU_DEP_2) | instskip(SKIP_2) | instid1(VALU_DEP_2)
	v_add_co_ci_u32_e64 v65, null, 0, v65, vcc_lo
	v_cmp_gt_i32_e32 vcc_lo, s9, v19
	s_wait_alu 0xfffd
	v_cndmask_b32_e32 v66, s7, v65, vcc_lo
	s_wait_loadcnt_dscnt 0x0
	ds_store_b128 v74, v[11:14] offset:1536
	s_wait_storecnt_dscnt 0x0
	s_barrier_signal -1
	s_barrier_wait -1
	global_inv scope:SCOPE_SE
	ds_load_2addr_b64 v[11:14], v17 offset1:24
	ds_load_b128 v[21:24], v15 offset:4096
	ds_load_b128 v[26:29], v15 offset:4112
	ds_load_2addr_b64 v[30:33], v17 offset0:48 offset1:72
	ds_load_2addr_b64 v[34:37], v17 offset0:96 offset1:120
	ds_load_2addr_b64 v[38:41], v17 offset0:144 offset1:168
	ds_load_2addr_b64 v[42:45], v17 offset0:192 offset1:216
	ds_load_2addr_b64 v[46:49], v4 offset0:112 offset1:136
	ds_load_2addr_b64 v[50:53], v75 offset0:32 offset1:56
	ds_load_2addr_b64 v[54:57], v75 offset0:80 offset1:104
	s_wait_loadcnt_dscnt 0x0
	s_barrier_signal -1
	s_barrier_wait -1
	global_inv scope:SCOPE_SE
	s_clause 0x1
	scratch_store_b32 off, v70, off
	scratch_store_b96 off, v[62:64], off offset:4
	flat_load_b128 v[58:61], v[58:59]
	v_cndmask_b32_e32 v65, 0, v9, vcc_lo
	s_clause 0x1
	scratch_store_b32 off, v70, off
	scratch_store_b96 off, v[62:64], off offset:4
	v_add_co_u32 v9, vcc_lo, s4, v67
	s_wait_alu 0xfffd
	v_add_co_ci_u32_e64 v19, null, s5, v68, vcc_lo
	s_delay_alu instid0(VALU_DEP_2) | instskip(SKIP_1) | instid1(VALU_DEP_2)
	v_add_co_u32 v9, vcc_lo, v9, v71
	s_wait_alu 0xfffd
	v_add_co_ci_u32_e64 v19, null, 0, v19, vcc_lo
	v_cmp_gt_i32_e32 vcc_lo, s9, v73
	s_wait_loadcnt_dscnt 0x0
	ds_store_b128 v72, v[58:61] offset:128
	flat_load_b128 v[58:61], v[65:66]
	s_wait_alu 0xfffd
	v_cndmask_b32_e32 v65, 0, v9, vcc_lo
	v_mul_f32_e32 v9, 0x3fb8aa3b, v2
	v_cndmask_b32_e32 v66, s7, v19, vcc_lo
	s_clause 0x1
	scratch_store_b32 off, v70, off
	scratch_store_b96 off, v[62:64], off offset:4
	v_cmp_ngt_f32_e32 vcc_lo, 0xc2ce8ed0, v2
	v_fma_f32 v19, 0x3fb8aa3b, v2, -v9
	v_rndne_f32_e32 v62, v9
	s_delay_alu instid0(VALU_DEP_2) | instskip(NEXT) | instid1(VALU_DEP_2)
	v_fmac_f32_e32 v19, 0x32a5705f, v2
	v_sub_f32_e32 v9, v9, v62
	s_delay_alu instid0(VALU_DEP_1) | instskip(SKIP_2) | instid1(VALU_DEP_3)
	v_add_f32_e32 v9, v9, v19
	v_cvt_i32_f32_e32 v19, v62
	v_and_b32_e32 v62, 0xffff, v22
	v_exp_f32_e32 v9, v9
	s_delay_alu instid0(TRANS32_DEP_1) | instskip(SKIP_3) | instid1(VALU_DEP_3)
	v_ldexp_f32 v9, v9, v19
	v_and_b32_e32 v19, 0xffff, v21
	v_lshrrev_b32_e32 v21, 16, v21
	s_wait_alu 0xfffd
	v_cndmask_b32_e32 v9, 0, v9, vcc_lo
	v_cmp_nlt_f32_e32 vcc_lo, 0x42b17218, v2
	v_mul_u32_u24_e32 v19, 0x10001, v19
	v_mul_u32_u24_e32 v21, 0x10001, v21
	s_wait_alu 0xfffd
	v_cndmask_b32_e32 v2, 0x7f800000, v9, vcc_lo
	s_delay_alu instid0(VALU_DEP_3) | instskip(SKIP_2) | instid1(VALU_DEP_4)
	v_pk_mul_f16 v11, v11, v19
	v_pk_mul_f16 v12, v12, v19
	v_mul_u32_u24_e32 v19, 0x10001, v62
	v_cvt_f16_f32_e32 v9, v2
	v_dual_fmac_f32 v69, v25, v2 :: v_dual_mov_b32 v2, v10
	s_delay_alu instid0(VALU_DEP_2) | instskip(NEXT) | instid1(VALU_DEP_2)
	v_and_b32_e32 v9, 0xffff, v9
	v_mov_b32_e32 v25, v69
	s_delay_alu instid0(VALU_DEP_2) | instskip(NEXT) | instid1(VALU_DEP_1)
	v_mul_u32_u24_e32 v9, 0x10001, v9
	v_pk_fma_f16 v11, v18, v9, v11
	v_pk_fma_f16 v9, v20, v9, v12
	v_and_b32_e32 v12, 0xffff, v23
	v_lshrrev_b32_e32 v18, 16, v22
	v_lshrrev_b32_e32 v20, 16, v28
	v_pk_fma_f16 v11, v13, v21, v11
	v_pk_fma_f16 v9, v14, v21, v9
	v_lshrrev_b32_e32 v14, 16, v23
	v_mul_u32_u24_e32 v13, 0x10001, v18
	v_mul_u32_u24_e32 v12, 0x10001, v12
	v_pk_fma_f16 v11, v30, v19, v11
	v_pk_fma_f16 v9, v31, v19, v9
	v_and_b32_e32 v18, 0xffff, v24
	v_mul_u32_u24_e32 v14, 0x10001, v14
	v_and_b32_e32 v19, 0xffff, v28
	v_pk_fma_f16 v11, v32, v13, v11
	v_pk_fma_f16 v9, v33, v13, v9
	v_lshrrev_b32_e32 v13, 16, v24
	v_mul_u32_u24_e32 v18, 0x10001, v18
	v_mul_u32_u24_e32 v22, 0x10001, v19
	v_pk_fma_f16 v11, v34, v12, v11
	v_pk_fma_f16 v9, v35, v12, v9
	v_and_b32_e32 v12, 0xffff, v26
	v_mul_u32_u24_e32 v13, 0x10001, v13
	v_mul_u32_u24_e32 v23, 0x10001, v20
	v_pk_fma_f16 v11, v36, v14, v11
	v_pk_fma_f16 v9, v37, v14, v9
	v_lshrrev_b32_e32 v14, 16, v26
	v_mul_u32_u24_e32 v12, 0x10001, v12
	v_lshrrev_b32_e32 v26, 16, v29
	v_pk_fma_f16 v11, v38, v18, v11
	v_pk_fma_f16 v9, v39, v18, v9
	v_and_b32_e32 v18, 0xffff, v27
	v_mul_u32_u24_e32 v14, 0x10001, v14
	s_delay_alu instid0(VALU_DEP_4) | instskip(NEXT) | instid1(VALU_DEP_4)
	v_pk_fma_f16 v11, v40, v13, v11
	v_pk_fma_f16 v9, v41, v13, v9
	v_lshrrev_b32_e32 v13, 16, v27
	v_mul_u32_u24_e32 v18, 0x10001, v18
	s_delay_alu instid0(VALU_DEP_4) | instskip(NEXT) | instid1(VALU_DEP_4)
	v_pk_fma_f16 v11, v42, v12, v11
	v_pk_fma_f16 v9, v43, v12, v9
	s_delay_alu instid0(VALU_DEP_4) | instskip(NEXT) | instid1(VALU_DEP_3)
	v_mul_u32_u24_e32 v21, 0x10001, v13
	v_pk_fma_f16 v11, v44, v14, v11
	s_delay_alu instid0(VALU_DEP_3) | instskip(NEXT) | instid1(VALU_DEP_2)
	v_pk_fma_f16 v9, v45, v14, v9
	v_pk_fma_f16 v19, v46, v18, v11
	s_delay_alu instid0(VALU_DEP_2) | instskip(NEXT) | instid1(VALU_DEP_2)
	v_pk_fma_f16 v9, v47, v18, v9
	v_pk_fma_f16 v18, v48, v21, v19
	v_and_b32_e32 v19, 0xffff, v29
	s_delay_alu instid0(VALU_DEP_3) | instskip(NEXT) | instid1(VALU_DEP_3)
	v_pk_fma_f16 v9, v49, v21, v9
	v_pk_fma_f16 v24, v50, v22, v18
	s_delay_alu instid0(VALU_DEP_3) | instskip(NEXT) | instid1(VALU_DEP_3)
	v_mul_u32_u24_e32 v34, 0x10001, v19
	v_pk_fma_f16 v9, v51, v22, v9
	s_delay_alu instid0(VALU_DEP_3) | instskip(SKIP_1) | instid1(VALU_DEP_3)
	v_pk_fma_f16 v22, v52, v23, v24
	v_mul_u32_u24_e32 v24, 0x10001, v26
	v_pk_fma_f16 v9, v53, v23, v9
	s_delay_alu instid0(VALU_DEP_3) | instskip(NEXT) | instid1(VALU_DEP_2)
	v_pk_fma_f16 v22, v54, v34, v22
	v_pk_fma_f16 v9, v55, v34, v9
	s_delay_alu instid0(VALU_DEP_2) | instskip(NEXT) | instid1(VALU_DEP_2)
	v_pk_fma_f16 v22, v56, v24, v22
	v_pk_fma_f16 v9, v57, v24, v9
	s_wait_loadcnt_dscnt 0x0
	ds_store_b128 v74, v[58:61]
	flat_load_b128 v[58:61], v[65:66]
	s_wait_loadcnt_dscnt 0x0
	ds_store_b128 v74, v[58:61] offset:1536
	s_wait_storecnt_dscnt 0x0
	s_barrier_signal -1
	s_barrier_wait -1
	global_inv scope:SCOPE_SE
	ds_load_b128 v[11:14], v15 offset:4128
	ds_load_2addr_b64 v[18:21], v17 offset1:24
	ds_load_b128 v[26:29], v15 offset:4144
	ds_load_2addr_b64 v[30:33], v17 offset0:48 offset1:72
	ds_load_2addr_b64 v[34:37], v17 offset0:96 offset1:120
	s_wait_dscnt 0x4
	v_and_b32_e32 v15, 0xffff, v11
	v_lshrrev_b32_e32 v11, 16, v11
	v_and_b32_e32 v23, 0xffff, v12
	v_lshrrev_b32_e32 v12, 16, v12
	s_delay_alu instid0(VALU_DEP_4) | instskip(NEXT) | instid1(VALU_DEP_4)
	v_mul_u32_u24_e32 v15, 0x10001, v15
	v_mul_u32_u24_e32 v11, 0x10001, v11
	s_delay_alu instid0(VALU_DEP_3) | instskip(SKIP_1) | instid1(VALU_DEP_3)
	v_mul_u32_u24_e32 v12, 0x10001, v12
	s_wait_dscnt 0x3
	v_pk_fma_f16 v18, v18, v15, v22
	v_pk_fma_f16 v9, v19, v15, v9
	v_mul_u32_u24_e32 v15, 0x10001, v23
	s_delay_alu instid0(VALU_DEP_3) | instskip(NEXT) | instid1(VALU_DEP_3)
	v_pk_fma_f16 v22, v20, v11, v18
	v_pk_fma_f16 v9, v21, v11, v9
	ds_load_2addr_b64 v[18:21], v17 offset0:144 offset1:168
	v_and_b32_e32 v11, 0xffff, v13
	v_lshrrev_b32_e32 v13, 16, v13
	s_wait_dscnt 0x2
	v_pk_fma_f16 v22, v30, v15, v22
	v_pk_fma_f16 v9, v31, v15, v9
	v_mul_u32_u24_e32 v11, 0x10001, v11
	v_mul_u32_u24_e32 v13, 0x10001, v13
	s_delay_alu instid0(VALU_DEP_4) | instskip(NEXT) | instid1(VALU_DEP_4)
	v_pk_fma_f16 v15, v32, v12, v22
	v_pk_fma_f16 v9, v33, v12, v9
	ds_load_2addr_b64 v[30:33], v17 offset0:192 offset1:216
	v_and_b32_e32 v12, 0xffff, v14
	v_lshrrev_b32_e32 v17, 16, v14
	s_wait_dscnt 0x2
	v_pk_fma_f16 v15, v34, v11, v15
	v_pk_fma_f16 v9, v35, v11, v9
	v_mul_u32_u24_e32 v22, 0x10001, v12
	v_mul_u32_u24_e32 v17, 0x10001, v17
	s_delay_alu instid0(VALU_DEP_4) | instskip(NEXT) | instid1(VALU_DEP_4)
	v_pk_fma_f16 v15, v36, v13, v15
	v_pk_fma_f16 v9, v37, v13, v9
	ds_load_2addr_b64 v[11:14], v4 offset0:112 offset1:136
	v_and_b32_e32 v4, 0xffff, v26
	s_wait_dscnt 0x2
	v_pk_fma_f16 v15, v18, v22, v15
	v_pk_fma_f16 v9, v19, v22, v9
	v_lshrrev_b32_e32 v22, 16, v26
	v_mul_u32_u24_e32 v4, 0x10001, v4
	s_delay_alu instid0(VALU_DEP_4) | instskip(NEXT) | instid1(VALU_DEP_4)
	v_pk_fma_f16 v15, v20, v17, v15
	v_pk_fma_f16 v9, v21, v17, v9
	ds_load_2addr_b64 v[17:20], v75 offset0:32 offset1:56
	v_and_b32_e32 v21, 0xffff, v27
	v_mul_u32_u24_e32 v22, 0x10001, v22
	s_wait_dscnt 0x2
	v_pk_fma_f16 v15, v30, v4, v15
	v_pk_fma_f16 v4, v31, v4, v9
	v_lshrrev_b32_e32 v9, 16, v27
	v_mul_u32_u24_e32 v26, 0x10001, v21
	v_and_b32_e32 v27, 0xffff, v28
	v_pk_fma_f16 v15, v32, v22, v15
	v_pk_fma_f16 v4, v33, v22, v4
	ds_load_2addr_b64 v[21:24], v75 offset0:80 offset1:104
	v_mul_u32_u24_e32 v9, 0x10001, v9
	s_wait_loadcnt_dscnt 0x0
	v_pk_fma_f16 v11, v11, v26, v15
	v_pk_fma_f16 v4, v12, v26, v4
	v_lshrrev_b32_e32 v12, 16, v28
	v_mul_u32_u24_e32 v15, 0x10001, v27
	s_barrier_signal -1
	v_pk_fma_f16 v11, v13, v9, v11
	v_pk_fma_f16 v4, v14, v9, v4
	v_and_b32_e32 v9, 0xffff, v29
	v_mul_u32_u24_e32 v12, 0x10001, v12
	v_lshrrev_b32_e32 v13, 16, v29
	v_pk_fma_f16 v11, v17, v15, v11
	v_pk_fma_f16 v4, v18, v15, v4
	v_mul_u32_u24_e32 v9, 0x10001, v9
	s_barrier_wait -1
	global_inv scope:SCOPE_SE
	v_pk_fma_f16 v11, v19, v12, v11
	v_pk_fma_f16 v4, v20, v12, v4
	v_mul_u32_u24_e32 v12, 0x10001, v13
	s_delay_alu instid0(VALU_DEP_3) | instskip(NEXT) | instid1(VALU_DEP_3)
	v_pk_fma_f16 v11, v21, v9, v11
	v_pk_fma_f16 v9, v22, v9, v4
	v_mov_b32_e32 v4, 32
	s_delay_alu instid0(VALU_DEP_3) | instskip(NEXT) | instid1(VALU_DEP_3)
	v_pk_fma_f16 v18, v23, v12, v11
	v_pk_fma_f16 v20, v24, v12, v9
.LBB68_24:
	s_delay_alu instid0(VALU_DEP_3)
	v_cmp_lt_i32_e32 vcc_lo, v6, v4
	s_cmp_eq_u64 s[12:13], 0
	s_cselect_b32 s3, -1, 0
	s_cmp_lg_u32 s8, 0
	s_wait_alu 0xfffd
	v_cndmask_b32_e32 v6, v16, v6, vcc_lo
	v_cmp_lt_i32_e32 vcc_lo, v3, v4
	s_cselect_b32 s4, -1, 0
	s_wait_alu 0xfffe
	s_or_b32 s3, s4, s3
	s_wait_alu 0xfffd
	v_cndmask_b32_e32 v3, v16, v3, vcc_lo
	v_cmp_lt_i32_e32 vcc_lo, v5, v4
	s_delay_alu instid0(VALU_DEP_2)
	v_lshlrev_b32_e32 v3, 2, v3
	s_wait_alu 0xfffd
	v_dual_cndmask_b32 v5, v16, v5 :: v_dual_lshlrev_b32 v6, 2, v6
	v_cmp_lt_i32_e32 vcc_lo, v7, v4
	ds_bpermute_b32 v6, v6, v25
	s_wait_dscnt 0x0
	v_dual_add_f32 v6, v25, v6 :: v_dual_lshlrev_b32 v5, 2, v5
	ds_bpermute_b32 v3, v3, v6
	s_wait_dscnt 0x0
	v_add_f32_e32 v3, v6, v3
	s_wait_alu 0xfffd
	v_cndmask_b32_e32 v6, v16, v7, vcc_lo
	v_cmp_lt_i32_e32 vcc_lo, v8, v4
	s_delay_alu instid0(VALU_DEP_2)
	v_lshlrev_b32_e32 v6, 2, v6
	ds_bpermute_b32 v5, v5, v3
	s_wait_alu 0xfffd
	v_cndmask_b32_e32 v4, v16, v8, vcc_lo
	s_wait_alu 0xfffe
	s_and_b32 vcc_lo, exec_lo, s3
	s_wait_dscnt 0x0
	v_add_f32_e32 v3, v3, v5
	ds_bpermute_b32 v5, v6, v3
	s_wait_dscnt 0x0
	v_dual_add_f32 v3, v3, v5 :: v_dual_lshlrev_b32 v4, 2, v4
	ds_bpermute_b32 v4, v4, v3
	s_wait_dscnt 0x0
	v_add_f32_e32 v3, v3, v4
	s_wait_alu 0xfffe
	s_cbranch_vccnz .LBB68_26
; %bb.25:
	v_dual_mov_b32 v4, 0 :: v_dual_max_num_f32 v5, v2, v2
	s_lshl_b64 s[4:5], s[30:31], 2
	s_wait_alu 0xfffe
	s_add_nc_u64 s[4:5], s[12:13], s[4:5]
	global_load_b32 v4, v4, s[4:5]
	s_wait_loadcnt 0x0
	v_max_num_f32_e32 v6, v4, v4
	s_delay_alu instid0(VALU_DEP_1) | instskip(NEXT) | instid1(VALU_DEP_1)
	v_max_num_f32_e32 v5, v5, v6
	v_sub_f32_e32 v2, v2, v5
	s_delay_alu instid0(VALU_DEP_1) | instskip(NEXT) | instid1(VALU_DEP_1)
	v_mul_f32_e32 v6, 0x3fb8aa3b, v2
	v_rndne_f32_e32 v8, v6
	v_fma_f32 v7, 0x3fb8aa3b, v2, -v6
	s_delay_alu instid0(VALU_DEP_2) | instskip(SKIP_2) | instid1(VALU_DEP_2)
	v_sub_f32_e32 v6, v6, v8
	v_sub_f32_e32 v4, v4, v5
	v_cvt_i32_f32_e32 v8, v8
	v_mul_f32_e32 v9, 0x3fb8aa3b, v4
	v_fmac_f32_e32 v7, 0x32a5705f, v2
	v_cmp_ngt_f32_e32 vcc_lo, 0xc2ce8ed0, v2
	s_delay_alu instid0(VALU_DEP_3) | instskip(SKIP_1) | instid1(VALU_DEP_4)
	v_fma_f32 v10, 0x3fb8aa3b, v4, -v9
	v_rndne_f32_e32 v11, v9
	v_add_f32_e32 v6, v6, v7
	s_delay_alu instid0(VALU_DEP_2) | instskip(NEXT) | instid1(VALU_DEP_2)
	v_dual_fmac_f32 v10, 0x32a5705f, v4 :: v_dual_sub_f32 v7, v9, v11
	v_exp_f32_e32 v6, v6
	s_delay_alu instid0(VALU_DEP_1) | instskip(NEXT) | instid1(VALU_DEP_1)
	v_add_f32_e32 v7, v7, v10
	v_exp_f32_e32 v7, v7
	s_delay_alu instid0(TRANS32_DEP_2) | instskip(SKIP_2) | instid1(VALU_DEP_2)
	v_ldexp_f32 v6, v6, v8
	v_cvt_i32_f32_e32 v8, v11
	s_wait_alu 0xfffd
	v_cndmask_b32_e32 v6, 0, v6, vcc_lo
	v_cmp_nlt_f32_e32 vcc_lo, 0x42b17218, v2
	s_delay_alu instid0(TRANS32_DEP_1) | instid1(VALU_DEP_3)
	v_ldexp_f32 v7, v7, v8
	s_wait_alu 0xfffd
	s_delay_alu instid0(VALU_DEP_3) | instskip(SKIP_3) | instid1(VALU_DEP_3)
	v_cndmask_b32_e32 v2, 0x7f800000, v6, vcc_lo
	v_cmp_ngt_f32_e32 vcc_lo, 0xc2ce8ed0, v4
	s_wait_alu 0xfffd
	v_cndmask_b32_e32 v6, 0, v7, vcc_lo
	v_cvt_f16_f32_e32 v7, v2
	v_cmp_nlt_f32_e32 vcc_lo, 0x42b17218, v4
	s_wait_alu 0xfffd
	s_delay_alu instid0(VALU_DEP_3) | instskip(NEXT) | instid1(VALU_DEP_3)
	v_cndmask_b32_e32 v4, 0x7f800000, v6, vcc_lo
	v_and_b32_e32 v6, 0xffff, v7
	s_delay_alu instid0(VALU_DEP_2) | instskip(NEXT) | instid1(VALU_DEP_2)
	v_fmac_f32_e32 v4, v3, v2
	v_mul_u32_u24_e32 v2, 0x10001, v6
	s_delay_alu instid0(VALU_DEP_2) | instskip(NEXT) | instid1(VALU_DEP_2)
	v_mov_b32_e32 v3, v4
	v_pk_mul_f16 v18, v18, v2
	v_pk_mul_f16 v20, v20, v2
	v_mov_b32_e32 v2, v5
.LBB68_26:
	s_mov_b32 s3, exec_lo
	v_cmpx_gt_i32_e64 s22, v0
	s_cbranch_execz .LBB68_31
; %bb.27:
	s_load_b32 s0, s[0:1], 0xd4
	v_mad_co_u64_u32 v[4:5], null, s28, s22, v[0:1]
	s_delay_alu instid0(VALU_DEP_1) | instskip(SKIP_1) | instid1(VALU_DEP_1)
	v_mad_co_u64_u32 v[4:5], null, v4, s23, s[30:31]
	s_wait_kmcnt 0x0
	v_mad_co_u64_u32 v[4:5], null, s0, v4, s[8:9]
	s_cmp_lg_u32 s0, 1
	s_cselect_b32 s0, -1, 0
	s_and_saveexec_b32 s1, s2
	s_cbranch_execz .LBB68_29
; %bb.28:
	v_div_scale_f32 v0, null, v3, v3, 1.0
	v_div_scale_f32 v7, vcc_lo, 1.0, v3, 1.0
	v_cvt_f32_f16_e32 v11, v20
	s_delay_alu instid0(VALU_DEP_3) | instskip(SKIP_1) | instid1(TRANS32_DEP_1)
	v_rcp_f32_e32 v5, v0
	v_cvt_f32_f16_e32 v13, v18
	v_fma_f32 v6, -v0, v5, 1.0
	s_delay_alu instid0(VALU_DEP_1) | instskip(NEXT) | instid1(VALU_DEP_1)
	v_fmac_f32_e32 v5, v6, v5
	v_mul_f32_e32 v6, v7, v5
	s_delay_alu instid0(VALU_DEP_1) | instskip(NEXT) | instid1(VALU_DEP_1)
	v_fma_f32 v8, -v0, v6, v7
	v_fmac_f32_e32 v6, v8, v5
	v_lshrrev_b32_e32 v8, 16, v18
	s_delay_alu instid0(VALU_DEP_2) | instskip(SKIP_1) | instid1(VALU_DEP_3)
	v_fma_f32 v0, -v0, v6, v7
	v_lshrrev_b32_e32 v7, 16, v20
	v_cvt_f32_f16_e32 v12, v8
	s_wait_alu 0xfffd
	s_delay_alu instid0(VALU_DEP_3) | instskip(SKIP_3) | instid1(VALU_DEP_4)
	v_div_fmas_f32 v0, v0, v5, v6
	v_mul_lo_u32 v5, 0x60, v4
	v_mov_b32_e32 v6, 0
	v_cvt_f32_f16_e32 v7, v7
	v_div_fixup_f32 v0, v0, v3, 1.0
	s_delay_alu instid0(VALU_DEP_4) | instskip(SKIP_1) | instid1(VALU_DEP_2)
	v_lshl_add_u32 v5, v1, 2, v5
	s_wait_alu 0xfffe
	v_cndmask_b32_e64 v0, v0, 1.0, s0
	s_delay_alu instid0(VALU_DEP_2) | instskip(NEXT) | instid1(VALU_DEP_2)
	v_lshlrev_b64_e32 v[9:10], 2, v[5:6]
	v_mul_f32_e32 v8, v0, v7
	v_mul_f32_e32 v7, v0, v11
	;; [unrolled: 1-line block ×4, first 2 shown]
	v_add_co_u32 v9, vcc_lo, s16, v9
	s_wait_alu 0xfffd
	v_add_co_ci_u32_e64 v10, null, s17, v10, vcc_lo
	global_store_b128 v[9:10], v[5:8], off
.LBB68_29:
	s_wait_alu 0xfffe
	s_or_b32 exec_lo, exec_lo, s1
	v_cmp_eq_u32_e32 vcc_lo, 0, v1
	s_and_b32 s0, vcc_lo, s0
	s_wait_alu 0xfffe
	s_and_b32 exec_lo, exec_lo, s0
	s_cbranch_execz .LBB68_31
; %bb.30:
	v_ashrrev_i32_e32 v5, 31, v4
	s_delay_alu instid0(VALU_DEP_1) | instskip(NEXT) | instid1(VALU_DEP_1)
	v_lshlrev_b64_e32 v[0:1], 3, v[4:5]
	v_add_co_u32 v0, vcc_lo, s18, v0
	s_wait_alu 0xfffd
	s_delay_alu instid0(VALU_DEP_2)
	v_add_co_ci_u32_e64 v1, null, s19, v1, vcc_lo
	global_store_b64 v[0:1], v[2:3], off
.LBB68_31:
	s_nop 0
	s_sendmsg sendmsg(MSG_DEALLOC_VGPRS)
	s_endpgm
	.section	.rodata,"a",@progbits
	.p2align	6, 0x0
	.amdhsa_kernel _ZL15flash_attn_tileILi96ELi96ELi2ELi1ELb0EEvPKcS1_S1_S1_S1_PKiPfP15HIP_vector_typeIfLj2EEffffjfiS5_IjLj3EEiiiiiiiiiiiliiliiiiil
		.amdhsa_group_segment_fixed_size 4224
		.amdhsa_private_segment_fixed_size 32
		.amdhsa_kernarg_size 464
		.amdhsa_user_sgpr_count 2
		.amdhsa_user_sgpr_dispatch_ptr 0
		.amdhsa_user_sgpr_queue_ptr 0
		.amdhsa_user_sgpr_kernarg_segment_ptr 1
		.amdhsa_user_sgpr_dispatch_id 0
		.amdhsa_user_sgpr_private_segment_size 0
		.amdhsa_wavefront_size32 1
		.amdhsa_uses_dynamic_stack 0
		.amdhsa_enable_private_segment 1
		.amdhsa_system_sgpr_workgroup_id_x 1
		.amdhsa_system_sgpr_workgroup_id_y 1
		.amdhsa_system_sgpr_workgroup_id_z 1
		.amdhsa_system_sgpr_workgroup_info 0
		.amdhsa_system_vgpr_workitem_id 1
		.amdhsa_next_free_vgpr 101
		.amdhsa_next_free_sgpr 46
		.amdhsa_reserve_vcc 1
		.amdhsa_float_round_mode_32 0
		.amdhsa_float_round_mode_16_64 0
		.amdhsa_float_denorm_mode_32 3
		.amdhsa_float_denorm_mode_16_64 3
		.amdhsa_fp16_overflow 0
		.amdhsa_workgroup_processor_mode 1
		.amdhsa_memory_ordered 1
		.amdhsa_forward_progress 1
		.amdhsa_inst_pref_size 90
		.amdhsa_round_robin_scheduling 0
		.amdhsa_exception_fp_ieee_invalid_op 0
		.amdhsa_exception_fp_denorm_src 0
		.amdhsa_exception_fp_ieee_div_zero 0
		.amdhsa_exception_fp_ieee_overflow 0
		.amdhsa_exception_fp_ieee_underflow 0
		.amdhsa_exception_fp_ieee_inexact 0
		.amdhsa_exception_int_div_zero 0
	.end_amdhsa_kernel
	.section	.text._ZL15flash_attn_tileILi96ELi96ELi2ELi1ELb0EEvPKcS1_S1_S1_S1_PKiPfP15HIP_vector_typeIfLj2EEffffjfiS5_IjLj3EEiiiiiiiiiiiliiliiiiil,"axG",@progbits,_ZL15flash_attn_tileILi96ELi96ELi2ELi1ELb0EEvPKcS1_S1_S1_S1_PKiPfP15HIP_vector_typeIfLj2EEffffjfiS5_IjLj3EEiiiiiiiiiiiliiliiiiil,comdat
.Lfunc_end68:
	.size	_ZL15flash_attn_tileILi96ELi96ELi2ELi1ELb0EEvPKcS1_S1_S1_S1_PKiPfP15HIP_vector_typeIfLj2EEffffjfiS5_IjLj3EEiiiiiiiiiiiliiliiiiil, .Lfunc_end68-_ZL15flash_attn_tileILi96ELi96ELi2ELi1ELb0EEvPKcS1_S1_S1_S1_PKiPfP15HIP_vector_typeIfLj2EEffffjfiS5_IjLj3EEiiiiiiiiiiiliiliiiiil
                                        ; -- End function
	.set _ZL15flash_attn_tileILi96ELi96ELi2ELi1ELb0EEvPKcS1_S1_S1_S1_PKiPfP15HIP_vector_typeIfLj2EEffffjfiS5_IjLj3EEiiiiiiiiiiiliiliiiiil.num_vgpr, 101
	.set _ZL15flash_attn_tileILi96ELi96ELi2ELi1ELb0EEvPKcS1_S1_S1_S1_PKiPfP15HIP_vector_typeIfLj2EEffffjfiS5_IjLj3EEiiiiiiiiiiiliiliiiiil.num_agpr, 0
	.set _ZL15flash_attn_tileILi96ELi96ELi2ELi1ELb0EEvPKcS1_S1_S1_S1_PKiPfP15HIP_vector_typeIfLj2EEffffjfiS5_IjLj3EEiiiiiiiiiiiliiliiiiil.numbered_sgpr, 46
	.set _ZL15flash_attn_tileILi96ELi96ELi2ELi1ELb0EEvPKcS1_S1_S1_S1_PKiPfP15HIP_vector_typeIfLj2EEffffjfiS5_IjLj3EEiiiiiiiiiiiliiliiiiil.num_named_barrier, 0
	.set _ZL15flash_attn_tileILi96ELi96ELi2ELi1ELb0EEvPKcS1_S1_S1_S1_PKiPfP15HIP_vector_typeIfLj2EEffffjfiS5_IjLj3EEiiiiiiiiiiiliiliiiiil.private_seg_size, 32
	.set _ZL15flash_attn_tileILi96ELi96ELi2ELi1ELb0EEvPKcS1_S1_S1_S1_PKiPfP15HIP_vector_typeIfLj2EEffffjfiS5_IjLj3EEiiiiiiiiiiiliiliiiiil.uses_vcc, 1
	.set _ZL15flash_attn_tileILi96ELi96ELi2ELi1ELb0EEvPKcS1_S1_S1_S1_PKiPfP15HIP_vector_typeIfLj2EEffffjfiS5_IjLj3EEiiiiiiiiiiiliiliiiiil.uses_flat_scratch, 1
	.set _ZL15flash_attn_tileILi96ELi96ELi2ELi1ELb0EEvPKcS1_S1_S1_S1_PKiPfP15HIP_vector_typeIfLj2EEffffjfiS5_IjLj3EEiiiiiiiiiiiliiliiiiil.has_dyn_sized_stack, 0
	.set _ZL15flash_attn_tileILi96ELi96ELi2ELi1ELb0EEvPKcS1_S1_S1_S1_PKiPfP15HIP_vector_typeIfLj2EEffffjfiS5_IjLj3EEiiiiiiiiiiiliiliiiiil.has_recursion, 0
	.set _ZL15flash_attn_tileILi96ELi96ELi2ELi1ELb0EEvPKcS1_S1_S1_S1_PKiPfP15HIP_vector_typeIfLj2EEffffjfiS5_IjLj3EEiiiiiiiiiiiliiliiiiil.has_indirect_call, 0
	.section	.AMDGPU.csdata,"",@progbits
; Kernel info:
; codeLenInByte = 11400
; TotalNumSgprs: 48
; NumVgprs: 101
; ScratchSize: 32
; MemoryBound: 0
; FloatMode: 240
; IeeeMode: 1
; LDSByteSize: 4224 bytes/workgroup (compile time only)
; SGPRBlocks: 0
; VGPRBlocks: 12
; NumSGPRsForWavesPerEU: 48
; NumVGPRsForWavesPerEU: 101
; Occupancy: 12
; WaveLimiterHint : 1
; COMPUTE_PGM_RSRC2:SCRATCH_EN: 1
; COMPUTE_PGM_RSRC2:USER_SGPR: 2
; COMPUTE_PGM_RSRC2:TRAP_HANDLER: 0
; COMPUTE_PGM_RSRC2:TGID_X_EN: 1
; COMPUTE_PGM_RSRC2:TGID_Y_EN: 1
; COMPUTE_PGM_RSRC2:TGID_Z_EN: 1
; COMPUTE_PGM_RSRC2:TIDIG_COMP_CNT: 1
	.section	.text._ZL33flash_attn_stream_k_fixup_uniformILi96ELi2ELi1EEvPfPK15HIP_vector_typeIfLj2EEiiiiiiS1_IjLj3EES5_S5_,"axG",@progbits,_ZL33flash_attn_stream_k_fixup_uniformILi96ELi2ELi1EEvPfPK15HIP_vector_typeIfLj2EEiiiiiiS1_IjLj3EES5_S5_,comdat
	.globl	_ZL33flash_attn_stream_k_fixup_uniformILi96ELi2ELi1EEvPfPK15HIP_vector_typeIfLj2EEiiiiiiS1_IjLj3EES5_S5_ ; -- Begin function _ZL33flash_attn_stream_k_fixup_uniformILi96ELi2ELi1EEvPfPK15HIP_vector_typeIfLj2EEiiiiiiS1_IjLj3EES5_S5_
	.p2align	8
	.type	_ZL33flash_attn_stream_k_fixup_uniformILi96ELi2ELi1EEvPfPK15HIP_vector_typeIfLj2EEiiiiiiS1_IjLj3EES5_S5_,@function
_ZL33flash_attn_stream_k_fixup_uniformILi96ELi2ELi1EEvPfPK15HIP_vector_typeIfLj2EEiiiiiiS1_IjLj3EES5_S5_: ; @_ZL33flash_attn_stream_k_fixup_uniformILi96ELi2ELi1EEvPfPK15HIP_vector_typeIfLj2EEiiiiiiS1_IjLj3EES5_S5_
; %bb.0:
	s_clause 0x1
	s_load_b256 s[4:11], s[0:1], 0x1c
	s_load_b128 s[12:15], s[0:1], 0x3c
	s_wait_kmcnt 0x0
	s_mul_hi_u32 s2, s7, ttmp9
	s_delay_alu instid0(SALU_CYCLE_1) | instskip(NEXT) | instid1(SALU_CYCLE_1)
	s_add_co_i32 s2, ttmp9, s2
	s_lshr_b32 s2, s2, s8
	s_delay_alu instid0(SALU_CYCLE_1) | instskip(SKIP_2) | instid1(SALU_CYCLE_1)
	s_mul_i32 s3, s2, s9
	s_load_b64 s[8:9], s[0:1], 0x10
	s_sub_co_i32 s3, ttmp9, s3
	s_mul_hi_u32 s7, s3, s10
	s_delay_alu instid0(SALU_CYCLE_1) | instskip(NEXT) | instid1(SALU_CYCLE_1)
	s_add_co_i32 s7, s3, s7
	s_lshr_b32 s7, s7, s11
	s_lshr_b32 s11, ttmp7, 16
	s_mul_i32 s10, s7, s12
	s_delay_alu instid0(SALU_CYCLE_1) | instskip(NEXT) | instid1(SALU_CYCLE_1)
	s_sub_co_i32 s3, s3, s10
	s_mul_hi_u32 s10, s3, s13
	s_delay_alu instid0(SALU_CYCLE_1) | instskip(NEXT) | instid1(SALU_CYCLE_1)
	s_add_co_i32 s10, s3, s10
	s_lshr_b32 s13, s10, s14
	s_delay_alu instid0(SALU_CYCLE_1) | instskip(NEXT) | instid1(SALU_CYCLE_1)
	s_mul_i32 s10, s13, s15
	s_sub_co_i32 s12, s3, s10
	s_and_b32 s10, ttmp7, 0xffff
	s_lshl_b32 s3, s12, 1
	s_delay_alu instid0(SALU_CYCLE_1) | instskip(SKIP_4) | instid1(SALU_CYCLE_1)
	s_add_co_i32 s3, s3, s10
	s_wait_kmcnt 0x0
	s_cmp_lt_i32 s3, s8
	s_cselect_b32 s3, -1, 0
	s_add_co_i32 s13, s13, s11
	s_cmp_lt_i32 s13, s5
	s_cselect_b32 s14, -1, 0
	s_delay_alu instid0(SALU_CYCLE_1) | instskip(NEXT) | instid1(SALU_CYCLE_1)
	s_and_b32 s3, s3, s14
	s_and_not1_b32 vcc_lo, exec_lo, s3
	s_cbranch_vccnz .LBB69_6
; %bb.1:
	s_mul_i32 s8, s2, s8
	s_mul_i32 s7, s7, s5
	s_add_co_i32 s8, s8, s10
	s_add_co_i32 s5, s13, s7
	s_mul_i32 s8, s8, s9
	s_load_b128 s[0:3], s[0:1], 0x0
	s_mul_i32 s7, s9, s12
	s_add_co_i32 s5, s5, s8
	s_mulk_i32 s7, 0xc0
	s_mulk_i32 s5, 0x60
	s_add_co_i32 s10, s10, s11
	v_add3_u32 v1, s5, s7, v0
	s_mul_i32 s7, s6, ttmp9
	s_wait_alu 0xfffe
	s_add_co_i32 s5, s7, s6
	s_delay_alu instid0(VALU_DEP_1) | instskip(SKIP_2) | instid1(VALU_DEP_1)
	v_ashrrev_i32_e32 v2, 31, v1
	s_wait_alu 0xfffe
	s_add_co_i32 s8, s5, -2
	v_lshlrev_b64_e32 v[1:2], 2, v[1:2]
	s_wait_kmcnt 0x0
	s_delay_alu instid0(VALU_DEP_1) | instskip(NEXT) | instid1(VALU_DEP_1)
	v_add_co_u32 v1, vcc_lo, s0, v1
	v_add_co_ci_u32_e64 v2, null, s1, v2, vcc_lo
	s_lshl_b32 s0, s5, 1
	s_wait_alu 0xfffe
	s_add_co_i32 s0, s10, s0
	global_load_b32 v5, v[1:2], off
	s_wait_alu 0xfffe
	s_add_co_i32 s0, s0, -2
	s_wait_alu 0xfffe
	s_ashr_i32 s1, s0, 31
	s_wait_alu 0xfffe
	s_lshl_b64 s[0:1], s[0:1], 3
	s_cmp_lt_i32 s8, s7
	s_wait_alu 0xfffe
	s_add_nc_u64 s[0:1], s[2:3], s[0:1]
	s_load_b32 s11, s[0:1], 0x4
	s_cbranch_scc1 .LBB69_4
; %bb.2:
	s_load_b32 s0, s[0:1], 0x0
	s_add_co_i32 s1, ttmp9, 1
	s_lshl_b32 s8, s4, 3
	s_wait_alu 0xfffe
	s_mul_i32 s1, s6, s1
	s_mul_i32 s6, s10, 0x60
	s_wait_alu 0xfffe
	s_lshl_b32 s12, s1, 1
	s_mulk_i32 s1, 0xc0
	s_ashr_i32 s9, s8, 31
	s_wait_alu 0xfffe
	s_add_co_i32 s6, s6, s1
	s_add_co_i32 s10, s10, s12
	s_lshl_b32 s1, s4, 1
	s_wait_alu 0xfffe
	v_add3_u32 v3, s6, v0, 0xfffffe80
	s_wait_kmcnt 0x0
	v_mov_b32_e32 v6, s11
	s_lshl_b64 s[8:9], s[8:9], 2
	s_add_co_i32 s4, s10, s1
	s_add_nc_u64 s[8:9], s[2:3], s[8:9]
	s_add_co_i32 s1, s5, -1
	s_wait_alu 0xfffe
	s_add_co_i32 s4, s4, -4
.LBB69_3:                               ; =>This Inner Loop Header: Depth=1
	v_ashrrev_i32_e32 v4, 31, v3
	s_wait_alu 0xfffe
	s_ashr_i32 s5, s4, 31
	v_mov_b32_e32 v10, v6
	s_wait_alu 0xfffe
	s_lshl_b64 s[10:11], s[4:5], 3
	s_wait_loadcnt 0x0
	v_mov_b32_e32 v9, v5
	v_lshlrev_b64_e32 v[7:8], 2, v[3:4]
	s_wait_alu 0xfffe
	s_add_nc_u64 s[10:11], s[2:3], s[10:11]
	v_max_num_f32_e64 v4, s0, s0
	s_load_b64 s[10:11], s[10:11], 0x0
	v_add_nc_u32_e32 v3, 0xffffff40, v3
	v_add_co_u32 v7, vcc_lo, s8, v7
	s_wait_alu 0xfffd
	v_add_co_ci_u32_e64 v8, null, s9, v8, vcc_lo
	v_readfirstlane_b32 s5, v4
	global_load_b32 v0, v[7:8], off
	s_wait_kmcnt 0x0
	v_max_num_f32_e64 v4, s10, s10
	s_delay_alu instid0(VALU_DEP_1) | instskip(SKIP_2) | instid1(SALU_CYCLE_2)
	v_readfirstlane_b32 s6, v4
	s_max_num_f32 s5, s5, s6
	s_wait_alu 0xfffe
	s_sub_f32 s0, s0, s5
	s_sub_f32 s6, s10, s5
	s_wait_alu 0xfffe
	s_delay_alu instid0(SALU_CYCLE_1) | instskip(NEXT) | instid1(SALU_CYCLE_1)
	s_mul_f32 s10, s0, 0x3fb8aa3b
	s_mul_f32 s12, s6, 0x3fb8aa3b
	s_wait_alu 0xfffe
	s_delay_alu instid0(SALU_CYCLE_1)
	s_xor_b32 s13, s10, 0x80000000
	s_rndne_f32 s14, s10
	s_fmamk_f32 s13, s0, 0x3fb8aa3b, s13
	s_cmp_nlt_f32 s0, 0xc2ce8ed0
	s_rndne_f32 s15, s12
	s_wait_alu 0xfffe
	s_sub_f32 s10, s10, s14
	s_fmamk_f32 s13, s0, 0x32a5705f, s13
	s_cvt_i32_f32 s14, s14
	s_cselect_b32 vcc_lo, -1, 0
	s_cmp_ngt_f32 s0, 0x42b17218
	s_wait_alu 0xfffe
	s_add_f32 s10, s10, s13
	s_sub_f32 s13, s12, s15
	s_wait_alu 0xfffe
	s_delay_alu instid0(SALU_CYCLE_1) | instskip(SKIP_1) | instid1(TRANS32_DEP_1)
	v_s_exp_f32 s10, s10
	s_wait_alu 0xf1ff
	v_ldexp_f32 v4, s10, s14
	s_cvt_i32_f32 s10, s15
	s_delay_alu instid0(VALU_DEP_1) | instskip(SKIP_3) | instid1(VALU_DEP_1)
	v_cndmask_b32_e32 v4, 0, v4, vcc_lo
	s_cselect_b32 vcc_lo, -1, 0
	s_cmp_ge_f32 s0, 0xc1a00000
	s_wait_alu 0xfffe
	v_cndmask_b32_e32 v4, 0x7f800000, v4, vcc_lo
	s_cselect_b32 vcc_lo, -1, 0
	s_xor_b32 s0, s12, 0x80000000
	s_cmp_nlt_f32 s6, 0xc2ce8ed0
	s_wait_alu 0xfffe
	s_fmamk_f32 s0, s6, 0x3fb8aa3b, s0
	s_wait_alu 0xfffe
	s_delay_alu instid0(SALU_CYCLE_2) | instskip(SKIP_1) | instid1(SALU_CYCLE_2)
	s_fmamk_f32 s0, s6, 0x32a5705f, s0
	s_wait_alu 0xfffe
	s_add_f32 s0, s13, s0
	s_wait_alu 0xfffe
	s_delay_alu instid0(SALU_CYCLE_2) | instskip(SKIP_1) | instid1(TRANS32_DEP_1)
	v_s_exp_f32 s0, s0
	s_wait_alu 0xf1ff
	v_ldexp_f32 v7, s0, s10
	s_cselect_b32 s0, -1, 0
	s_cmp_ngt_f32 s6, 0x42b17218
	s_wait_alu 0xfffe
	s_delay_alu instid0(VALU_DEP_1) | instskip(SKIP_3) | instid1(VALU_DEP_1)
	v_cndmask_b32_e64 v7, 0, v7, s0
	s_cselect_b32 s0, -1, 0
	s_cmp_ge_f32 s6, 0xc1a00000
	s_wait_alu 0xfffe
	v_cndmask_b32_e64 v7, 0x7f800000, v7, s0
	s_cselect_b32 s0, -1, 0
	s_add_co_i32 s1, s1, -1
	s_add_co_i32 s4, s4, -2
	s_wait_alu 0xfffe
	s_cmp_le_i32 s1, s7
	v_cndmask_b32_e64 v7, 0, v7, s0
	s_mov_b32 s0, s5
	s_wait_loadcnt 0x0
	s_delay_alu instid0(VALU_DEP_1) | instskip(NEXT) | instid1(VALU_DEP_1)
	v_dual_mul_f32 v5, v0, v7 :: v_dual_cndmask_b32 v4, 0, v4
	v_dual_mul_f32 v8, s11, v7 :: v_dual_fmac_f32 v5, v9, v4
	s_delay_alu instid0(VALU_DEP_1) | instskip(NEXT) | instid1(VALU_DEP_1)
	v_mov_b32_e32 v6, v8
	v_fmac_f32_e32 v6, v10, v4
	s_cbranch_scc0 .LBB69_3
	s_branch .LBB69_5
.LBB69_4:
	s_wait_kmcnt 0x0
	v_mov_b32_e32 v6, s11
.LBB69_5:
	s_wait_loadcnt 0x0
	s_delay_alu instid0(VALU_DEP_1) | instskip(NEXT) | instid1(VALU_DEP_1)
	v_div_scale_f32 v0, null, v6, v6, v5
	v_rcp_f32_e32 v3, v0
	s_delay_alu instid0(TRANS32_DEP_1) | instskip(NEXT) | instid1(VALU_DEP_1)
	v_fma_f32 v4, -v0, v3, 1.0
	v_fmac_f32_e32 v3, v4, v3
	v_div_scale_f32 v4, vcc_lo, v5, v6, v5
	s_delay_alu instid0(VALU_DEP_1) | instskip(NEXT) | instid1(VALU_DEP_1)
	v_mul_f32_e32 v7, v4, v3
	v_fma_f32 v8, -v0, v7, v4
	s_delay_alu instid0(VALU_DEP_1) | instskip(NEXT) | instid1(VALU_DEP_1)
	v_fmac_f32_e32 v7, v8, v3
	v_fma_f32 v0, -v0, v7, v4
	s_wait_alu 0xfffd
	s_delay_alu instid0(VALU_DEP_1) | instskip(NEXT) | instid1(VALU_DEP_1)
	v_div_fmas_f32 v0, v0, v3, v7
	v_div_fixup_f32 v0, v0, v6, v5
	global_store_b32 v[1:2], v0, off
.LBB69_6:
	s_endpgm
	.section	.rodata,"a",@progbits
	.p2align	6, 0x0
	.amdhsa_kernel _ZL33flash_attn_stream_k_fixup_uniformILi96ELi2ELi1EEvPfPK15HIP_vector_typeIfLj2EEiiiiiiS1_IjLj3EES5_S5_
		.amdhsa_group_segment_fixed_size 0
		.amdhsa_private_segment_fixed_size 0
		.amdhsa_kernarg_size 76
		.amdhsa_user_sgpr_count 2
		.amdhsa_user_sgpr_dispatch_ptr 0
		.amdhsa_user_sgpr_queue_ptr 0
		.amdhsa_user_sgpr_kernarg_segment_ptr 1
		.amdhsa_user_sgpr_dispatch_id 0
		.amdhsa_user_sgpr_private_segment_size 0
		.amdhsa_wavefront_size32 1
		.amdhsa_uses_dynamic_stack 0
		.amdhsa_enable_private_segment 0
		.amdhsa_system_sgpr_workgroup_id_x 1
		.amdhsa_system_sgpr_workgroup_id_y 1
		.amdhsa_system_sgpr_workgroup_id_z 1
		.amdhsa_system_sgpr_workgroup_info 0
		.amdhsa_system_vgpr_workitem_id 0
		.amdhsa_next_free_vgpr 11
		.amdhsa_next_free_sgpr 16
		.amdhsa_reserve_vcc 1
		.amdhsa_float_round_mode_32 0
		.amdhsa_float_round_mode_16_64 0
		.amdhsa_float_denorm_mode_32 3
		.amdhsa_float_denorm_mode_16_64 3
		.amdhsa_fp16_overflow 0
		.amdhsa_workgroup_processor_mode 1
		.amdhsa_memory_ordered 1
		.amdhsa_forward_progress 1
		.amdhsa_inst_pref_size 9
		.amdhsa_round_robin_scheduling 0
		.amdhsa_exception_fp_ieee_invalid_op 0
		.amdhsa_exception_fp_denorm_src 0
		.amdhsa_exception_fp_ieee_div_zero 0
		.amdhsa_exception_fp_ieee_overflow 0
		.amdhsa_exception_fp_ieee_underflow 0
		.amdhsa_exception_fp_ieee_inexact 0
		.amdhsa_exception_int_div_zero 0
	.end_amdhsa_kernel
	.section	.text._ZL33flash_attn_stream_k_fixup_uniformILi96ELi2ELi1EEvPfPK15HIP_vector_typeIfLj2EEiiiiiiS1_IjLj3EES5_S5_,"axG",@progbits,_ZL33flash_attn_stream_k_fixup_uniformILi96ELi2ELi1EEvPfPK15HIP_vector_typeIfLj2EEiiiiiiS1_IjLj3EES5_S5_,comdat
.Lfunc_end69:
	.size	_ZL33flash_attn_stream_k_fixup_uniformILi96ELi2ELi1EEvPfPK15HIP_vector_typeIfLj2EEiiiiiiS1_IjLj3EES5_S5_, .Lfunc_end69-_ZL33flash_attn_stream_k_fixup_uniformILi96ELi2ELi1EEvPfPK15HIP_vector_typeIfLj2EEiiiiiiS1_IjLj3EES5_S5_
                                        ; -- End function
	.set _ZL33flash_attn_stream_k_fixup_uniformILi96ELi2ELi1EEvPfPK15HIP_vector_typeIfLj2EEiiiiiiS1_IjLj3EES5_S5_.num_vgpr, 11
	.set _ZL33flash_attn_stream_k_fixup_uniformILi96ELi2ELi1EEvPfPK15HIP_vector_typeIfLj2EEiiiiiiS1_IjLj3EES5_S5_.num_agpr, 0
	.set _ZL33flash_attn_stream_k_fixup_uniformILi96ELi2ELi1EEvPfPK15HIP_vector_typeIfLj2EEiiiiiiS1_IjLj3EES5_S5_.numbered_sgpr, 16
	.set _ZL33flash_attn_stream_k_fixup_uniformILi96ELi2ELi1EEvPfPK15HIP_vector_typeIfLj2EEiiiiiiS1_IjLj3EES5_S5_.num_named_barrier, 0
	.set _ZL33flash_attn_stream_k_fixup_uniformILi96ELi2ELi1EEvPfPK15HIP_vector_typeIfLj2EEiiiiiiS1_IjLj3EES5_S5_.private_seg_size, 0
	.set _ZL33flash_attn_stream_k_fixup_uniformILi96ELi2ELi1EEvPfPK15HIP_vector_typeIfLj2EEiiiiiiS1_IjLj3EES5_S5_.uses_vcc, 1
	.set _ZL33flash_attn_stream_k_fixup_uniformILi96ELi2ELi1EEvPfPK15HIP_vector_typeIfLj2EEiiiiiiS1_IjLj3EES5_S5_.uses_flat_scratch, 0
	.set _ZL33flash_attn_stream_k_fixup_uniformILi96ELi2ELi1EEvPfPK15HIP_vector_typeIfLj2EEiiiiiiS1_IjLj3EES5_S5_.has_dyn_sized_stack, 0
	.set _ZL33flash_attn_stream_k_fixup_uniformILi96ELi2ELi1EEvPfPK15HIP_vector_typeIfLj2EEiiiiiiS1_IjLj3EES5_S5_.has_recursion, 0
	.set _ZL33flash_attn_stream_k_fixup_uniformILi96ELi2ELi1EEvPfPK15HIP_vector_typeIfLj2EEiiiiiiS1_IjLj3EES5_S5_.has_indirect_call, 0
	.section	.AMDGPU.csdata,"",@progbits
; Kernel info:
; codeLenInByte = 1128
; TotalNumSgprs: 18
; NumVgprs: 11
; ScratchSize: 0
; MemoryBound: 0
; FloatMode: 240
; IeeeMode: 1
; LDSByteSize: 0 bytes/workgroup (compile time only)
; SGPRBlocks: 0
; VGPRBlocks: 1
; NumSGPRsForWavesPerEU: 18
; NumVGPRsForWavesPerEU: 11
; Occupancy: 16
; WaveLimiterHint : 0
; COMPUTE_PGM_RSRC2:SCRATCH_EN: 0
; COMPUTE_PGM_RSRC2:USER_SGPR: 2
; COMPUTE_PGM_RSRC2:TRAP_HANDLER: 0
; COMPUTE_PGM_RSRC2:TGID_X_EN: 1
; COMPUTE_PGM_RSRC2:TGID_Y_EN: 1
; COMPUTE_PGM_RSRC2:TGID_Z_EN: 1
; COMPUTE_PGM_RSRC2:TIDIG_COMP_CNT: 0
	.section	.text._ZL33flash_attn_stream_k_fixup_generalILi96ELi2ELi1EEvPfPK15HIP_vector_typeIfLj2EEiiiiS1_IjLj3EES5_S5_S5_,"axG",@progbits,_ZL33flash_attn_stream_k_fixup_generalILi96ELi2ELi1EEvPfPK15HIP_vector_typeIfLj2EEiiiiS1_IjLj3EES5_S5_S5_,comdat
	.globl	_ZL33flash_attn_stream_k_fixup_generalILi96ELi2ELi1EEvPfPK15HIP_vector_typeIfLj2EEiiiiS1_IjLj3EES5_S5_S5_ ; -- Begin function _ZL33flash_attn_stream_k_fixup_generalILi96ELi2ELi1EEvPfPK15HIP_vector_typeIfLj2EEiiiiS1_IjLj3EES5_S5_S5_
	.p2align	8
	.type	_ZL33flash_attn_stream_k_fixup_generalILi96ELi2ELi1EEvPfPK15HIP_vector_typeIfLj2EEiiiiS1_IjLj3EES5_S5_S5_,@function
_ZL33flash_attn_stream_k_fixup_generalILi96ELi2ELi1EEvPfPK15HIP_vector_typeIfLj2EEiiiiS1_IjLj3EES5_S5_S5_: ; @_ZL33flash_attn_stream_k_fixup_generalILi96ELi2ELi1EEvPfPK15HIP_vector_typeIfLj2EEiiiiS1_IjLj3EES5_S5_S5_
; %bb.0:
	s_clause 0x1
	s_load_b128 s[4:7], s[0:1], 0x10
	s_load_b32 s16, s[0:1], 0x50
	s_mov_b32 s2, ttmp9
	s_ashr_i32 s3, ttmp9, 31
	s_mov_b32 s17, 0
	s_delay_alu instid0(SALU_CYCLE_1) | instskip(SKIP_3) | instid1(SALU_CYCLE_1)
	s_mov_b32 s8, s17
	s_wait_kmcnt 0x0
	s_ashr_i32 s19, s7, 31
	s_mov_b32 s18, s7
	s_mul_u64 s[2:3], s[18:19], s[2:3]
	s_delay_alu instid0(SALU_CYCLE_1) | instskip(NEXT) | instid1(SALU_CYCLE_1)
	s_mov_b32 s9, s3
	s_cmp_lg_u64 s[8:9], 0
	s_cbranch_scc0 .LBB70_21
; %bb.1:
	s_add_nc_u64 s[8:9], s[16:17], 0
	s_mov_b32 s15, s17
	s_xor_b64 s[8:9], s[8:9], 0
	s_mov_b32 s23, s17
	s_cvt_f32_u32 s7, s8
	s_cvt_f32_u32 s10, s9
	s_sub_nc_u64 s[12:13], 0, s[8:9]
	s_delay_alu instid0(SALU_CYCLE_2) | instskip(NEXT) | instid1(SALU_CYCLE_3)
	s_fmamk_f32 s7, s10, 0x4f800000, s7
	v_s_rcp_f32 s7, s7
	s_delay_alu instid0(TRANS32_DEP_1) | instskip(SKIP_1) | instid1(SALU_CYCLE_2)
	s_mul_f32 s7, s7, 0x5f7ffffc
	s_wait_alu 0xfffe
	s_mul_f32 s10, s7, 0x2f800000
	s_delay_alu instid0(SALU_CYCLE_3) | instskip(NEXT) | instid1(SALU_CYCLE_3)
	s_trunc_f32 s10, s10
	s_fmamk_f32 s7, s10, 0xcf800000, s7
	s_cvt_u32_f32 s11, s10
	s_wait_alu 0xfffe
	s_delay_alu instid0(SALU_CYCLE_1) | instskip(NEXT) | instid1(SALU_CYCLE_3)
	s_cvt_u32_f32 s10, s7
	s_mul_u64 s[20:21], s[12:13], s[10:11]
	s_delay_alu instid0(SALU_CYCLE_1)
	s_mul_hi_u32 s25, s10, s21
	s_mul_i32 s24, s10, s21
	s_mul_hi_u32 s14, s10, s20
	s_mul_i32 s22, s11, s20
	s_add_nc_u64 s[14:15], s[14:15], s[24:25]
	s_mul_hi_u32 s7, s11, s20
	s_mul_hi_u32 s26, s11, s21
	s_add_co_u32 s14, s14, s22
	s_wait_alu 0xfffe
	s_add_co_ci_u32 s22, s15, s7
	s_mul_i32 s20, s11, s21
	s_add_co_ci_u32 s21, s26, 0
	s_delay_alu instid0(SALU_CYCLE_1)
	s_add_nc_u64 s[14:15], s[22:23], s[20:21]
	s_mov_b32 s21, s17
	s_add_co_u32 s10, s10, s14
	s_cselect_b32 s7, -1, 0
	s_wait_alu 0xfffe
	s_cmp_lg_u32 s7, 0
	s_add_co_ci_u32 s11, s11, s15
	s_mov_b32 s15, s17
	s_mul_u64 s[12:13], s[12:13], s[10:11]
	s_delay_alu instid0(SALU_CYCLE_1)
	s_mul_hi_u32 s23, s10, s13
	s_mul_i32 s22, s10, s13
	s_mul_hi_u32 s14, s10, s12
	s_mul_i32 s20, s11, s12
	s_add_nc_u64 s[14:15], s[14:15], s[22:23]
	s_mul_hi_u32 s7, s11, s12
	s_mul_hi_u32 s24, s11, s13
	s_mul_i32 s12, s11, s13
	s_add_co_u32 s13, s14, s20
	s_wait_alu 0xfffe
	s_add_co_ci_u32 s20, s15, s7
	s_add_co_ci_u32 s13, s24, 0
	s_mov_b32 s15, s17
	s_add_nc_u64 s[12:13], s[20:21], s[12:13]
	s_delay_alu instid0(SALU_CYCLE_1) | instskip(SKIP_1) | instid1(SALU_CYCLE_1)
	s_add_co_u32 s7, s10, s12
	s_cselect_b32 s10, -1, 0
	s_cmp_lg_u32 s10, 0
	s_add_co_ci_u32 s20, s11, s13
	s_ashr_i32 s10, s3, 31
	s_delay_alu instid0(SALU_CYCLE_1) | instskip(NEXT) | instid1(SALU_CYCLE_1)
	s_mov_b32 s11, s10
	s_add_nc_u64 s[12:13], s[2:3], s[10:11]
	s_delay_alu instid0(SALU_CYCLE_1) | instskip(NEXT) | instid1(SALU_CYCLE_1)
	s_xor_b64 s[12:13], s[12:13], s[10:11]
	s_mul_hi_u32 s23, s12, s20
	s_mul_i32 s22, s12, s20
	s_wait_alu 0xfffe
	s_mul_hi_u32 s14, s12, s7
	s_mul_hi_u32 s24, s13, s7
	s_mul_i32 s7, s13, s7
	s_add_nc_u64 s[14:15], s[14:15], s[22:23]
	s_mul_hi_u32 s3, s13, s20
	s_wait_alu 0xfffe
	s_add_co_u32 s7, s14, s7
	s_mul_i32 s22, s13, s20
	s_add_co_ci_u32 s20, s15, s24
	s_add_co_ci_u32 s23, s3, 0
	s_delay_alu instid0(SALU_CYCLE_1) | instskip(NEXT) | instid1(SALU_CYCLE_1)
	s_add_nc_u64 s[14:15], s[20:21], s[22:23]
	s_mul_u64 s[20:21], s[8:9], s[14:15]
	s_delay_alu instid0(SALU_CYCLE_1)
	s_sub_co_u32 s3, s12, s20
	s_cselect_b32 s7, -1, 0
	s_sub_co_i32 s12, s13, s21
	s_wait_alu 0xfffe
	s_cmp_lg_u32 s7, 0
	s_sub_co_ci_u32 s12, s12, s9
	s_sub_co_u32 s20, s3, s8
	s_cselect_b32 s22, -1, 0
	s_delay_alu instid0(SALU_CYCLE_1) | instskip(SKIP_2) | instid1(SALU_CYCLE_1)
	s_cmp_lg_u32 s22, 0
	s_add_nc_u64 s[22:23], s[14:15], 1
	s_sub_co_ci_u32 s12, s12, 0
	s_cmp_ge_u32 s12, s9
	s_cselect_b32 s24, -1, 0
	s_cmp_ge_u32 s20, s8
	s_cselect_b32 s20, -1, 0
	s_cmp_eq_u32 s12, s9
	s_cselect_b32 s12, s20, s24
	s_add_nc_u64 s[24:25], s[14:15], 2
	s_cmp_lg_u32 s12, 0
	s_cselect_b32 s12, s24, s22
	s_cselect_b32 s20, s25, s23
	s_cmp_lg_u32 s7, 0
	s_sub_co_ci_u32 s7, s13, s21
	s_wait_alu 0xfffe
	s_cmp_ge_u32 s7, s9
	s_cselect_b32 s13, -1, 0
	s_cmp_ge_u32 s3, s8
	s_cselect_b32 s3, -1, 0
	s_cmp_eq_u32 s7, s9
	s_cselect_b32 s3, s3, s13
	s_delay_alu instid0(SALU_CYCLE_1) | instskip(SKIP_4) | instid1(SALU_CYCLE_1)
	s_cmp_lg_u32 s3, 0
	s_mov_b32 s3, s17
	s_cselect_b32 s9, s20, s15
	s_cselect_b32 s8, s12, s14
	s_xor_b64 s[10:11], s[10:11], 0
	s_xor_b64 s[8:9], s[8:9], s[10:11]
	s_delay_alu instid0(SALU_CYCLE_1)
	s_sub_nc_u64 s[20:21], s[8:9], s[10:11]
	s_and_not1_b32 vcc_lo, exec_lo, s3
	s_cbranch_vccnz .LBB70_3
.LBB70_2:
	v_cvt_f32_u32_e32 v1, s16
	s_sub_co_i32 s7, 0, s16
	s_delay_alu instid0(VALU_DEP_1) | instskip(NEXT) | instid1(TRANS32_DEP_1)
	v_rcp_iflag_f32_e32 v1, v1
	v_mul_f32_e32 v1, 0x4f7ffffe, v1
	s_delay_alu instid0(VALU_DEP_1) | instskip(NEXT) | instid1(VALU_DEP_1)
	v_cvt_u32_f32_e32 v1, v1
	v_readfirstlane_b32 s3, v1
	s_wait_alu 0xfffe
	s_mul_i32 s7, s7, s3
	s_wait_alu 0xfffe
	s_mul_hi_u32 s7, s3, s7
	s_wait_alu 0xfffe
	s_add_co_i32 s3, s3, s7
	s_delay_alu instid0(SALU_CYCLE_1) | instskip(NEXT) | instid1(SALU_CYCLE_1)
	s_mul_hi_u32 s3, s2, s3
	s_mul_i32 s7, s3, s16
	s_wait_alu 0xfffe
	s_sub_co_i32 s2, s2, s7
	s_add_co_i32 s7, s3, 1
	s_sub_co_i32 s8, s2, s16
	s_cmp_ge_u32 s2, s16
	s_wait_alu 0xfffe
	s_cselect_b32 s3, s7, s3
	s_cselect_b32 s2, s8, s2
	s_add_co_i32 s7, s3, 1
	s_cmp_ge_u32 s2, s16
	s_wait_alu 0xfffe
	s_cselect_b32 s20, s7, s3
.LBB70_3:
	s_add_co_i32 s2, ttmp9, 1
	s_mov_b32 s8, 0
	s_ashr_i32 s3, s2, 31
	s_delay_alu instid0(SALU_CYCLE_1) | instskip(NEXT) | instid1(SALU_CYCLE_1)
	s_mul_u64 s[2:3], s[18:19], s[2:3]
	s_mov_b32 s9, s3
	s_delay_alu instid0(SALU_CYCLE_1)
	s_cmp_lg_u64 s[8:9], 0
	s_cbranch_scc0 .LBB70_22
; %bb.4:
	s_add_nc_u64 s[10:11], s[16:17], 0
	s_mov_b32 s23, s8
	s_xor_b64 s[10:11], s[10:11], 0
	s_mov_b32 s27, s8
	s_cvt_f32_u32 s7, s10
	s_cvt_f32_u32 s9, s11
	s_sub_nc_u64 s[14:15], 0, s[10:11]
	s_wait_alu 0xfffe
	s_delay_alu instid0(SALU_CYCLE_1) | instskip(SKIP_1) | instid1(SALU_CYCLE_2)
	s_fmamk_f32 s7, s9, 0x4f800000, s7
	s_wait_alu 0xfffe
	v_s_rcp_f32 s7, s7
	s_delay_alu instid0(TRANS32_DEP_1) | instskip(SKIP_1) | instid1(SALU_CYCLE_2)
	s_mul_f32 s7, s7, 0x5f7ffffc
	s_wait_alu 0xfffe
	s_mul_f32 s9, s7, 0x2f800000
	s_delay_alu instid0(SALU_CYCLE_3) | instskip(NEXT) | instid1(SALU_CYCLE_3)
	s_trunc_f32 s9, s9
	s_fmamk_f32 s7, s9, 0xcf800000, s7
	s_cvt_u32_f32 s13, s9
	s_wait_alu 0xfffe
	s_delay_alu instid0(SALU_CYCLE_1) | instskip(NEXT) | instid1(SALU_CYCLE_3)
	s_cvt_u32_f32 s12, s7
	s_mul_u64 s[24:25], s[14:15], s[12:13]
	s_delay_alu instid0(SALU_CYCLE_1)
	s_mul_hi_u32 s29, s12, s25
	s_mul_i32 s28, s12, s25
	s_mul_hi_u32 s22, s12, s24
	s_mul_i32 s9, s13, s24
	s_add_nc_u64 s[22:23], s[22:23], s[28:29]
	s_mul_hi_u32 s7, s13, s24
	s_mul_hi_u32 s21, s13, s25
	s_add_co_u32 s9, s22, s9
	s_wait_alu 0xfffe
	s_add_co_ci_u32 s26, s23, s7
	s_mul_i32 s24, s13, s25
	s_add_co_ci_u32 s25, s21, 0
	s_delay_alu instid0(SALU_CYCLE_1)
	s_add_nc_u64 s[22:23], s[26:27], s[24:25]
	s_mov_b32 s25, s8
	s_add_co_u32 s12, s12, s22
	s_cselect_b32 s7, -1, 0
	s_wait_alu 0xfffe
	s_cmp_lg_u32 s7, 0
	s_add_co_ci_u32 s13, s13, s23
	s_mov_b32 s23, s8
	s_mul_u64 s[14:15], s[14:15], s[12:13]
	s_delay_alu instid0(SALU_CYCLE_1)
	s_mul_hi_u32 s27, s12, s15
	s_mul_i32 s26, s12, s15
	s_mul_hi_u32 s22, s12, s14
	s_mul_i32 s9, s13, s14
	s_add_nc_u64 s[22:23], s[22:23], s[26:27]
	s_mul_hi_u32 s7, s13, s14
	s_mul_hi_u32 s21, s13, s15
	s_add_co_u32 s9, s22, s9
	s_wait_alu 0xfffe
	s_add_co_ci_u32 s24, s23, s7
	s_mul_i32 s14, s13, s15
	s_add_co_ci_u32 s15, s21, 0
	s_mov_b32 s23, s8
	s_add_nc_u64 s[14:15], s[24:25], s[14:15]
	s_delay_alu instid0(SALU_CYCLE_1) | instskip(SKIP_1) | instid1(SALU_CYCLE_1)
	s_add_co_u32 s7, s12, s14
	s_cselect_b32 s9, -1, 0
	s_cmp_lg_u32 s9, 0
	s_add_co_ci_u32 s9, s13, s15
	s_ashr_i32 s12, s3, 31
	s_delay_alu instid0(SALU_CYCLE_1) | instskip(NEXT) | instid1(SALU_CYCLE_1)
	s_mov_b32 s13, s12
	s_add_nc_u64 s[14:15], s[2:3], s[12:13]
	s_delay_alu instid0(SALU_CYCLE_1) | instskip(NEXT) | instid1(SALU_CYCLE_1)
	s_xor_b64 s[14:15], s[14:15], s[12:13]
	s_mul_hi_u32 s27, s14, s9
	s_mul_i32 s26, s14, s9
	s_wait_alu 0xfffe
	s_mul_hi_u32 s22, s14, s7
	s_mul_hi_u32 s21, s15, s7
	s_mul_i32 s7, s15, s7
	s_add_nc_u64 s[22:23], s[22:23], s[26:27]
	s_mul_hi_u32 s3, s15, s9
	s_wait_alu 0xfffe
	s_add_co_u32 s7, s22, s7
	s_add_co_ci_u32 s24, s23, s21
	s_mul_i32 s26, s15, s9
	s_add_co_ci_u32 s27, s3, 0
	s_delay_alu instid0(SALU_CYCLE_1) | instskip(NEXT) | instid1(SALU_CYCLE_1)
	s_add_nc_u64 s[22:23], s[24:25], s[26:27]
	s_mul_u64 s[24:25], s[10:11], s[22:23]
	s_add_nc_u64 s[26:27], s[22:23], 1
	s_sub_co_u32 s3, s14, s24
	s_cselect_b32 s7, -1, 0
	s_sub_co_i32 s9, s15, s25
	s_wait_alu 0xfffe
	s_cmp_lg_u32 s7, 0
	s_add_nc_u64 s[28:29], s[22:23], 2
	s_sub_co_ci_u32 s9, s9, s11
	s_sub_co_u32 s14, s3, s10
	s_cselect_b32 s21, -1, 0
	s_delay_alu instid0(SALU_CYCLE_1) | instskip(SKIP_1) | instid1(SALU_CYCLE_1)
	s_cmp_lg_u32 s21, 0
	s_sub_co_ci_u32 s9, s9, 0
	s_cmp_ge_u32 s9, s11
	s_cselect_b32 s21, -1, 0
	s_cmp_ge_u32 s14, s10
	s_cselect_b32 s14, -1, 0
	s_cmp_eq_u32 s9, s11
	s_cselect_b32 s9, s14, s21
	s_delay_alu instid0(SALU_CYCLE_1)
	s_cmp_lg_u32 s9, 0
	s_cselect_b32 s9, s28, s26
	s_cselect_b32 s14, s29, s27
	s_cmp_lg_u32 s7, 0
	s_sub_co_ci_u32 s7, s15, s25
	s_wait_alu 0xfffe
	s_cmp_ge_u32 s7, s11
	s_cselect_b32 s15, -1, 0
	s_cmp_ge_u32 s3, s10
	s_cselect_b32 s3, -1, 0
	s_cmp_eq_u32 s7, s11
	s_cselect_b32 s3, s3, s15
	s_delay_alu instid0(SALU_CYCLE_1) | instskip(SKIP_3) | instid1(SALU_CYCLE_1)
	s_cmp_lg_u32 s3, 0
	s_cselect_b32 s11, s14, s23
	s_cselect_b32 s10, s9, s22
	s_xor_b64 s[12:13], s[12:13], 0
	s_xor_b64 s[10:11], s[10:11], s[12:13]
	s_delay_alu instid0(SALU_CYCLE_1)
	s_sub_nc_u64 s[10:11], s[10:11], s[12:13]
	s_load_b96 s[12:14], s[0:1], 0x44
	s_and_not1_b32 vcc_lo, exec_lo, s8
	s_cbranch_vccnz .LBB70_6
.LBB70_5:
	v_cvt_f32_u32_e32 v1, s16
	s_sub_co_i32 s7, 0, s16
	s_delay_alu instid0(VALU_DEP_1) | instskip(NEXT) | instid1(TRANS32_DEP_1)
	v_rcp_iflag_f32_e32 v1, v1
	v_mul_f32_e32 v1, 0x4f7ffffe, v1
	s_delay_alu instid0(VALU_DEP_1) | instskip(NEXT) | instid1(VALU_DEP_1)
	v_cvt_u32_f32_e32 v1, v1
	v_readfirstlane_b32 s3, v1
	s_wait_alu 0xfffe
	s_mul_i32 s7, s7, s3
	s_wait_alu 0xfffe
	s_mul_hi_u32 s7, s3, s7
	s_wait_alu 0xfffe
	s_add_co_i32 s3, s3, s7
	s_delay_alu instid0(SALU_CYCLE_1) | instskip(NEXT) | instid1(SALU_CYCLE_1)
	s_mul_hi_u32 s3, s2, s3
	s_mul_i32 s7, s3, s16
	s_wait_alu 0xfffe
	s_sub_co_i32 s2, s2, s7
	s_add_co_i32 s7, s3, 1
	s_sub_co_i32 s8, s2, s16
	s_cmp_ge_u32 s2, s16
	s_wait_alu 0xfffe
	s_cselect_b32 s3, s7, s3
	s_cselect_b32 s2, s8, s2
	s_add_co_i32 s7, s3, 1
	s_cmp_ge_u32 s2, s16
	s_wait_alu 0xfffe
	s_cselect_b32 s10, s7, s3
.LBB70_6:
	s_mov_b32 s21, 0
	s_wait_kmcnt 0x0
	s_mov_b32 s22, s12
	s_mov_b32 s23, s21
	s_cmp_eq_u32 s20, s10
	s_mul_u64 s[2:3], s[20:21], s[22:23]
	s_cselect_b32 s7, -1, 0
	s_add_co_i32 s2, s3, s20
	s_mov_b32 s11, s21
	s_lshr_b32 s12, s2, s13
	s_mul_u64 s[2:3], s[10:11], s[22:23]
	s_mul_i32 s2, s12, s14
	s_delay_alu instid0(SALU_CYCLE_1) | instskip(SKIP_2) | instid1(SALU_CYCLE_1)
	s_cmp_eq_u32 s2, s20
	s_cselect_b32 s2, -1, 0
	s_add_co_i32 s3, s3, s10
	s_lshr_b32 s3, s3, s13
	s_delay_alu instid0(SALU_CYCLE_1)
	s_cmp_eq_u32 s12, s3
	s_mul_i32 s3, s3, s14
	s_cselect_b32 s8, -1, 0
	s_cmp_lg_u32 s3, s10
	s_cselect_b32 s3, -1, 0
	s_wait_alu 0xfffe
	s_or_b32 s2, s7, s2
	s_and_b32 s3, s8, s3
	s_delay_alu instid0(SALU_CYCLE_1) | instskip(NEXT) | instid1(SALU_CYCLE_1)
	s_or_b32 s2, s2, s3
	s_and_b32 vcc_lo, exec_lo, s2
	s_cbranch_vccnz .LBB70_24
; %bb.7:
	s_load_b256 s[24:31], s[0:1], 0x20
	s_mov_b32 s3, s21
	s_and_b32 s15, ttmp7, 0xffff
	s_wait_kmcnt 0x0
	s_mov_b32 s2, s24
	s_delay_alu instid0(SALU_CYCLE_1) | instskip(NEXT) | instid1(SALU_CYCLE_1)
	s_mul_u64 s[2:3], s[20:21], s[2:3]
	s_add_co_i32 s2, s3, s20
	s_delay_alu instid0(SALU_CYCLE_1) | instskip(SKIP_4) | instid1(SALU_CYCLE_1)
	s_lshr_b32 s3, s2, s25
	s_load_b32 s2, s[0:1], 0x40
	s_mul_i32 s7, s3, s26
	s_wait_alu 0xfffe
	s_sub_co_i32 s8, s20, s7
	s_mul_hi_u32 s7, s8, s27
	s_wait_alu 0xfffe
	s_add_co_i32 s7, s8, s7
	s_wait_alu 0xfffe
	s_lshr_b32 s7, s7, s28
	s_wait_alu 0xfffe
	s_mul_i32 s9, s7, s29
	s_delay_alu instid0(SALU_CYCLE_1) | instskip(NEXT) | instid1(SALU_CYCLE_1)
	s_sub_co_i32 s8, s8, s9
	s_mul_hi_u32 s9, s8, s30
	s_delay_alu instid0(SALU_CYCLE_1) | instskip(NEXT) | instid1(SALU_CYCLE_1)
	s_add_co_i32 s9, s8, s9
	s_lshr_b32 s24, s9, s31
	s_mov_b32 s9, s21
	s_wait_kmcnt 0x0
	s_mul_i32 s2, s24, s2
	s_delay_alu instid0(SALU_CYCLE_1) | instskip(NEXT) | instid1(SALU_CYCLE_1)
	s_sub_co_i32 s8, s8, s2
	s_mul_u64 s[10:11], s[8:9], s[22:23]
	s_delay_alu instid0(SALU_CYCLE_1) | instskip(NEXT) | instid1(SALU_CYCLE_1)
	s_add_co_i32 s2, s8, s11
	s_lshr_b32 s21, s2, s13
	s_delay_alu instid0(SALU_CYCLE_1) | instskip(NEXT) | instid1(SALU_CYCLE_1)
	s_lshl_b32 s2, s21, 1
	s_add_co_i32 s8, s2, s15
	s_lshr_b32 s2, ttmp7, 16
	s_cmp_lt_i32 s8, s4
	s_cselect_b32 s8, -1, 0
	s_add_co_i32 s24, s24, s2
	s_delay_alu instid0(SALU_CYCLE_1) | instskip(SKIP_1) | instid1(SALU_CYCLE_1)
	s_cmp_lt_i32 s24, s6
	s_cselect_b32 s9, -1, 0
	s_and_b32 s8, s8, s9
	s_delay_alu instid0(SALU_CYCLE_1)
	s_and_not1_b32 vcc_lo, exec_lo, s8
	s_cbranch_vccnz .LBB70_24
; %bb.8:
	s_mul_i32 s3, s3, s4
	s_load_b128 s[8:11], s[0:1], 0x0
	s_add_co_i32 s0, s3, s15
	s_mul_i32 s7, s7, s6
	s_mul_i32 s0, s0, s5
	s_wait_alu 0xfffe
	s_add_co_i32 s1, s24, s7
	s_mul_i32 s3, s5, s21
	s_add_co_i32 s0, s1, s0
	s_mulk_i32 s3, 0xc0
	s_mulk_i32 s0, 0x60
	s_add_co_i32 s15, s15, s2
	v_add3_u32 v1, s3, s0, v0
	s_add_nc_u64 s[0:1], s[16:17], 0
	v_cvt_f32_u32_e32 v3, s16
	s_wait_alu 0xfffe
	s_xor_b64 s[6:7], s[0:1], 0
	s_lshl_b32 s0, ttmp9, 1
	v_ashrrev_i32_e32 v2, 31, v1
	s_wait_alu 0xfffe
	s_cvt_f32_u32 s1, s6
	s_cvt_f32_u32 s2, s7
	s_add_co_i32 s0, s0, s15
	v_rcp_iflag_f32_e32 v3, v3
	v_lshlrev_b64_e32 v[1:2], 2, v[1:2]
	s_wait_alu 0xfffe
	s_fmamk_f32 s2, s2, 0x4f800000, s1
	s_ashr_i32 s1, s0, 31
	s_add_co_i32 s34, ttmp9, -1
	s_wait_alu 0xfffe
	s_lshl_b64 s[0:1], s[0:1], 3
	v_s_rcp_f32 s2, s2
	s_wait_kmcnt 0x0
	v_add_co_u32 v1, vcc_lo, s8, v1
	s_delay_alu instid0(VALU_DEP_1)
	v_add_co_ci_u32_e64 v2, null, s9, v2, vcc_lo
	s_wait_alu 0xfffe
	s_add_nc_u64 s[0:1], s[10:11], s[0:1]
	s_mov_b32 s8, 0
	s_load_b64 s[26:27], s[0:1], 0x0
	global_load_b32 v5, v[1:2], off
	s_mul_f32 s2, s2, 0x5f7ffffc
	s_lshl_b32 s0, s16, 3
	s_mov_b32 s1, s8
	v_mul_f32_e32 v6, 0x4f7ffffe, v3
	s_wait_alu 0xfffe
	s_mul_f32 s3, s2, 0x2f800000
	s_lshl_b64 s[0:1], s[0:1], 2
	v_mad_co_u64_u32 v[3:4], null, 0x60, s15, v[0:1]
	s_wait_alu 0xfffe
	s_trunc_f32 s3, s3
	s_add_nc_u64 s[24:25], s[10:11], s[0:1]
	v_cvt_u32_f32_e32 v0, v6
	s_sub_nc_u64 s[30:31], 0, s[6:7]
	s_wait_alu 0xfffe
	s_fmamk_f32 s0, s3, 0xcf800000, s2
	s_cvt_u32_f32 s29, s3
	s_wait_alu 0xfffe
	s_delay_alu instid0(SALU_CYCLE_1)
	s_cvt_u32_f32 s28, s0
	s_wait_kmcnt 0x0
	v_mov_b32_e32 v4, s27
.LBB70_9:                               ; =>This Inner Loop Header: Depth=1
	s_wait_alu 0xfffe
	s_ashr_i32 s35, s34, 31
	s_mov_b32 s2, -1
	s_wait_alu 0xfffe
	s_mul_u64 s[0:1], s[34:35], s[18:19]
                                        ; implicit-def: $sgpr38_sgpr39
	s_wait_alu 0xfffe
	s_mov_b32 s9, s1
	s_wait_alu 0xfffe
	s_cmp_lg_u64 s[8:9], 0
	s_cbranch_scc0 .LBB70_11
; %bb.10:                               ;   in Loop: Header=BB70_9 Depth=1
	s_mul_u64 s[2:3], s[30:31], s[28:29]
	s_mov_b32 s37, s8
	s_wait_alu 0xfffe
	s_mul_hi_u32 s5, s28, s3
	s_mul_i32 s4, s28, s3
	s_mul_hi_u32 s36, s28, s2
	s_mul_hi_u32 s9, s29, s2
	s_wait_alu 0xfffe
	s_add_nc_u64 s[4:5], s[36:37], s[4:5]
	s_mul_i32 s2, s29, s2
	s_mul_hi_u32 s17, s29, s3
	s_wait_alu 0xfffe
	s_add_co_u32 s2, s4, s2
	s_add_co_ci_u32 s2, s5, s9
	s_add_co_ci_u32 s5, s17, 0
	s_mul_i32 s4, s29, s3
	s_mov_b32 s3, s8
	s_mov_b32 s39, s8
	s_wait_alu 0xfffe
	s_add_nc_u64 s[2:3], s[2:3], s[4:5]
	s_wait_alu 0xfffe
	s_add_co_u32 s2, s28, s2
	s_cselect_b32 s4, -1, 0
	s_wait_alu 0xfffe
	s_cmp_lg_u32 s4, 0
	s_add_co_ci_u32 s3, s29, s3
	s_wait_alu 0xfffe
	s_mul_u64 s[4:5], s[30:31], s[2:3]
	s_wait_alu 0xfffe
	s_mul_hi_u32 s37, s2, s5
	s_mul_i32 s36, s2, s5
	s_mul_hi_u32 s38, s2, s4
	s_mul_hi_u32 s9, s3, s4
	s_mul_i32 s4, s3, s4
	s_wait_alu 0xfffe
	s_add_nc_u64 s[36:37], s[38:39], s[36:37]
	s_mul_hi_u32 s17, s3, s5
	s_wait_alu 0xfffe
	s_add_co_u32 s4, s36, s4
	s_add_co_ci_u32 s4, s37, s9
	s_add_co_ci_u32 s37, s17, 0
	s_mul_i32 s36, s3, s5
	s_mov_b32 s5, s8
	s_wait_alu 0xfffe
	s_add_nc_u64 s[4:5], s[4:5], s[36:37]
	s_mov_b32 s37, s8
	s_wait_alu 0xfffe
	s_add_co_u32 s9, s2, s4
	s_cselect_b32 s2, -1, 0
	s_wait_alu 0xfffe
	s_cmp_lg_u32 s2, 0
	s_add_co_ci_u32 s17, s3, s5
	s_ashr_i32 s2, s1, 31
	s_wait_alu 0xfffe
	s_mov_b32 s3, s2
	s_wait_alu 0xfffe
	s_add_nc_u64 s[4:5], s[0:1], s[2:3]
	s_wait_alu 0xfffe
	s_xor_b64 s[4:5], s[4:5], s[2:3]
	s_wait_alu 0xfffe
	s_mul_hi_u32 s39, s4, s17
	s_mul_i32 s38, s4, s17
	s_mul_hi_u32 s36, s4, s9
	s_mul_i32 s21, s5, s9
	s_wait_alu 0xfffe
	s_add_nc_u64 s[36:37], s[36:37], s[38:39]
	s_mul_hi_u32 s9, s5, s9
	s_mul_hi_u32 s1, s5, s17
	s_wait_alu 0xfffe
	s_add_co_u32 s21, s36, s21
	s_add_co_ci_u32 s36, s37, s9
	s_add_co_ci_u32 s39, s1, 0
	s_mul_i32 s38, s5, s17
	s_mov_b32 s37, s8
	s_wait_alu 0xfffe
	s_add_nc_u64 s[36:37], s[36:37], s[38:39]
	s_wait_alu 0xfffe
	s_mul_u64 s[38:39], s[6:7], s[36:37]
	s_add_nc_u64 s[40:41], s[36:37], 1
	s_sub_co_u32 s1, s4, s38
	s_cselect_b32 s4, -1, 0
	s_sub_co_i32 s9, s5, s39
	s_wait_alu 0xfffe
	s_cmp_lg_u32 s4, 0
	s_add_nc_u64 s[42:43], s[36:37], 2
	s_sub_co_ci_u32 s9, s9, s7
	s_sub_co_u32 s17, s1, s6
	s_cselect_b32 s21, -1, 0
	s_delay_alu instid0(SALU_CYCLE_1)
	s_cmp_lg_u32 s21, 0
	s_wait_alu 0xfffe
	s_sub_co_ci_u32 s9, s9, 0
	s_wait_alu 0xfffe
	s_cmp_ge_u32 s9, s7
	s_cselect_b32 s21, -1, 0
	s_cmp_ge_u32 s17, s6
	s_cselect_b32 s17, -1, 0
	s_cmp_eq_u32 s9, s7
	s_wait_alu 0xfffe
	s_cselect_b32 s9, s17, s21
	s_wait_alu 0xfffe
	s_cmp_lg_u32 s9, 0
	s_cselect_b32 s9, s42, s40
	s_cselect_b32 s17, s43, s41
	s_cmp_lg_u32 s4, 0
	s_sub_co_ci_u32 s4, s5, s39
	s_wait_alu 0xfffe
	s_cmp_ge_u32 s4, s7
	s_cselect_b32 s5, -1, 0
	s_cmp_ge_u32 s1, s6
	s_cselect_b32 s1, -1, 0
	s_cmp_eq_u32 s4, s7
	s_wait_alu 0xfffe
	s_cselect_b32 s1, s1, s5
	s_wait_alu 0xfffe
	s_cmp_lg_u32 s1, 0
	s_cselect_b32 s5, s17, s37
	s_cselect_b32 s4, s9, s36
	s_xor_b64 s[2:3], s[2:3], 0
	s_wait_alu 0xfffe
	s_xor_b64 s[4:5], s[4:5], s[2:3]
	s_wait_alu 0xfffe
	s_sub_nc_u64 s[38:39], s[4:5], s[2:3]
	s_mov_b32 s2, 0
.LBB70_11:                              ;   in Loop: Header=BB70_9 Depth=1
	s_wait_alu 0xfffe
	s_and_not1_b32 vcc_lo, exec_lo, s2
	s_wait_alu 0xfffe
	s_cbranch_vccnz .LBB70_13
; %bb.12:                               ;   in Loop: Header=BB70_9 Depth=1
	v_readfirstlane_b32 s1, v0
	s_sub_co_i32 s2, 0, s16
	s_wait_alu 0xfffe
	s_mul_i32 s2, s2, s1
	s_wait_alu 0xfffe
	s_mul_hi_u32 s2, s1, s2
	s_wait_alu 0xfffe
	s_add_co_i32 s1, s1, s2
	s_wait_alu 0xfffe
	s_mul_hi_u32 s1, s0, s1
	s_wait_alu 0xfffe
	s_mul_i32 s2, s1, s16
	s_wait_alu 0xfffe
	s_sub_co_i32 s0, s0, s2
	s_add_co_i32 s2, s1, 1
	s_wait_alu 0xfffe
	s_sub_co_i32 s3, s0, s16
	s_cmp_ge_u32 s0, s16
	s_cselect_b32 s1, s2, s1
	s_wait_alu 0xfffe
	s_cselect_b32 s0, s3, s0
	s_add_co_i32 s2, s1, 1
	s_wait_alu 0xfffe
	s_cmp_ge_u32 s0, s16
	s_cselect_b32 s38, s2, s1
.LBB70_13:                              ;   in Loop: Header=BB70_9 Depth=1
	v_readfirstlane_b32 s9, v0
	s_cmp_lg_u32 s20, s38
	s_mov_b32 s0, -1
                                        ; implicit-def: $sgpr21
                                        ; implicit-def: $vgpr6
                                        ; implicit-def: $vgpr7
                                        ; implicit-def: $sgpr17
                                        ; implicit-def: $sgpr27
	s_cbranch_scc1 .LBB70_16
; %bb.14:                               ;   in Loop: Header=BB70_9 Depth=1
	s_wait_alu 0xfffe
	s_and_not1_b32 vcc_lo, exec_lo, s0
	s_wait_alu 0xfffe
	s_cbranch_vccz .LBB70_19
.LBB70_15:                              ;   in Loop: Header=BB70_9 Depth=1
	s_and_not1_b32 vcc_lo, exec_lo, s21
	s_wait_alu 0xfffe
	s_cbranch_vccnz .LBB70_20
	s_branch .LBB70_23
.LBB70_16:                              ;   in Loop: Header=BB70_9 Depth=1
	s_add_co_i32 s0, s34, s16
	s_mov_b32 s1, s8
	s_wait_alu 0xfffe
	s_lshl_b32 s0, s0, 1
	v_max_num_f32_e64 v6, s26, s26
	s_wait_alu 0xfffe
	s_add_co_i32 s0, s0, s15
	s_mov_b32 s39, s8
	s_wait_alu 0xfffe
	s_lshl_b64 s[0:1], s[0:1], 3
	s_mul_u64 s[40:41], s[38:39], s[22:23]
	s_wait_alu 0xfffe
	s_add_nc_u64 s[0:1], s[10:11], s[0:1]
	s_mov_b32 s27, s20
	s_load_b64 s[36:37], s[0:1], 0x0
	v_readfirstlane_b32 s0, v6
	s_wait_kmcnt 0x0
	v_max_num_f32_e64 v7, s36, s36
	s_delay_alu instid0(VALU_DEP_1) | instskip(SKIP_2) | instid1(SALU_CYCLE_2)
	v_readfirstlane_b32 s1, v7
	s_max_num_f32 s9, s0, s1
	s_wait_alu 0xfffe
	s_sub_f32 s33, s26, s9
	s_sub_f32 s35, s36, s9
	s_wait_alu 0xfffe
	s_delay_alu instid0(SALU_CYCLE_1)
	s_cmp_nlt_f32 s33, 0xc2ce8ed0
	s_cselect_b32 s0, -1, 0
	s_cmp_ngt_f32 s33, 0x42b17218
	s_cselect_b32 s1, -1, 0
	s_cmp_ge_f32 s33, 0xc1a00000
	s_cselect_b32 s2, -1, 0
	s_cmp_nlt_f32 s35, 0xc2ce8ed0
	s_cselect_b32 s3, -1, 0
	s_cmp_ngt_f32 s35, 0x42b17218
	s_cselect_b32 s4, -1, 0
	s_cmp_ge_f32 s35, 0xc1a00000
	s_cselect_b32 s5, -1, 0
	s_add_co_i32 s17, s41, s38
	s_wait_alu 0xfffe
	s_lshr_b32 s17, s17, s13
	s_wait_alu 0xfffe
	s_mul_i32 s21, s17, s14
	s_delay_alu instid0(SALU_CYCLE_1)
	s_cmp_eq_u32 s21, s38
	s_cselect_b32 s21, -1, 0
	s_cmp_lt_u32 s17, s12
	s_cselect_b32 s17, -1, 0
	s_wait_alu 0xfffe
	s_or_b32 s17, s17, s21
	s_mov_b32 s21, -1
	s_wait_alu 0xfffe
	s_and_b32 vcc_lo, exec_lo, s17
	s_mov_b32 s17, s34
	s_wait_alu 0xfffe
	s_cbranch_vccnz .LBB70_18
; %bb.17:                               ;   in Loop: Header=BB70_9 Depth=1
	s_add_co_i32 s17, s34, -1
	s_mov_b32 s21, 0
	s_mov_b32 s27, s38
.LBB70_18:                              ;   in Loop: Header=BB70_9 Depth=1
	v_mad_co_u64_u32 v[6:7], null, 0xc0, s34, v[3:4]
	s_mul_f32 s36, s35, 0x3fb8aa3b
	s_mul_f32 s38, s33, 0x3fb8aa3b
	s_wait_alu 0xfffe
	s_delay_alu instid0(SALU_CYCLE_1)
	s_xor_b32 s39, s36, 0x80000000
	s_rndne_f32 s40, s36
	v_ashrrev_i32_e32 v7, 31, v6
	s_fmamk_f32 s39, s35, 0x3fb8aa3b, s39
	s_xor_b32 s41, s38, 0x80000000
	s_sub_f32 s36, s36, s40
	s_rndne_f32 s42, s38
	v_lshlrev_b64_e32 v[6:7], 2, v[6:7]
	s_fmamk_f32 s35, s35, 0x32a5705f, s39
	s_fmamk_f32 s39, s33, 0x3fb8aa3b, s41
	s_sub_f32 s38, s38, s42
	s_wait_alu 0xfffe
	s_add_f32 s35, s36, s35
	v_add_co_u32 v6, vcc_lo, s24, v6
	s_wait_alu 0xfffd
	v_add_co_ci_u32_e64 v7, null, s25, v7, vcc_lo
	s_fmamk_f32 s33, s33, 0x32a5705f, s39
	s_wait_alu 0xfffe
	v_s_exp_f32 s35, s35
	s_cvt_i32_f32 s36, s40
	global_load_b32 v6, v[6:7], off
	s_add_f32 s33, s38, s33
	s_wait_alu 0xfffe
	s_delay_alu instid0(SALU_CYCLE_2) | instskip(SKIP_2) | instid1(VALU_DEP_1)
	v_s_exp_f32 s33, s33
	v_ldexp_f32 v7, s35, s36
	s_cvt_i32_f32 s35, s42
	v_cndmask_b32_e64 v7, 0, v7, s3
	s_wait_alu 0xf1fe
	s_delay_alu instid0(TRANS32_DEP_1) | instid1(SALU_CYCLE_1)
	v_ldexp_f32 v8, s33, s35
	s_delay_alu instid0(VALU_DEP_2) | instskip(NEXT) | instid1(VALU_DEP_2)
	v_cndmask_b32_e64 v7, 0x7f800000, v7, s4
	v_cndmask_b32_e64 v8, 0, v8, s0
	s_delay_alu instid0(VALU_DEP_2) | instskip(NEXT) | instid1(VALU_DEP_2)
	v_cndmask_b32_e64 v7, 0, v7, s5
	v_cndmask_b32_e64 v8, 0x7f800000, v8, s1
	s_delay_alu instid0(VALU_DEP_1) | instskip(SKIP_1) | instid1(VALU_DEP_3)
	v_cndmask_b32_e64 v8, 0, v8, s2
	s_wait_loadcnt 0x0
	v_mul_f32_e32 v6, v6, v7
	v_mul_f32_e32 v7, s37, v7
	s_delay_alu instid0(VALU_DEP_1) | instskip(NEXT) | instid1(VALU_DEP_3)
	v_fmac_f32_e32 v7, v4, v8
	v_fmac_f32_e32 v6, v5, v8
	s_cbranch_execnz .LBB70_15
.LBB70_19:                              ;   in Loop: Header=BB70_9 Depth=1
	s_wait_loadcnt 0x0
	v_dual_mov_b32 v7, v4 :: v_dual_mov_b32 v6, v5
	s_add_co_i32 s17, s34, -1
	s_mov_b32 s27, s20
	s_mov_b32 s9, s26
	s_cbranch_execz .LBB70_23
.LBB70_20:                              ;   in Loop: Header=BB70_9 Depth=1
	s_wait_loadcnt 0x0
	v_dual_mov_b32 v4, v7 :: v_dual_mov_b32 v5, v6
	s_wait_alu 0xfffe
	s_mov_b32 s20, s27
	s_mov_b32 s34, s17
	;; [unrolled: 1-line block ×3, first 2 shown]
	s_branch .LBB70_9
.LBB70_21:
                                        ; implicit-def: $sgpr20_sgpr21
	s_branch .LBB70_2
.LBB70_22:
                                        ; implicit-def: $sgpr10_sgpr11
	s_load_b96 s[12:14], s[0:1], 0x44
	s_branch .LBB70_5
.LBB70_23:
	v_div_scale_f32 v0, null, v7, v7, v6
	s_delay_alu instid0(VALU_DEP_1) | instskip(NEXT) | instid1(TRANS32_DEP_1)
	v_rcp_f32_e32 v3, v0
	v_fma_f32 v4, -v0, v3, 1.0
	s_delay_alu instid0(VALU_DEP_1) | instskip(SKIP_2) | instid1(VALU_DEP_1)
	v_fmac_f32_e32 v3, v4, v3
	v_div_scale_f32 v4, vcc_lo, v6, v7, v6
	s_wait_loadcnt 0x0
	v_mul_f32_e32 v5, v4, v3
	s_delay_alu instid0(VALU_DEP_1) | instskip(NEXT) | instid1(VALU_DEP_1)
	v_fma_f32 v8, -v0, v5, v4
	v_fmac_f32_e32 v5, v8, v3
	s_delay_alu instid0(VALU_DEP_1) | instskip(SKIP_1) | instid1(VALU_DEP_1)
	v_fma_f32 v0, -v0, v5, v4
	s_wait_alu 0xfffd
	v_div_fmas_f32 v0, v0, v3, v5
	s_delay_alu instid0(VALU_DEP_1)
	v_div_fixup_f32 v0, v0, v7, v6
	global_store_b32 v[1:2], v0, off
.LBB70_24:
	s_endpgm
	.section	.rodata,"a",@progbits
	.p2align	6, 0x0
	.amdhsa_kernel _ZL33flash_attn_stream_k_fixup_generalILi96ELi2ELi1EEvPfPK15HIP_vector_typeIfLj2EEiiiiS1_IjLj3EES5_S5_S5_
		.amdhsa_group_segment_fixed_size 0
		.amdhsa_private_segment_fixed_size 0
		.amdhsa_kernarg_size 336
		.amdhsa_user_sgpr_count 2
		.amdhsa_user_sgpr_dispatch_ptr 0
		.amdhsa_user_sgpr_queue_ptr 0
		.amdhsa_user_sgpr_kernarg_segment_ptr 1
		.amdhsa_user_sgpr_dispatch_id 0
		.amdhsa_user_sgpr_private_segment_size 0
		.amdhsa_wavefront_size32 1
		.amdhsa_uses_dynamic_stack 0
		.amdhsa_enable_private_segment 0
		.amdhsa_system_sgpr_workgroup_id_x 1
		.amdhsa_system_sgpr_workgroup_id_y 1
		.amdhsa_system_sgpr_workgroup_id_z 1
		.amdhsa_system_sgpr_workgroup_info 0
		.amdhsa_system_vgpr_workitem_id 0
		.amdhsa_next_free_vgpr 9
		.amdhsa_next_free_sgpr 44
		.amdhsa_reserve_vcc 1
		.amdhsa_float_round_mode_32 0
		.amdhsa_float_round_mode_16_64 0
		.amdhsa_float_denorm_mode_32 3
		.amdhsa_float_denorm_mode_16_64 3
		.amdhsa_fp16_overflow 0
		.amdhsa_workgroup_processor_mode 1
		.amdhsa_memory_ordered 1
		.amdhsa_forward_progress 1
		.amdhsa_inst_pref_size 28
		.amdhsa_round_robin_scheduling 0
		.amdhsa_exception_fp_ieee_invalid_op 0
		.amdhsa_exception_fp_denorm_src 0
		.amdhsa_exception_fp_ieee_div_zero 0
		.amdhsa_exception_fp_ieee_overflow 0
		.amdhsa_exception_fp_ieee_underflow 0
		.amdhsa_exception_fp_ieee_inexact 0
		.amdhsa_exception_int_div_zero 0
	.end_amdhsa_kernel
	.section	.text._ZL33flash_attn_stream_k_fixup_generalILi96ELi2ELi1EEvPfPK15HIP_vector_typeIfLj2EEiiiiS1_IjLj3EES5_S5_S5_,"axG",@progbits,_ZL33flash_attn_stream_k_fixup_generalILi96ELi2ELi1EEvPfPK15HIP_vector_typeIfLj2EEiiiiS1_IjLj3EES5_S5_S5_,comdat
.Lfunc_end70:
	.size	_ZL33flash_attn_stream_k_fixup_generalILi96ELi2ELi1EEvPfPK15HIP_vector_typeIfLj2EEiiiiS1_IjLj3EES5_S5_S5_, .Lfunc_end70-_ZL33flash_attn_stream_k_fixup_generalILi96ELi2ELi1EEvPfPK15HIP_vector_typeIfLj2EEiiiiS1_IjLj3EES5_S5_S5_
                                        ; -- End function
	.set _ZL33flash_attn_stream_k_fixup_generalILi96ELi2ELi1EEvPfPK15HIP_vector_typeIfLj2EEiiiiS1_IjLj3EES5_S5_S5_.num_vgpr, 9
	.set _ZL33flash_attn_stream_k_fixup_generalILi96ELi2ELi1EEvPfPK15HIP_vector_typeIfLj2EEiiiiS1_IjLj3EES5_S5_S5_.num_agpr, 0
	.set _ZL33flash_attn_stream_k_fixup_generalILi96ELi2ELi1EEvPfPK15HIP_vector_typeIfLj2EEiiiiS1_IjLj3EES5_S5_S5_.numbered_sgpr, 44
	.set _ZL33flash_attn_stream_k_fixup_generalILi96ELi2ELi1EEvPfPK15HIP_vector_typeIfLj2EEiiiiS1_IjLj3EES5_S5_S5_.num_named_barrier, 0
	.set _ZL33flash_attn_stream_k_fixup_generalILi96ELi2ELi1EEvPfPK15HIP_vector_typeIfLj2EEiiiiS1_IjLj3EES5_S5_S5_.private_seg_size, 0
	.set _ZL33flash_attn_stream_k_fixup_generalILi96ELi2ELi1EEvPfPK15HIP_vector_typeIfLj2EEiiiiS1_IjLj3EES5_S5_S5_.uses_vcc, 1
	.set _ZL33flash_attn_stream_k_fixup_generalILi96ELi2ELi1EEvPfPK15HIP_vector_typeIfLj2EEiiiiS1_IjLj3EES5_S5_S5_.uses_flat_scratch, 0
	.set _ZL33flash_attn_stream_k_fixup_generalILi96ELi2ELi1EEvPfPK15HIP_vector_typeIfLj2EEiiiiS1_IjLj3EES5_S5_S5_.has_dyn_sized_stack, 0
	.set _ZL33flash_attn_stream_k_fixup_generalILi96ELi2ELi1EEvPfPK15HIP_vector_typeIfLj2EEiiiiS1_IjLj3EES5_S5_S5_.has_recursion, 0
	.set _ZL33flash_attn_stream_k_fixup_generalILi96ELi2ELi1EEvPfPK15HIP_vector_typeIfLj2EEiiiiS1_IjLj3EES5_S5_S5_.has_indirect_call, 0
	.section	.AMDGPU.csdata,"",@progbits
; Kernel info:
; codeLenInByte = 3552
; TotalNumSgprs: 46
; NumVgprs: 9
; ScratchSize: 0
; MemoryBound: 0
; FloatMode: 240
; IeeeMode: 1
; LDSByteSize: 0 bytes/workgroup (compile time only)
; SGPRBlocks: 0
; VGPRBlocks: 1
; NumSGPRsForWavesPerEU: 46
; NumVGPRsForWavesPerEU: 9
; Occupancy: 16
; WaveLimiterHint : 0
; COMPUTE_PGM_RSRC2:SCRATCH_EN: 0
; COMPUTE_PGM_RSRC2:USER_SGPR: 2
; COMPUTE_PGM_RSRC2:TRAP_HANDLER: 0
; COMPUTE_PGM_RSRC2:TGID_X_EN: 1
; COMPUTE_PGM_RSRC2:TGID_Y_EN: 1
; COMPUTE_PGM_RSRC2:TGID_Z_EN: 1
; COMPUTE_PGM_RSRC2:TIDIG_COMP_CNT: 0
	.text
	.p2align	2                               ; -- Begin function __ockl_printf_append_string_n
	.type	__ockl_printf_append_string_n,@function
__ockl_printf_append_string_n:          ; @__ockl_printf_append_string_n
; %bb.0:
	s_wait_loadcnt_dscnt 0x0
	s_wait_expcnt 0x0
	s_wait_samplecnt 0x0
	s_wait_bvhcnt 0x0
	s_wait_kmcnt 0x0
	v_mov_b32_e32 v3, v0
	v_mbcnt_lo_u32_b32 v38, -1, 0
	s_getpc_b64 s[0:1]
	s_wait_alu 0xfffe
	s_sext_i32_i16 s1, s1
	s_add_co_u32 s0, s0, __FUNCTION__._ZL15flash_attn_tileILi96ELi96ELi8ELi8ELb1EEvPKcS1_S1_S1_S1_PKiPfP15HIP_vector_typeIfLj2EEffffjfiS5_IjLj3EEiiiiiiiiiiiliiliiiiil@rel32@lo+12
	s_wait_alu 0xfffe
	s_add_co_ci_u32 s1, s1, __FUNCTION__._ZL15flash_attn_tileILi96ELi96ELi8ELi8ELb1EEvPKcS1_S1_S1_S1_PKiPfP15HIP_vector_typeIfLj2EEffffjfiS5_IjLj3EEiiiiiiiiiiiliiliiiiil@rel32@hi+24
	s_wait_alu 0xfffe
	s_cmp_lg_u64 s[0:1], 0
	s_cbranch_scc0 .LBB71_87
; %bb.1:
	s_load_b64 s[2:3], s[8:9], 0x50
	s_getpc_b64 s[0:1]
	s_wait_alu 0xfffe
	s_sext_i32_i16 s1, s1
	s_add_co_u32 s0, s0, __FUNCTION__._ZL15flash_attn_tileILi96ELi96ELi8ELi8ELb1EEvPKcS1_S1_S1_S1_PKiPfP15HIP_vector_typeIfLj2EEffffjfiS5_IjLj3EEiiiiiiiiiiiliiliiiiil@rel32@lo+12
	s_wait_alu 0xfffe
	s_add_co_ci_u32 s1, s1, __FUNCTION__._ZL15flash_attn_tileILi96ELi96ELi8ELi8ELb1EEvPKcS1_S1_S1_S1_PKiPfP15HIP_vector_typeIfLj2EEffffjfiS5_IjLj3EEiiiiiiiiiiiliiliiiiil@rel32@hi+24
	s_wait_alu 0xfffe
	v_dual_mov_b32 v31, s1 :: v_dual_and_b32 v0, -3, v3
	v_dual_mov_b32 v12, 2 :: v_dual_mov_b32 v7, v1
	v_dual_mov_b32 v11, 0 :: v_dual_and_b32 v2, 2, v3
	v_dual_mov_b32 v30, s0 :: v_dual_mov_b32 v13, 1
	s_delay_alu instid0(VALU_DEP_4)
	v_mov_b32_e32 v6, v0
	s_mov_b32 s7, 0
	s_mov_b32 s6, 0
	s_branch .LBB71_3
.LBB71_2:                               ;   in Loop: Header=BB71_3 Depth=1
	s_wait_alu 0xfffe
	s_or_b32 exec_lo, exec_lo, s10
	v_sub_co_u32 v4, vcc_lo, v4, v32
	s_wait_alu 0xfffd
	v_sub_co_ci_u32_e64 v5, null, v5, v33, vcc_lo
	v_add_co_u32 v30, s0, v30, v32
	s_wait_alu 0xf1ff
	v_add_co_ci_u32_e64 v31, null, v31, v33, s0
	s_delay_alu instid0(VALU_DEP_3)
	v_cmp_eq_u64_e32 vcc_lo, 0, v[4:5]
	s_or_b32 s6, vcc_lo, s6
	s_wait_alu 0xfffe
	s_and_not1_b32 exec_lo, exec_lo, s6
	s_cbranch_execz .LBB71_85
.LBB71_3:                               ; =>This Loop Header: Depth=1
                                        ;     Child Loop BB71_6 Depth 2
                                        ;     Child Loop BB71_14 Depth 2
                                        ;     Child Loop BB71_22 Depth 2
                                        ;     Child Loop BB71_30 Depth 2
                                        ;     Child Loop BB71_38 Depth 2
                                        ;     Child Loop BB71_46 Depth 2
                                        ;     Child Loop BB71_54 Depth 2
                                        ;     Child Loop BB71_62 Depth 2
                                        ;     Child Loop BB71_70 Depth 2
                                        ;     Child Loop BB71_79 Depth 2
                                        ;     Child Loop BB71_84 Depth 2
	v_cmp_gt_u64_e32 vcc_lo, 56, v[4:5]
	s_mov_b32 s1, exec_lo
	s_wait_alu 0xfffd
	v_dual_cndmask_b32 v33, 0, v5 :: v_dual_cndmask_b32 v32, 56, v4
	v_add_co_u32 v16, vcc_lo, v30, 8
	s_wait_alu 0xfffd
	v_add_co_ci_u32_e64 v17, null, 0, v31, vcc_lo
	v_cmpx_gt_u64_e32 8, v[4:5]
	s_wait_alu 0xfffe
	s_xor_b32 s1, exec_lo, s1
	s_cbranch_execz .LBB71_9
; %bb.4:                                ;   in Loop: Header=BB71_3 Depth=1
	v_mov_b32_e32 v8, 0
	v_mov_b32_e32 v9, 0
	s_mov_b32 s10, exec_lo
	v_cmpx_ne_u64_e32 0, v[4:5]
	s_cbranch_execz .LBB71_8
; %bb.5:                                ;   in Loop: Header=BB71_3 Depth=1
	v_lshlrev_b64_e32 v[14:15], 3, v[32:33]
	v_dual_mov_b32 v8, 0 :: v_dual_mov_b32 v15, v30
	v_dual_mov_b32 v9, 0 :: v_dual_mov_b32 v16, v31
	s_mov_b64 s[4:5], 0
	s_mov_b32 s11, 0
.LBB71_6:                               ;   Parent Loop BB71_3 Depth=1
                                        ; =>  This Inner Loop Header: Depth=2
	global_load_u8 v0, v[15:16], off
	v_mov_b32_e32 v18, s7
	v_add_co_u32 v15, vcc_lo, v15, 1
	s_wait_alu 0xfffd
	v_add_co_ci_u32_e64 v16, null, 0, v16, vcc_lo
	s_wait_loadcnt 0x0
	v_and_b32_e32 v17, 0xffff, v0
	s_wait_alu 0xfffe
	s_delay_alu instid0(VALU_DEP_1) | instskip(SKIP_3) | instid1(VALU_DEP_2)
	v_lshlrev_b64_e32 v[17:18], s4, v[17:18]
	s_add_nc_u64 s[4:5], s[4:5], 8
	s_wait_alu 0xfffe
	v_cmp_eq_u32_e64 s0, s4, v14
	v_or_b32_e32 v9, v18, v9
	s_delay_alu instid0(VALU_DEP_3)
	v_or_b32_e32 v8, v17, v8
	s_or_b32 s11, s0, s11
	s_wait_alu 0xfffe
	s_and_not1_b32 exec_lo, exec_lo, s11
	s_cbranch_execnz .LBB71_6
; %bb.7:                                ;   in Loop: Header=BB71_3 Depth=1
	s_or_b32 exec_lo, exec_lo, s11
.LBB71_8:                               ;   in Loop: Header=BB71_3 Depth=1
	s_wait_alu 0xfffe
	s_or_b32 exec_lo, exec_lo, s10
	v_dual_mov_b32 v16, v30 :: v_dual_mov_b32 v17, v31
.LBB71_9:                               ;   in Loop: Header=BB71_3 Depth=1
	s_wait_alu 0xfffe
	s_or_saveexec_b32 s0, s1
	v_mov_b32_e32 v0, 0
	s_wait_alu 0xfffe
	s_xor_b32 exec_lo, exec_lo, s0
	s_cbranch_execz .LBB71_11
; %bb.10:                               ;   in Loop: Header=BB71_3 Depth=1
	global_load_b64 v[8:9], v[30:31], off
	v_add_nc_u32_e32 v0, -8, v32
.LBB71_11:                              ;   in Loop: Header=BB71_3 Depth=1
	s_or_b32 exec_lo, exec_lo, s0
	v_add_co_u32 v18, s0, v16, 8
	s_wait_alu 0xf1ff
	v_add_co_ci_u32_e64 v19, null, 0, v17, s0
                                        ; implicit-def: $vgpr14_vgpr15
	s_mov_b32 s0, exec_lo
	v_cmpx_gt_u32_e32 8, v0
	s_wait_alu 0xfffe
	s_xor_b32 s10, exec_lo, s0
	s_cbranch_execz .LBB71_17
; %bb.12:                               ;   in Loop: Header=BB71_3 Depth=1
	v_mov_b32_e32 v14, 0
	v_mov_b32_e32 v15, 0
	s_mov_b32 s11, exec_lo
	v_cmpx_ne_u32_e32 0, v0
	s_cbranch_execz .LBB71_16
; %bb.13:                               ;   in Loop: Header=BB71_3 Depth=1
	v_mov_b32_e32 v14, 0
	v_mov_b32_e32 v15, 0
	s_mov_b64 s[0:1], 0
	s_mov_b32 s12, 0
	s_mov_b64 s[4:5], 0
.LBB71_14:                              ;   Parent Loop BB71_3 Depth=1
                                        ; =>  This Inner Loop Header: Depth=2
	s_wait_alu 0xfffe
	v_add_co_u32 v18, vcc_lo, v16, s4
	s_wait_alu 0xfffd
	v_add_co_ci_u32_e64 v19, null, s5, v17, vcc_lo
	s_add_nc_u64 s[4:5], s[4:5], 1
	s_wait_alu 0xfffe
	v_cmp_eq_u32_e32 vcc_lo, s4, v0
	global_load_u8 v10, v[18:19], off
	v_mov_b32_e32 v19, s7
	s_or_b32 s12, vcc_lo, s12
	s_wait_loadcnt 0x0
	v_and_b32_e32 v18, 0xffff, v10
	s_delay_alu instid0(VALU_DEP_1) | instskip(SKIP_1) | instid1(VALU_DEP_1)
	v_lshlrev_b64_e32 v[18:19], s0, v[18:19]
	s_add_nc_u64 s[0:1], s[0:1], 8
	v_or_b32_e32 v15, v19, v15
	s_delay_alu instid0(VALU_DEP_2)
	v_or_b32_e32 v14, v18, v14
	s_wait_alu 0xfffe
	s_and_not1_b32 exec_lo, exec_lo, s12
	s_cbranch_execnz .LBB71_14
; %bb.15:                               ;   in Loop: Header=BB71_3 Depth=1
	s_or_b32 exec_lo, exec_lo, s12
.LBB71_16:                              ;   in Loop: Header=BB71_3 Depth=1
	s_wait_alu 0xfffe
	s_or_b32 exec_lo, exec_lo, s11
	v_dual_mov_b32 v19, v17 :: v_dual_mov_b32 v18, v16
                                        ; implicit-def: $vgpr0
.LBB71_17:                              ;   in Loop: Header=BB71_3 Depth=1
	s_wait_alu 0xfffe
	s_or_saveexec_b32 s0, s10
	v_mov_b32_e32 v10, 0
	s_wait_alu 0xfffe
	s_xor_b32 exec_lo, exec_lo, s0
	s_cbranch_execz .LBB71_19
; %bb.18:                               ;   in Loop: Header=BB71_3 Depth=1
	global_load_b64 v[14:15], v[16:17], off
	v_add_nc_u32_e32 v10, -8, v0
.LBB71_19:                              ;   in Loop: Header=BB71_3 Depth=1
	s_or_b32 exec_lo, exec_lo, s0
	v_add_co_u32 v20, s0, v18, 8
	s_wait_alu 0xf1ff
	v_add_co_ci_u32_e64 v21, null, 0, v19, s0
	s_mov_b32 s0, exec_lo
	v_cmpx_gt_u32_e32 8, v10
	s_wait_alu 0xfffe
	s_xor_b32 s10, exec_lo, s0
	s_cbranch_execz .LBB71_25
; %bb.20:                               ;   in Loop: Header=BB71_3 Depth=1
	v_mov_b32_e32 v16, 0
	v_mov_b32_e32 v17, 0
	s_mov_b32 s11, exec_lo
	v_cmpx_ne_u32_e32 0, v10
	s_cbranch_execz .LBB71_24
; %bb.21:                               ;   in Loop: Header=BB71_3 Depth=1
	v_mov_b32_e32 v16, 0
	v_mov_b32_e32 v17, 0
	s_mov_b64 s[0:1], 0
	s_mov_b32 s12, 0
	s_mov_b64 s[4:5], 0
.LBB71_22:                              ;   Parent Loop BB71_3 Depth=1
                                        ; =>  This Inner Loop Header: Depth=2
	s_wait_alu 0xfffe
	v_add_co_u32 v20, vcc_lo, v18, s4
	s_wait_alu 0xfffd
	v_add_co_ci_u32_e64 v21, null, s5, v19, vcc_lo
	s_add_nc_u64 s[4:5], s[4:5], 1
	s_wait_alu 0xfffe
	v_cmp_eq_u32_e32 vcc_lo, s4, v10
	global_load_u8 v0, v[20:21], off
	v_mov_b32_e32 v21, s7
	s_or_b32 s12, vcc_lo, s12
	s_wait_loadcnt 0x0
	v_and_b32_e32 v20, 0xffff, v0
	s_delay_alu instid0(VALU_DEP_1) | instskip(SKIP_1) | instid1(VALU_DEP_1)
	v_lshlrev_b64_e32 v[20:21], s0, v[20:21]
	s_add_nc_u64 s[0:1], s[0:1], 8
	v_or_b32_e32 v17, v21, v17
	s_delay_alu instid0(VALU_DEP_2)
	v_or_b32_e32 v16, v20, v16
	s_wait_alu 0xfffe
	s_and_not1_b32 exec_lo, exec_lo, s12
	s_cbranch_execnz .LBB71_22
; %bb.23:                               ;   in Loop: Header=BB71_3 Depth=1
	s_or_b32 exec_lo, exec_lo, s12
.LBB71_24:                              ;   in Loop: Header=BB71_3 Depth=1
	s_wait_alu 0xfffe
	s_or_b32 exec_lo, exec_lo, s11
	v_dual_mov_b32 v21, v19 :: v_dual_mov_b32 v20, v18
                                        ; implicit-def: $vgpr10
.LBB71_25:                              ;   in Loop: Header=BB71_3 Depth=1
	s_wait_alu 0xfffe
	s_or_saveexec_b32 s0, s10
	v_mov_b32_e32 v0, 0
	s_wait_alu 0xfffe
	s_xor_b32 exec_lo, exec_lo, s0
	s_cbranch_execz .LBB71_27
; %bb.26:                               ;   in Loop: Header=BB71_3 Depth=1
	global_load_b64 v[16:17], v[18:19], off
	v_add_nc_u32_e32 v0, -8, v10
.LBB71_27:                              ;   in Loop: Header=BB71_3 Depth=1
	s_or_b32 exec_lo, exec_lo, s0
	v_add_co_u32 v22, s0, v20, 8
	s_wait_alu 0xf1ff
	v_add_co_ci_u32_e64 v23, null, 0, v21, s0
                                        ; implicit-def: $vgpr18_vgpr19
	s_mov_b32 s0, exec_lo
	v_cmpx_gt_u32_e32 8, v0
	s_wait_alu 0xfffe
	s_xor_b32 s10, exec_lo, s0
	s_cbranch_execz .LBB71_33
; %bb.28:                               ;   in Loop: Header=BB71_3 Depth=1
	v_mov_b32_e32 v18, 0
	v_mov_b32_e32 v19, 0
	s_mov_b32 s11, exec_lo
	v_cmpx_ne_u32_e32 0, v0
	s_cbranch_execz .LBB71_32
; %bb.29:                               ;   in Loop: Header=BB71_3 Depth=1
	v_mov_b32_e32 v18, 0
	v_mov_b32_e32 v19, 0
	s_mov_b64 s[0:1], 0
	s_mov_b32 s12, 0
	s_mov_b64 s[4:5], 0
.LBB71_30:                              ;   Parent Loop BB71_3 Depth=1
                                        ; =>  This Inner Loop Header: Depth=2
	s_wait_alu 0xfffe
	v_add_co_u32 v22, vcc_lo, v20, s4
	s_wait_alu 0xfffd
	v_add_co_ci_u32_e64 v23, null, s5, v21, vcc_lo
	s_add_nc_u64 s[4:5], s[4:5], 1
	s_wait_alu 0xfffe
	v_cmp_eq_u32_e32 vcc_lo, s4, v0
	global_load_u8 v10, v[22:23], off
	v_mov_b32_e32 v23, s7
	s_or_b32 s12, vcc_lo, s12
	s_wait_loadcnt 0x0
	v_and_b32_e32 v22, 0xffff, v10
	s_delay_alu instid0(VALU_DEP_1) | instskip(SKIP_1) | instid1(VALU_DEP_1)
	v_lshlrev_b64_e32 v[22:23], s0, v[22:23]
	s_add_nc_u64 s[0:1], s[0:1], 8
	v_or_b32_e32 v19, v23, v19
	s_delay_alu instid0(VALU_DEP_2)
	v_or_b32_e32 v18, v22, v18
	s_wait_alu 0xfffe
	s_and_not1_b32 exec_lo, exec_lo, s12
	s_cbranch_execnz .LBB71_30
; %bb.31:                               ;   in Loop: Header=BB71_3 Depth=1
	s_or_b32 exec_lo, exec_lo, s12
.LBB71_32:                              ;   in Loop: Header=BB71_3 Depth=1
	s_wait_alu 0xfffe
	s_or_b32 exec_lo, exec_lo, s11
	v_dual_mov_b32 v23, v21 :: v_dual_mov_b32 v22, v20
                                        ; implicit-def: $vgpr0
.LBB71_33:                              ;   in Loop: Header=BB71_3 Depth=1
	s_wait_alu 0xfffe
	s_or_saveexec_b32 s0, s10
	v_mov_b32_e32 v10, 0
	s_wait_alu 0xfffe
	s_xor_b32 exec_lo, exec_lo, s0
	s_cbranch_execz .LBB71_35
; %bb.34:                               ;   in Loop: Header=BB71_3 Depth=1
	global_load_b64 v[18:19], v[20:21], off
	v_add_nc_u32_e32 v10, -8, v0
.LBB71_35:                              ;   in Loop: Header=BB71_3 Depth=1
	s_or_b32 exec_lo, exec_lo, s0
	v_add_co_u32 v24, s0, v22, 8
	s_wait_alu 0xf1ff
	v_add_co_ci_u32_e64 v25, null, 0, v23, s0
	s_mov_b32 s0, exec_lo
	v_cmpx_gt_u32_e32 8, v10
	s_wait_alu 0xfffe
	s_xor_b32 s10, exec_lo, s0
	s_cbranch_execz .LBB71_41
; %bb.36:                               ;   in Loop: Header=BB71_3 Depth=1
	v_mov_b32_e32 v20, 0
	v_mov_b32_e32 v21, 0
	s_mov_b32 s11, exec_lo
	v_cmpx_ne_u32_e32 0, v10
	s_cbranch_execz .LBB71_40
; %bb.37:                               ;   in Loop: Header=BB71_3 Depth=1
	v_mov_b32_e32 v20, 0
	v_mov_b32_e32 v21, 0
	s_mov_b64 s[0:1], 0
	s_mov_b32 s12, 0
	s_mov_b64 s[4:5], 0
.LBB71_38:                              ;   Parent Loop BB71_3 Depth=1
                                        ; =>  This Inner Loop Header: Depth=2
	s_wait_alu 0xfffe
	v_add_co_u32 v24, vcc_lo, v22, s4
	s_wait_alu 0xfffd
	v_add_co_ci_u32_e64 v25, null, s5, v23, vcc_lo
	s_add_nc_u64 s[4:5], s[4:5], 1
	s_wait_alu 0xfffe
	v_cmp_eq_u32_e32 vcc_lo, s4, v10
	global_load_u8 v0, v[24:25], off
	v_mov_b32_e32 v25, s7
	s_or_b32 s12, vcc_lo, s12
	s_wait_loadcnt 0x0
	v_and_b32_e32 v24, 0xffff, v0
	s_delay_alu instid0(VALU_DEP_1) | instskip(SKIP_1) | instid1(VALU_DEP_1)
	v_lshlrev_b64_e32 v[24:25], s0, v[24:25]
	s_add_nc_u64 s[0:1], s[0:1], 8
	v_or_b32_e32 v21, v25, v21
	s_delay_alu instid0(VALU_DEP_2)
	v_or_b32_e32 v20, v24, v20
	s_wait_alu 0xfffe
	s_and_not1_b32 exec_lo, exec_lo, s12
	s_cbranch_execnz .LBB71_38
; %bb.39:                               ;   in Loop: Header=BB71_3 Depth=1
	s_or_b32 exec_lo, exec_lo, s12
.LBB71_40:                              ;   in Loop: Header=BB71_3 Depth=1
	s_wait_alu 0xfffe
	s_or_b32 exec_lo, exec_lo, s11
	v_dual_mov_b32 v25, v23 :: v_dual_mov_b32 v24, v22
                                        ; implicit-def: $vgpr10
.LBB71_41:                              ;   in Loop: Header=BB71_3 Depth=1
	s_wait_alu 0xfffe
	s_or_saveexec_b32 s0, s10
	v_mov_b32_e32 v0, 0
	s_wait_alu 0xfffe
	s_xor_b32 exec_lo, exec_lo, s0
	s_cbranch_execz .LBB71_43
; %bb.42:                               ;   in Loop: Header=BB71_3 Depth=1
	global_load_b64 v[20:21], v[22:23], off
	v_add_nc_u32_e32 v0, -8, v10
.LBB71_43:                              ;   in Loop: Header=BB71_3 Depth=1
	s_or_b32 exec_lo, exec_lo, s0
	v_add_co_u32 v26, s0, v24, 8
	s_wait_alu 0xf1ff
	v_add_co_ci_u32_e64 v27, null, 0, v25, s0
                                        ; implicit-def: $vgpr22_vgpr23
	s_mov_b32 s0, exec_lo
	v_cmpx_gt_u32_e32 8, v0
	s_wait_alu 0xfffe
	s_xor_b32 s10, exec_lo, s0
	s_cbranch_execz .LBB71_49
; %bb.44:                               ;   in Loop: Header=BB71_3 Depth=1
	v_mov_b32_e32 v22, 0
	v_mov_b32_e32 v23, 0
	s_mov_b32 s11, exec_lo
	v_cmpx_ne_u32_e32 0, v0
	s_cbranch_execz .LBB71_48
; %bb.45:                               ;   in Loop: Header=BB71_3 Depth=1
	v_mov_b32_e32 v22, 0
	v_mov_b32_e32 v23, 0
	s_mov_b64 s[0:1], 0
	s_mov_b32 s12, 0
	s_mov_b64 s[4:5], 0
.LBB71_46:                              ;   Parent Loop BB71_3 Depth=1
                                        ; =>  This Inner Loop Header: Depth=2
	s_wait_alu 0xfffe
	v_add_co_u32 v26, vcc_lo, v24, s4
	s_wait_alu 0xfffd
	v_add_co_ci_u32_e64 v27, null, s5, v25, vcc_lo
	s_add_nc_u64 s[4:5], s[4:5], 1
	s_wait_alu 0xfffe
	v_cmp_eq_u32_e32 vcc_lo, s4, v0
	global_load_u8 v10, v[26:27], off
	v_mov_b32_e32 v27, s7
	s_or_b32 s12, vcc_lo, s12
	s_wait_loadcnt 0x0
	v_and_b32_e32 v26, 0xffff, v10
	s_delay_alu instid0(VALU_DEP_1) | instskip(SKIP_1) | instid1(VALU_DEP_1)
	v_lshlrev_b64_e32 v[26:27], s0, v[26:27]
	s_add_nc_u64 s[0:1], s[0:1], 8
	v_or_b32_e32 v23, v27, v23
	s_delay_alu instid0(VALU_DEP_2)
	v_or_b32_e32 v22, v26, v22
	s_wait_alu 0xfffe
	s_and_not1_b32 exec_lo, exec_lo, s12
	s_cbranch_execnz .LBB71_46
; %bb.47:                               ;   in Loop: Header=BB71_3 Depth=1
	s_or_b32 exec_lo, exec_lo, s12
.LBB71_48:                              ;   in Loop: Header=BB71_3 Depth=1
	s_wait_alu 0xfffe
	s_or_b32 exec_lo, exec_lo, s11
	v_dual_mov_b32 v27, v25 :: v_dual_mov_b32 v26, v24
                                        ; implicit-def: $vgpr0
.LBB71_49:                              ;   in Loop: Header=BB71_3 Depth=1
	s_wait_alu 0xfffe
	s_or_saveexec_b32 s0, s10
	v_mov_b32_e32 v10, 0
	s_wait_alu 0xfffe
	s_xor_b32 exec_lo, exec_lo, s0
	s_cbranch_execz .LBB71_51
; %bb.50:                               ;   in Loop: Header=BB71_3 Depth=1
	global_load_b64 v[22:23], v[24:25], off
	v_add_nc_u32_e32 v10, -8, v0
.LBB71_51:                              ;   in Loop: Header=BB71_3 Depth=1
	s_or_b32 exec_lo, exec_lo, s0
	s_delay_alu instid0(SALU_CYCLE_1) | instskip(NEXT) | instid1(VALU_DEP_1)
	s_mov_b32 s0, exec_lo
	v_cmpx_gt_u32_e32 8, v10
	s_wait_alu 0xfffe
	s_xor_b32 s1, exec_lo, s0
	s_cbranch_execz .LBB71_57
; %bb.52:                               ;   in Loop: Header=BB71_3 Depth=1
	v_mov_b32_e32 v24, 0
	v_mov_b32_e32 v25, 0
	s_mov_b32 s10, exec_lo
	v_cmpx_ne_u32_e32 0, v10
	s_cbranch_execz .LBB71_56
; %bb.53:                               ;   in Loop: Header=BB71_3 Depth=1
	v_mov_b32_e32 v24, 0
	v_mov_b32_e32 v25, 0
	s_mov_b64 s[4:5], 0
	s_mov_b32 s11, 0
.LBB71_54:                              ;   Parent Loop BB71_3 Depth=1
                                        ; =>  This Inner Loop Header: Depth=2
	global_load_u8 v0, v[26:27], off
	v_dual_mov_b32 v29, s7 :: v_dual_add_nc_u32 v10, -1, v10
	v_add_co_u32 v26, vcc_lo, v26, 1
	s_wait_alu 0xfffd
	v_add_co_ci_u32_e64 v27, null, 0, v27, vcc_lo
	s_delay_alu instid0(VALU_DEP_3) | instskip(SKIP_4) | instid1(VALU_DEP_1)
	v_cmp_eq_u32_e64 s0, 0, v10
	s_wait_alu 0xfffe
	s_or_b32 s11, s0, s11
	s_wait_loadcnt 0x0
	v_and_b32_e32 v28, 0xffff, v0
	v_lshlrev_b64_e32 v[28:29], s4, v[28:29]
	s_add_nc_u64 s[4:5], s[4:5], 8
	s_delay_alu instid0(VALU_DEP_1) | instskip(NEXT) | instid1(VALU_DEP_2)
	v_or_b32_e32 v25, v29, v25
	v_or_b32_e32 v24, v28, v24
	s_wait_alu 0xfffe
	s_and_not1_b32 exec_lo, exec_lo, s11
	s_cbranch_execnz .LBB71_54
; %bb.55:                               ;   in Loop: Header=BB71_3 Depth=1
	s_or_b32 exec_lo, exec_lo, s11
.LBB71_56:                              ;   in Loop: Header=BB71_3 Depth=1
	s_wait_alu 0xfffe
	s_or_b32 exec_lo, exec_lo, s10
                                        ; implicit-def: $vgpr26_vgpr27
.LBB71_57:                              ;   in Loop: Header=BB71_3 Depth=1
	s_wait_alu 0xfffe
	s_and_not1_saveexec_b32 s0, s1
	s_cbranch_execz .LBB71_59
; %bb.58:                               ;   in Loop: Header=BB71_3 Depth=1
	global_load_b64 v[24:25], v[26:27], off
.LBB71_59:                              ;   in Loop: Header=BB71_3 Depth=1
	s_wait_alu 0xfffe
	s_or_b32 exec_lo, exec_lo, s0
	v_readfirstlane_b32 s0, v38
	v_mov_b32_e32 v34, 0
	v_mov_b32_e32 v35, 0
	s_wait_alu 0xf1ff
	s_delay_alu instid0(VALU_DEP_3)
	v_cmp_eq_u32_e64 s0, s0, v38
	s_and_saveexec_b32 s1, s0
	s_cbranch_execz .LBB71_65
; %bb.60:                               ;   in Loop: Header=BB71_3 Depth=1
	s_wait_kmcnt 0x0
	global_load_b64 v[28:29], v11, s[2:3] offset:24 scope:SCOPE_SYS
	s_wait_loadcnt 0x0
	global_inv scope:SCOPE_SYS
	s_clause 0x1
	global_load_b64 v[26:27], v11, s[2:3] offset:40
	global_load_b64 v[34:35], v11, s[2:3]
	s_mov_b32 s4, exec_lo
	s_wait_loadcnt 0x1
	v_and_b32_e32 v0, v27, v29
	v_and_b32_e32 v10, v26, v28
	s_delay_alu instid0(VALU_DEP_2) | instskip(NEXT) | instid1(VALU_DEP_2)
	v_mul_lo_u32 v0, 24, v0
	v_mul_lo_u32 v26, 0, v10
	v_mul_hi_u32 v27, 24, v10
	v_mul_lo_u32 v10, 24, v10
	s_delay_alu instid0(VALU_DEP_3) | instskip(SKIP_1) | instid1(VALU_DEP_2)
	v_add_nc_u32_e32 v0, v0, v26
	s_wait_loadcnt 0x0
	v_add_co_u32 v26, vcc_lo, v34, v10
	s_delay_alu instid0(VALU_DEP_2) | instskip(SKIP_1) | instid1(VALU_DEP_1)
	v_add_nc_u32_e32 v0, v0, v27
	s_wait_alu 0xfffd
	v_add_co_ci_u32_e64 v27, null, v35, v0, vcc_lo
	global_load_b64 v[26:27], v[26:27], off scope:SCOPE_SYS
	s_wait_loadcnt 0x0
	global_atomic_cmpswap_b64 v[34:35], v11, v[26:29], s[2:3] offset:24 th:TH_ATOMIC_RETURN scope:SCOPE_SYS
	s_wait_loadcnt 0x0
	global_inv scope:SCOPE_SYS
	v_cmpx_ne_u64_e64 v[34:35], v[28:29]
	s_cbranch_execz .LBB71_64
; %bb.61:                               ;   in Loop: Header=BB71_3 Depth=1
	s_mov_b32 s5, 0
.LBB71_62:                              ;   Parent Loop BB71_3 Depth=1
                                        ; =>  This Inner Loop Header: Depth=2
	s_sleep 1
	s_clause 0x1
	global_load_b64 v[26:27], v11, s[2:3] offset:40
	global_load_b64 v[36:37], v11, s[2:3]
	v_dual_mov_b32 v28, v34 :: v_dual_mov_b32 v29, v35
	s_wait_loadcnt 0x1
	s_delay_alu instid0(VALU_DEP_1) | instskip(NEXT) | instid1(VALU_DEP_2)
	v_and_b32_e32 v0, v26, v28
	v_and_b32_e32 v10, v27, v29
	s_wait_loadcnt 0x0
	s_delay_alu instid0(VALU_DEP_2) | instskip(NEXT) | instid1(VALU_DEP_1)
	v_mad_co_u64_u32 v[34:35], null, v0, 24, v[36:37]
	v_mov_b32_e32 v0, v35
	s_delay_alu instid0(VALU_DEP_1) | instskip(NEXT) | instid1(VALU_DEP_1)
	v_mad_co_u64_u32 v[26:27], null, v10, 24, v[0:1]
	v_mov_b32_e32 v35, v26
	global_load_b64 v[26:27], v[34:35], off scope:SCOPE_SYS
	s_wait_loadcnt 0x0
	global_atomic_cmpswap_b64 v[34:35], v11, v[26:29], s[2:3] offset:24 th:TH_ATOMIC_RETURN scope:SCOPE_SYS
	s_wait_loadcnt 0x0
	global_inv scope:SCOPE_SYS
	v_cmp_eq_u64_e32 vcc_lo, v[34:35], v[28:29]
	s_wait_alu 0xfffe
	s_or_b32 s5, vcc_lo, s5
	s_wait_alu 0xfffe
	s_and_not1_b32 exec_lo, exec_lo, s5
	s_cbranch_execnz .LBB71_62
; %bb.63:                               ;   in Loop: Header=BB71_3 Depth=1
	s_or_b32 exec_lo, exec_lo, s5
.LBB71_64:                              ;   in Loop: Header=BB71_3 Depth=1
	s_wait_alu 0xfffe
	s_or_b32 exec_lo, exec_lo, s4
.LBB71_65:                              ;   in Loop: Header=BB71_3 Depth=1
	s_wait_alu 0xfffe
	s_or_b32 exec_lo, exec_lo, s1
	s_wait_kmcnt 0x0
	s_clause 0x1
	global_load_b64 v[36:37], v11, s[2:3] offset:40
	global_load_b128 v[26:29], v11, s[2:3]
	v_readfirstlane_b32 s5, v35
	v_readfirstlane_b32 s4, v34
	s_mov_b32 s1, exec_lo
	s_wait_loadcnt 0x1
	s_wait_alu 0xf1ff
	v_and_b32_e32 v37, s5, v37
	v_and_b32_e32 v36, s4, v36
	s_delay_alu instid0(VALU_DEP_2) | instskip(NEXT) | instid1(VALU_DEP_2)
	v_mul_lo_u32 v0, 24, v37
	v_mul_lo_u32 v10, 0, v36
	v_mul_hi_u32 v34, 24, v36
	v_mul_lo_u32 v35, 24, v36
	s_delay_alu instid0(VALU_DEP_3) | instskip(NEXT) | instid1(VALU_DEP_1)
	v_add_nc_u32_e32 v0, v0, v10
	v_add_nc_u32_e32 v0, v0, v34
	s_wait_loadcnt 0x0
	s_delay_alu instid0(VALU_DEP_3) | instskip(SKIP_1) | instid1(VALU_DEP_2)
	v_add_co_u32 v34, vcc_lo, v26, v35
	s_wait_alu 0xfffd
	v_add_co_ci_u32_e64 v35, null, v27, v0, vcc_lo
	s_and_saveexec_b32 s10, s0
	s_cbranch_execz .LBB71_67
; %bb.66:                               ;   in Loop: Header=BB71_3 Depth=1
	s_wait_alu 0xfffe
	v_mov_b32_e32 v10, s1
	global_store_b128 v[34:35], v[10:13], off offset:8
.LBB71_67:                              ;   in Loop: Header=BB71_3 Depth=1
	s_wait_alu 0xfffe
	s_or_b32 exec_lo, exec_lo, s10
	v_cmp_gt_u64_e32 vcc_lo, 57, v[4:5]
	v_lshlrev_b64_e32 v[36:37], 12, v[36:37]
	v_and_b32_e32 v6, 0xffffff1f, v6
	v_lshl_add_u32 v10, v32, 2, 28
	s_wait_alu 0xfffd
	v_cndmask_b32_e32 v0, 0, v2, vcc_lo
	s_delay_alu instid0(VALU_DEP_1) | instskip(SKIP_3) | instid1(VALU_DEP_3)
	v_or_b32_e32 v6, v6, v0
	v_add_co_u32 v0, vcc_lo, v28, v36
	s_wait_alu 0xfffd
	v_add_co_ci_u32_e64 v28, null, v29, v37, vcc_lo
	v_and_or_b32 v6, 0x1e0, v10, v6
	v_lshlrev_b32_e32 v29, 6, v38
	v_readfirstlane_b32 s10, v0
	s_delay_alu instid0(VALU_DEP_4)
	v_readfirstlane_b32 s11, v28
	s_clause 0x3
	global_store_b128 v29, v[6:9], s[10:11]
	global_store_b128 v29, v[14:17], s[10:11] offset:16
	global_store_b128 v29, v[18:21], s[10:11] offset:32
	;; [unrolled: 1-line block ×3, first 2 shown]
	s_and_saveexec_b32 s1, s0
	s_cbranch_execz .LBB71_75
; %bb.68:                               ;   in Loop: Header=BB71_3 Depth=1
	s_clause 0x1
	global_load_b64 v[18:19], v11, s[2:3] offset:32 scope:SCOPE_SYS
	global_load_b64 v[6:7], v11, s[2:3] offset:40
	s_mov_b32 s10, exec_lo
	v_dual_mov_b32 v16, s4 :: v_dual_mov_b32 v17, s5
	s_wait_loadcnt 0x0
	v_and_b32_e32 v6, s4, v6
	v_and_b32_e32 v7, s5, v7
	s_delay_alu instid0(VALU_DEP_2) | instskip(NEXT) | instid1(VALU_DEP_2)
	v_mul_lo_u32 v8, 0, v6
	v_mul_lo_u32 v7, 24, v7
	v_mul_hi_u32 v9, 24, v6
	v_mul_lo_u32 v6, 24, v6
	s_delay_alu instid0(VALU_DEP_3) | instskip(NEXT) | instid1(VALU_DEP_2)
	v_add_nc_u32_e32 v7, v7, v8
	v_add_co_u32 v14, vcc_lo, v26, v6
	s_delay_alu instid0(VALU_DEP_2) | instskip(SKIP_1) | instid1(VALU_DEP_1)
	v_add_nc_u32_e32 v7, v7, v9
	s_wait_alu 0xfffd
	v_add_co_ci_u32_e64 v15, null, v27, v7, vcc_lo
	global_store_b64 v[14:15], v[18:19], off
	global_wb scope:SCOPE_SYS
	s_wait_storecnt 0x0
	global_atomic_cmpswap_b64 v[8:9], v11, v[16:19], s[2:3] offset:32 th:TH_ATOMIC_RETURN scope:SCOPE_SYS
	s_wait_loadcnt 0x0
	v_cmpx_ne_u64_e64 v[8:9], v[18:19]
	s_cbranch_execz .LBB71_71
; %bb.69:                               ;   in Loop: Header=BB71_3 Depth=1
	s_mov_b32 s11, 0
.LBB71_70:                              ;   Parent Loop BB71_3 Depth=1
                                        ; =>  This Inner Loop Header: Depth=2
	v_dual_mov_b32 v6, s4 :: v_dual_mov_b32 v7, s5
	s_sleep 1
	global_store_b64 v[14:15], v[8:9], off
	global_wb scope:SCOPE_SYS
	s_wait_storecnt 0x0
	global_atomic_cmpswap_b64 v[6:7], v11, v[6:9], s[2:3] offset:32 th:TH_ATOMIC_RETURN scope:SCOPE_SYS
	s_wait_loadcnt 0x0
	v_cmp_eq_u64_e32 vcc_lo, v[6:7], v[8:9]
	v_dual_mov_b32 v9, v7 :: v_dual_mov_b32 v8, v6
	s_wait_alu 0xfffe
	s_or_b32 s11, vcc_lo, s11
	s_wait_alu 0xfffe
	s_and_not1_b32 exec_lo, exec_lo, s11
	s_cbranch_execnz .LBB71_70
.LBB71_71:                              ;   in Loop: Header=BB71_3 Depth=1
	s_wait_alu 0xfffe
	s_or_b32 exec_lo, exec_lo, s10
	global_load_b64 v[6:7], v11, s[2:3] offset:16
	s_mov_b32 s11, exec_lo
	s_mov_b32 s10, exec_lo
	s_wait_alu 0xfffe
	v_mbcnt_lo_u32_b32 v8, s11, 0
	s_delay_alu instid0(VALU_DEP_1)
	v_cmpx_eq_u32_e32 0, v8
	s_cbranch_execz .LBB71_73
; %bb.72:                               ;   in Loop: Header=BB71_3 Depth=1
	s_bcnt1_i32_b32 s11, s11
	s_wait_alu 0xfffe
	v_mov_b32_e32 v10, s11
	global_wb scope:SCOPE_SYS
	s_wait_loadcnt 0x0
	s_wait_storecnt 0x0
	global_atomic_add_u64 v[6:7], v[10:11], off offset:8 scope:SCOPE_SYS
.LBB71_73:                              ;   in Loop: Header=BB71_3 Depth=1
	s_or_b32 exec_lo, exec_lo, s10
	s_wait_loadcnt 0x0
	global_load_b64 v[8:9], v[6:7], off offset:16
	s_wait_loadcnt 0x0
	v_cmp_eq_u64_e32 vcc_lo, 0, v[8:9]
	s_cbranch_vccnz .LBB71_75
; %bb.74:                               ;   in Loop: Header=BB71_3 Depth=1
	global_load_b32 v10, v[6:7], off offset:24
	s_wait_loadcnt 0x0
	v_readfirstlane_b32 s10, v10
	global_wb scope:SCOPE_SYS
	s_wait_storecnt 0x0
	global_store_b64 v[8:9], v[10:11], off scope:SCOPE_SYS
	s_and_b32 m0, s10, 0xffffff
	s_sendmsg sendmsg(MSG_INTERRUPT)
.LBB71_75:                              ;   in Loop: Header=BB71_3 Depth=1
	s_wait_alu 0xfffe
	s_or_b32 exec_lo, exec_lo, s1
	v_add_co_u32 v6, vcc_lo, v0, v29
	s_wait_alu 0xfffd
	v_add_co_ci_u32_e64 v7, null, 0, v28, vcc_lo
	s_branch .LBB71_79
.LBB71_76:                              ;   in Loop: Header=BB71_79 Depth=2
	s_wait_alu 0xfffe
	s_or_b32 exec_lo, exec_lo, s1
	s_delay_alu instid0(VALU_DEP_1)
	v_readfirstlane_b32 s1, v0
	s_cmp_eq_u32 s1, 0
	s_cbranch_scc1 .LBB71_78
; %bb.77:                               ;   in Loop: Header=BB71_79 Depth=2
	s_sleep 1
	s_cbranch_execnz .LBB71_79
	s_branch .LBB71_81
.LBB71_78:                              ;   in Loop: Header=BB71_3 Depth=1
	s_branch .LBB71_81
.LBB71_79:                              ;   Parent Loop BB71_3 Depth=1
                                        ; =>  This Inner Loop Header: Depth=2
	v_mov_b32_e32 v0, 1
	s_and_saveexec_b32 s1, s0
	s_cbranch_execz .LBB71_76
; %bb.80:                               ;   in Loop: Header=BB71_79 Depth=2
	global_load_b32 v0, v[34:35], off offset:20 scope:SCOPE_SYS
	s_wait_loadcnt 0x0
	global_inv scope:SCOPE_SYS
	v_and_b32_e32 v0, 1, v0
	s_branch .LBB71_76
.LBB71_81:                              ;   in Loop: Header=BB71_3 Depth=1
	global_load_b64 v[6:7], v[6:7], off
	s_and_saveexec_b32 s10, s0
	s_cbranch_execz .LBB71_2
; %bb.82:                               ;   in Loop: Header=BB71_3 Depth=1
	s_clause 0x2
	global_load_b64 v[8:9], v11, s[2:3] offset:40
	global_load_b64 v[18:19], v11, s[2:3] offset:24 scope:SCOPE_SYS
	global_load_b64 v[14:15], v11, s[2:3]
	s_wait_loadcnt 0x2
	v_readfirstlane_b32 s12, v8
	v_readfirstlane_b32 s13, v9
	s_add_nc_u64 s[0:1], s[12:13], 1
	s_wait_alu 0xfffe
	s_add_nc_u64 s[4:5], s[0:1], s[4:5]
	s_wait_alu 0xfffe
	s_cmp_eq_u64 s[4:5], 0
	s_cselect_b32 s1, s1, s5
	s_cselect_b32 s0, s0, s4
	s_wait_alu 0xfffe
	v_dual_mov_b32 v17, s1 :: v_dual_mov_b32 v16, s0
	s_and_b64 s[4:5], s[0:1], s[12:13]
	s_wait_alu 0xfffe
	s_mul_u64 s[4:5], s[4:5], 24
	s_wait_loadcnt 0x0
	s_wait_alu 0xfffe
	v_add_co_u32 v8, vcc_lo, v14, s4
	s_wait_alu 0xfffd
	v_add_co_ci_u32_e64 v9, null, s5, v15, vcc_lo
	global_store_b64 v[8:9], v[18:19], off
	global_wb scope:SCOPE_SYS
	s_wait_storecnt 0x0
	global_atomic_cmpswap_b64 v[16:17], v11, v[16:19], s[2:3] offset:24 th:TH_ATOMIC_RETURN scope:SCOPE_SYS
	s_wait_loadcnt 0x0
	v_cmp_ne_u64_e32 vcc_lo, v[16:17], v[18:19]
	s_and_b32 exec_lo, exec_lo, vcc_lo
	s_cbranch_execz .LBB71_2
; %bb.83:                               ;   in Loop: Header=BB71_3 Depth=1
	s_mov_b32 s4, 0
.LBB71_84:                              ;   Parent Loop BB71_3 Depth=1
                                        ; =>  This Inner Loop Header: Depth=2
	v_dual_mov_b32 v14, s0 :: v_dual_mov_b32 v15, s1
	s_sleep 1
	global_store_b64 v[8:9], v[16:17], off
	global_wb scope:SCOPE_SYS
	s_wait_storecnt 0x0
	global_atomic_cmpswap_b64 v[14:15], v11, v[14:17], s[2:3] offset:24 th:TH_ATOMIC_RETURN scope:SCOPE_SYS
	s_wait_loadcnt 0x0
	v_cmp_eq_u64_e32 vcc_lo, v[14:15], v[16:17]
	v_dual_mov_b32 v17, v15 :: v_dual_mov_b32 v16, v14
	s_wait_alu 0xfffe
	s_or_b32 s4, vcc_lo, s4
	s_wait_alu 0xfffe
	s_and_not1_b32 exec_lo, exec_lo, s4
	s_cbranch_execnz .LBB71_84
	s_branch .LBB71_2
.LBB71_85:
	s_or_b32 exec_lo, exec_lo, s6
.LBB71_86:
	s_wait_loadcnt 0x0
	v_dual_mov_b32 v0, v6 :: v_dual_mov_b32 v1, v7
	s_wait_kmcnt 0x0
	s_setpc_b64 s[30:31]
.LBB71_87:
                                        ; implicit-def: $vgpr6_vgpr7
	s_cbranch_execz .LBB71_86
; %bb.88:
	s_load_b64 s[2:3], s[8:9], 0x50
	v_readfirstlane_b32 s0, v38
	v_mov_b32_e32 v8, 0
	v_mov_b32_e32 v9, 0
	s_wait_alu 0xf1ff
	s_delay_alu instid0(VALU_DEP_3)
	v_cmp_eq_u32_e64 s0, s0, v38
	s_and_saveexec_b32 s1, s0
	s_cbranch_execz .LBB71_94
; %bb.89:
	v_mov_b32_e32 v0, 0
	s_mov_b32 s4, exec_lo
	s_wait_loadcnt 0x0
	s_wait_kmcnt 0x0
	global_load_b64 v[6:7], v0, s[2:3] offset:24 scope:SCOPE_SYS
	s_wait_loadcnt 0x0
	global_inv scope:SCOPE_SYS
	s_clause 0x1
	global_load_b64 v[4:5], v0, s[2:3] offset:40
	global_load_b64 v[8:9], v0, s[2:3]
	s_wait_loadcnt 0x1
	v_and_b32_e32 v2, v5, v7
	v_and_b32_e32 v4, v4, v6
	s_delay_alu instid0(VALU_DEP_2) | instskip(NEXT) | instid1(VALU_DEP_2)
	v_mul_lo_u32 v2, 24, v2
	v_mul_lo_u32 v5, 0, v4
	v_mul_hi_u32 v10, 24, v4
	v_mul_lo_u32 v4, 24, v4
	s_delay_alu instid0(VALU_DEP_3) | instskip(SKIP_1) | instid1(VALU_DEP_2)
	v_add_nc_u32_e32 v2, v2, v5
	s_wait_loadcnt 0x0
	v_add_co_u32 v4, vcc_lo, v8, v4
	s_delay_alu instid0(VALU_DEP_2) | instskip(SKIP_1) | instid1(VALU_DEP_1)
	v_add_nc_u32_e32 v2, v2, v10
	s_wait_alu 0xfffd
	v_add_co_ci_u32_e64 v5, null, v9, v2, vcc_lo
	global_load_b64 v[4:5], v[4:5], off scope:SCOPE_SYS
	s_wait_loadcnt 0x0
	global_atomic_cmpswap_b64 v[8:9], v0, v[4:7], s[2:3] offset:24 th:TH_ATOMIC_RETURN scope:SCOPE_SYS
	s_wait_loadcnt 0x0
	global_inv scope:SCOPE_SYS
	v_cmpx_ne_u64_e64 v[8:9], v[6:7]
	s_cbranch_execz .LBB71_93
; %bb.90:
	s_mov_b32 s5, 0
.LBB71_91:                              ; =>This Inner Loop Header: Depth=1
	s_sleep 1
	s_clause 0x1
	global_load_b64 v[4:5], v0, s[2:3] offset:40
	global_load_b64 v[10:11], v0, s[2:3]
	v_dual_mov_b32 v6, v8 :: v_dual_mov_b32 v7, v9
	s_wait_loadcnt 0x1
	s_delay_alu instid0(VALU_DEP_1) | instskip(NEXT) | instid1(VALU_DEP_2)
	v_and_b32_e32 v2, v4, v6
	v_and_b32_e32 v4, v5, v7
	s_wait_loadcnt 0x0
	s_delay_alu instid0(VALU_DEP_2) | instskip(NEXT) | instid1(VALU_DEP_1)
	v_mad_co_u64_u32 v[8:9], null, v2, 24, v[10:11]
	v_mov_b32_e32 v2, v9
	s_delay_alu instid0(VALU_DEP_1) | instskip(NEXT) | instid1(VALU_DEP_1)
	v_mad_co_u64_u32 v[4:5], null, v4, 24, v[2:3]
	v_mov_b32_e32 v9, v4
	global_load_b64 v[4:5], v[8:9], off scope:SCOPE_SYS
	s_wait_loadcnt 0x0
	global_atomic_cmpswap_b64 v[8:9], v0, v[4:7], s[2:3] offset:24 th:TH_ATOMIC_RETURN scope:SCOPE_SYS
	s_wait_loadcnt 0x0
	global_inv scope:SCOPE_SYS
	v_cmp_eq_u64_e32 vcc_lo, v[8:9], v[6:7]
	s_wait_alu 0xfffe
	s_or_b32 s5, vcc_lo, s5
	s_wait_alu 0xfffe
	s_and_not1_b32 exec_lo, exec_lo, s5
	s_cbranch_execnz .LBB71_91
; %bb.92:
	s_or_b32 exec_lo, exec_lo, s5
.LBB71_93:
	s_wait_alu 0xfffe
	s_or_b32 exec_lo, exec_lo, s4
.LBB71_94:
	s_wait_alu 0xfffe
	s_or_b32 exec_lo, exec_lo, s1
	v_readfirstlane_b32 s5, v9
	v_mov_b32_e32 v2, 0
	v_readfirstlane_b32 s4, v8
	s_mov_b32 s1, exec_lo
	s_wait_kmcnt 0x0
	global_load_b64 v[10:11], v2, s[2:3] offset:40
	s_wait_loadcnt 0x1
	global_load_b128 v[4:7], v2, s[2:3]
	s_wait_loadcnt 0x1
	s_wait_alu 0xf1ff
	v_and_b32_e32 v11, s5, v11
	v_and_b32_e32 v10, s4, v10
	s_delay_alu instid0(VALU_DEP_2) | instskip(NEXT) | instid1(VALU_DEP_2)
	v_mul_lo_u32 v0, 24, v11
	v_mul_lo_u32 v8, 0, v10
	v_mul_hi_u32 v9, 24, v10
	v_mul_lo_u32 v12, 24, v10
	s_delay_alu instid0(VALU_DEP_3) | instskip(SKIP_1) | instid1(VALU_DEP_2)
	v_add_nc_u32_e32 v0, v0, v8
	s_wait_loadcnt 0x0
	v_add_co_u32 v8, vcc_lo, v4, v12
	s_delay_alu instid0(VALU_DEP_2) | instskip(SKIP_1) | instid1(VALU_DEP_1)
	v_add_nc_u32_e32 v0, v0, v9
	s_wait_alu 0xfffd
	v_add_co_ci_u32_e64 v9, null, v5, v0, vcc_lo
	s_and_saveexec_b32 s6, s0
	s_cbranch_execz .LBB71_96
; %bb.95:
	s_wait_alu 0xfffe
	v_dual_mov_b32 v12, s1 :: v_dual_mov_b32 v13, v2
	v_dual_mov_b32 v14, 2 :: v_dual_mov_b32 v15, 1
	global_store_b128 v[8:9], v[12:15], off offset:8
.LBB71_96:
	s_wait_alu 0xfffe
	s_or_b32 exec_lo, exec_lo, s6
	v_lshlrev_b64_e32 v[10:11], 12, v[10:11]
	v_lshlrev_b32_e32 v14, 6, v38
	s_mov_b32 s8, 0
	v_and_or_b32 v0, 0xffffff1f, v3, 32
	v_mov_b32_e32 v3, v2
	s_wait_alu 0xfffe
	s_mov_b32 s11, s8
	v_add_co_u32 v6, vcc_lo, v6, v10
	s_wait_alu 0xfffd
	v_add_co_ci_u32_e64 v7, null, v7, v11, vcc_lo
	s_mov_b32 s9, s8
	v_readfirstlane_b32 s6, v6
	v_add_co_u32 v6, vcc_lo, v6, v14
	s_mov_b32 s10, s8
	v_readfirstlane_b32 s7, v7
	s_wait_alu 0xfffe
	v_dual_mov_b32 v13, s11 :: v_dual_mov_b32 v12, s10
	s_wait_alu 0xfffd
	v_add_co_ci_u32_e64 v7, null, 0, v7, vcc_lo
	v_dual_mov_b32 v11, s9 :: v_dual_mov_b32 v10, s8
	s_clause 0x3
	global_store_b128 v14, v[0:3], s[6:7]
	global_store_b128 v14, v[10:13], s[6:7] offset:16
	global_store_b128 v14, v[10:13], s[6:7] offset:32
	global_store_b128 v14, v[10:13], s[6:7] offset:48
	s_and_saveexec_b32 s1, s0
	s_cbranch_execz .LBB71_104
; %bb.97:
	v_mov_b32_e32 v10, 0
	s_mov_b32 s6, exec_lo
	s_clause 0x1
	global_load_b64 v[13:14], v10, s[2:3] offset:32 scope:SCOPE_SYS
	global_load_b64 v[0:1], v10, s[2:3] offset:40
	v_dual_mov_b32 v11, s4 :: v_dual_mov_b32 v12, s5
	s_wait_loadcnt 0x0
	v_and_b32_e32 v1, s5, v1
	v_and_b32_e32 v0, s4, v0
	s_delay_alu instid0(VALU_DEP_2) | instskip(NEXT) | instid1(VALU_DEP_2)
	v_mul_lo_u32 v1, 24, v1
	v_mul_lo_u32 v2, 0, v0
	v_mul_hi_u32 v3, 24, v0
	v_mul_lo_u32 v0, 24, v0
	s_delay_alu instid0(VALU_DEP_3) | instskip(NEXT) | instid1(VALU_DEP_2)
	v_add_nc_u32_e32 v1, v1, v2
	v_add_co_u32 v4, vcc_lo, v4, v0
	s_delay_alu instid0(VALU_DEP_2) | instskip(SKIP_1) | instid1(VALU_DEP_1)
	v_add_nc_u32_e32 v1, v1, v3
	s_wait_alu 0xfffd
	v_add_co_ci_u32_e64 v5, null, v5, v1, vcc_lo
	global_store_b64 v[4:5], v[13:14], off
	global_wb scope:SCOPE_SYS
	s_wait_storecnt 0x0
	global_atomic_cmpswap_b64 v[2:3], v10, v[11:14], s[2:3] offset:32 th:TH_ATOMIC_RETURN scope:SCOPE_SYS
	s_wait_loadcnt 0x0
	v_cmpx_ne_u64_e64 v[2:3], v[13:14]
	s_cbranch_execz .LBB71_100
; %bb.98:
	s_mov_b32 s7, 0
.LBB71_99:                              ; =>This Inner Loop Header: Depth=1
	v_dual_mov_b32 v0, s4 :: v_dual_mov_b32 v1, s5
	s_sleep 1
	global_store_b64 v[4:5], v[2:3], off
	global_wb scope:SCOPE_SYS
	s_wait_storecnt 0x0
	global_atomic_cmpswap_b64 v[0:1], v10, v[0:3], s[2:3] offset:32 th:TH_ATOMIC_RETURN scope:SCOPE_SYS
	s_wait_loadcnt 0x0
	v_cmp_eq_u64_e32 vcc_lo, v[0:1], v[2:3]
	v_dual_mov_b32 v3, v1 :: v_dual_mov_b32 v2, v0
	s_wait_alu 0xfffe
	s_or_b32 s7, vcc_lo, s7
	s_wait_alu 0xfffe
	s_and_not1_b32 exec_lo, exec_lo, s7
	s_cbranch_execnz .LBB71_99
.LBB71_100:
	s_wait_alu 0xfffe
	s_or_b32 exec_lo, exec_lo, s6
	v_mov_b32_e32 v3, 0
	s_mov_b32 s7, exec_lo
	s_mov_b32 s6, exec_lo
	s_wait_alu 0xfffe
	v_mbcnt_lo_u32_b32 v2, s7, 0
	global_load_b64 v[0:1], v3, s[2:3] offset:16
	v_cmpx_eq_u32_e32 0, v2
	s_cbranch_execz .LBB71_102
; %bb.101:
	s_bcnt1_i32_b32 s7, s7
	s_wait_alu 0xfffe
	v_mov_b32_e32 v2, s7
	global_wb scope:SCOPE_SYS
	s_wait_loadcnt 0x0
	s_wait_storecnt 0x0
	global_atomic_add_u64 v[0:1], v[2:3], off offset:8 scope:SCOPE_SYS
.LBB71_102:
	s_or_b32 exec_lo, exec_lo, s6
	s_wait_loadcnt 0x0
	global_load_b64 v[2:3], v[0:1], off offset:16
	s_wait_loadcnt 0x0
	v_cmp_eq_u64_e32 vcc_lo, 0, v[2:3]
	s_cbranch_vccnz .LBB71_104
; %bb.103:
	global_load_b32 v0, v[0:1], off offset:24
	v_mov_b32_e32 v1, 0
	s_wait_loadcnt 0x0
	v_readfirstlane_b32 s6, v0
	global_wb scope:SCOPE_SYS
	s_wait_storecnt 0x0
	global_store_b64 v[2:3], v[0:1], off scope:SCOPE_SYS
	s_and_b32 m0, s6, 0xffffff
	s_sendmsg sendmsg(MSG_INTERRUPT)
.LBB71_104:
	s_wait_alu 0xfffe
	s_or_b32 exec_lo, exec_lo, s1
	s_branch .LBB71_108
.LBB71_105:                             ;   in Loop: Header=BB71_108 Depth=1
	s_wait_alu 0xfffe
	s_or_b32 exec_lo, exec_lo, s1
	s_delay_alu instid0(VALU_DEP_1)
	v_readfirstlane_b32 s1, v0
	s_cmp_eq_u32 s1, 0
	s_cbranch_scc1 .LBB71_107
; %bb.106:                              ;   in Loop: Header=BB71_108 Depth=1
	s_sleep 1
	s_cbranch_execnz .LBB71_108
	s_branch .LBB71_110
.LBB71_107:
	s_branch .LBB71_110
.LBB71_108:                             ; =>This Inner Loop Header: Depth=1
	v_mov_b32_e32 v0, 1
	s_and_saveexec_b32 s1, s0
	s_cbranch_execz .LBB71_105
; %bb.109:                              ;   in Loop: Header=BB71_108 Depth=1
	global_load_b32 v0, v[8:9], off offset:20 scope:SCOPE_SYS
	s_wait_loadcnt 0x0
	global_inv scope:SCOPE_SYS
	v_and_b32_e32 v0, 1, v0
	s_branch .LBB71_105
.LBB71_110:
	global_load_b64 v[6:7], v[6:7], off
	s_and_saveexec_b32 s6, s0
	s_cbranch_execz .LBB71_114
; %bb.111:
	v_mov_b32_e32 v8, 0
	s_clause 0x2
	global_load_b64 v[0:1], v8, s[2:3] offset:40
	global_load_b64 v[11:12], v8, s[2:3] offset:24 scope:SCOPE_SYS
	global_load_b64 v[2:3], v8, s[2:3]
	s_wait_loadcnt 0x2
	v_readfirstlane_b32 s8, v0
	v_readfirstlane_b32 s9, v1
	s_add_nc_u64 s[0:1], s[8:9], 1
	s_wait_alu 0xfffe
	s_add_nc_u64 s[4:5], s[0:1], s[4:5]
	s_wait_alu 0xfffe
	s_cmp_eq_u64 s[4:5], 0
	s_cselect_b32 s1, s1, s5
	s_cselect_b32 s0, s0, s4
	s_wait_alu 0xfffe
	v_mov_b32_e32 v10, s1
	s_and_b64 s[4:5], s[0:1], s[8:9]
	v_mov_b32_e32 v9, s0
	s_wait_alu 0xfffe
	s_mul_u64 s[4:5], s[4:5], 24
	s_wait_loadcnt 0x0
	s_wait_alu 0xfffe
	v_add_co_u32 v4, vcc_lo, v2, s4
	s_wait_alu 0xfffd
	v_add_co_ci_u32_e64 v5, null, s5, v3, vcc_lo
	global_store_b64 v[4:5], v[11:12], off
	global_wb scope:SCOPE_SYS
	s_wait_storecnt 0x0
	global_atomic_cmpswap_b64 v[2:3], v8, v[9:12], s[2:3] offset:24 th:TH_ATOMIC_RETURN scope:SCOPE_SYS
	s_wait_loadcnt 0x0
	v_cmp_ne_u64_e32 vcc_lo, v[2:3], v[11:12]
	s_and_b32 exec_lo, exec_lo, vcc_lo
	s_cbranch_execz .LBB71_114
; %bb.112:
	s_mov_b32 s4, 0
.LBB71_113:                             ; =>This Inner Loop Header: Depth=1
	v_dual_mov_b32 v0, s0 :: v_dual_mov_b32 v1, s1
	s_sleep 1
	global_store_b64 v[4:5], v[2:3], off
	global_wb scope:SCOPE_SYS
	s_wait_storecnt 0x0
	global_atomic_cmpswap_b64 v[0:1], v8, v[0:3], s[2:3] offset:24 th:TH_ATOMIC_RETURN scope:SCOPE_SYS
	s_wait_loadcnt 0x0
	v_cmp_eq_u64_e32 vcc_lo, v[0:1], v[2:3]
	v_dual_mov_b32 v3, v1 :: v_dual_mov_b32 v2, v0
	s_wait_alu 0xfffe
	s_or_b32 s4, vcc_lo, s4
	s_wait_alu 0xfffe
	s_and_not1_b32 exec_lo, exec_lo, s4
	s_cbranch_execnz .LBB71_113
.LBB71_114:
	s_wait_alu 0xfffe
	s_or_b32 exec_lo, exec_lo, s6
	s_wait_loadcnt 0x0
	v_dual_mov_b32 v0, v6 :: v_dual_mov_b32 v1, v7
	s_wait_kmcnt 0x0
	s_setpc_b64 s[30:31]
.Lfunc_end71:
	.size	__ockl_printf_append_string_n, .Lfunc_end71-__ockl_printf_append_string_n
                                        ; -- End function
	.set .L__ockl_printf_append_string_n.num_vgpr, 39
	.set .L__ockl_printf_append_string_n.num_agpr, 0
	.set .L__ockl_printf_append_string_n.numbered_sgpr, 32
	.set .L__ockl_printf_append_string_n.num_named_barrier, 0
	.set .L__ockl_printf_append_string_n.private_seg_size, 0
	.set .L__ockl_printf_append_string_n.uses_vcc, 1
	.set .L__ockl_printf_append_string_n.uses_flat_scratch, 0
	.set .L__ockl_printf_append_string_n.has_dyn_sized_stack, 0
	.set .L__ockl_printf_append_string_n.has_recursion, 0
	.set .L__ockl_printf_append_string_n.has_indirect_call, 0
	.section	.AMDGPU.csdata,"",@progbits
; Function info:
; codeLenInByte = 5328
; TotalNumSgprs: 34
; NumVgprs: 39
; ScratchSize: 0
; MemoryBound: 0
	.text
	.p2align	2                               ; -- Begin function __ockl_printf_append_args
	.type	__ockl_printf_append_args,@function
__ockl_printf_append_args:              ; @__ockl_printf_append_args
; %bb.0:
	s_wait_loadcnt_dscnt 0x0
	s_wait_expcnt 0x0
	s_wait_samplecnt 0x0
	s_wait_bvhcnt 0x0
	s_wait_kmcnt 0x0
	s_load_b64 s[2:3], s[8:9], 0x50
	v_mbcnt_lo_u32_b32 v17, -1, 0
	v_mov_b32_e32 v11, 0
	v_mov_b32_e32 v12, 0
	s_delay_alu instid0(VALU_DEP_3) | instskip(SKIP_1) | instid1(VALU_DEP_1)
	v_readfirstlane_b32 s0, v17
	s_wait_alu 0xf1ff
	v_cmp_eq_u32_e64 s0, s0, v17
	s_and_saveexec_b32 s1, s0
	s_cbranch_execz .LBB72_6
; %bb.1:
	v_mov_b32_e32 v5, 0
	s_mov_b32 s4, exec_lo
	s_wait_kmcnt 0x0
	global_load_b64 v[8:9], v5, s[2:3] offset:24 scope:SCOPE_SYS
	s_wait_loadcnt 0x0
	global_inv scope:SCOPE_SYS
	s_clause 0x1
	global_load_b64 v[6:7], v5, s[2:3] offset:40
	global_load_b64 v[10:11], v5, s[2:3]
	s_wait_loadcnt 0x1
	v_and_b32_e32 v7, v7, v9
	v_and_b32_e32 v6, v6, v8
	s_delay_alu instid0(VALU_DEP_2) | instskip(NEXT) | instid1(VALU_DEP_2)
	v_mul_lo_u32 v7, 24, v7
	v_mul_lo_u32 v12, 0, v6
	v_mul_hi_u32 v13, 24, v6
	v_mul_lo_u32 v6, 24, v6
	s_delay_alu instid0(VALU_DEP_3) | instskip(SKIP_1) | instid1(VALU_DEP_2)
	v_add_nc_u32_e32 v7, v7, v12
	s_wait_loadcnt 0x0
	v_add_co_u32 v6, vcc_lo, v10, v6
	s_delay_alu instid0(VALU_DEP_2) | instskip(SKIP_1) | instid1(VALU_DEP_1)
	v_add_nc_u32_e32 v7, v7, v13
	s_wait_alu 0xfffd
	v_add_co_ci_u32_e64 v7, null, v11, v7, vcc_lo
	global_load_b64 v[6:7], v[6:7], off scope:SCOPE_SYS
	s_wait_loadcnt 0x0
	global_atomic_cmpswap_b64 v[11:12], v5, v[6:9], s[2:3] offset:24 th:TH_ATOMIC_RETURN scope:SCOPE_SYS
	s_wait_loadcnt 0x0
	global_inv scope:SCOPE_SYS
	v_cmpx_ne_u64_e64 v[11:12], v[8:9]
	s_cbranch_execz .LBB72_5
; %bb.2:
	s_mov_b32 s5, 0
.LBB72_3:                               ; =>This Inner Loop Header: Depth=1
	s_sleep 1
	s_clause 0x1
	global_load_b64 v[6:7], v5, s[2:3] offset:40
	global_load_b64 v[13:14], v5, s[2:3]
	v_dual_mov_b32 v8, v11 :: v_dual_mov_b32 v9, v12
	s_wait_loadcnt 0x1
	s_delay_alu instid0(VALU_DEP_1) | instskip(NEXT) | instid1(VALU_DEP_2)
	v_and_b32_e32 v6, v6, v8
	v_and_b32_e32 v7, v7, v9
	s_wait_loadcnt 0x0
	s_delay_alu instid0(VALU_DEP_2) | instskip(NEXT) | instid1(VALU_DEP_1)
	v_mad_co_u64_u32 v[10:11], null, v6, 24, v[13:14]
	v_mov_b32_e32 v6, v11
	s_delay_alu instid0(VALU_DEP_1) | instskip(NEXT) | instid1(VALU_DEP_1)
	v_mad_co_u64_u32 v[6:7], null, v7, 24, v[6:7]
	v_mov_b32_e32 v11, v6
	global_load_b64 v[6:7], v[10:11], off scope:SCOPE_SYS
	s_wait_loadcnt 0x0
	global_atomic_cmpswap_b64 v[11:12], v5, v[6:9], s[2:3] offset:24 th:TH_ATOMIC_RETURN scope:SCOPE_SYS
	s_wait_loadcnt 0x0
	global_inv scope:SCOPE_SYS
	v_cmp_eq_u64_e32 vcc_lo, v[11:12], v[8:9]
	s_wait_alu 0xfffe
	s_or_b32 s5, vcc_lo, s5
	s_wait_alu 0xfffe
	s_and_not1_b32 exec_lo, exec_lo, s5
	s_cbranch_execnz .LBB72_3
; %bb.4:
	s_or_b32 exec_lo, exec_lo, s5
.LBB72_5:
	s_wait_alu 0xfffe
	s_or_b32 exec_lo, exec_lo, s4
.LBB72_6:
	s_wait_alu 0xfffe
	s_or_b32 exec_lo, exec_lo, s1
	v_readfirstlane_b32 s4, v11
	v_mov_b32_e32 v10, 0
	v_readfirstlane_b32 s5, v12
	s_mov_b32 s1, exec_lo
	s_wait_kmcnt 0x0
	s_clause 0x1
	global_load_b64 v[13:14], v10, s[2:3] offset:40
	global_load_b128 v[5:8], v10, s[2:3]
	s_wait_loadcnt 0x1
	s_wait_alu 0xf1ff
	v_and_b32_e32 v16, s5, v14
	v_and_b32_e32 v15, s4, v13
	s_delay_alu instid0(VALU_DEP_2) | instskip(NEXT) | instid1(VALU_DEP_2)
	v_mul_lo_u32 v9, 24, v16
	v_mul_lo_u32 v11, 0, v15
	v_mul_hi_u32 v12, 24, v15
	v_mul_lo_u32 v13, 24, v15
	s_delay_alu instid0(VALU_DEP_3) | instskip(SKIP_1) | instid1(VALU_DEP_2)
	v_add_nc_u32_e32 v9, v9, v11
	s_wait_loadcnt 0x0
	v_add_co_u32 v13, vcc_lo, v5, v13
	s_delay_alu instid0(VALU_DEP_2) | instskip(SKIP_1) | instid1(VALU_DEP_1)
	v_add_nc_u32_e32 v9, v9, v12
	s_wait_alu 0xfffd
	v_add_co_ci_u32_e64 v14, null, v6, v9, vcc_lo
	s_and_saveexec_b32 s6, s0
	s_cbranch_execz .LBB72_8
; %bb.7:
	s_wait_alu 0xfffe
	v_dual_mov_b32 v9, s1 :: v_dual_mov_b32 v12, 1
	v_mov_b32_e32 v11, 2
	global_store_b128 v[13:14], v[9:12], off offset:8
.LBB72_8:
	s_wait_alu 0xfffe
	s_or_b32 exec_lo, exec_lo, s6
	v_lshlrev_b64_e32 v[9:10], 12, v[15:16]
	v_or_b32_e32 v11, 2, v0
	v_cmp_eq_u32_e32 vcc_lo, 0, v4
	s_mov_b32 s8, 0
	s_wait_alu 0xfffe
	s_mov_b32 s9, s8
	s_mov_b32 s10, s8
	s_wait_alu 0xfffd
	v_dual_cndmask_b32 v0, v11, v0 :: v_dual_lshlrev_b32 v11, 6, v17
	v_add_co_u32 v4, vcc_lo, v7, v9
	s_wait_alu 0xfffd
	v_add_co_ci_u32_e64 v7, null, v8, v10, vcc_lo
	s_mov_b32 s11, s8
	v_and_or_b32 v0, 0xffffff1f, v0, 32
	v_readfirstlane_b32 s6, v4
	v_readfirstlane_b32 s7, v7
	s_wait_alu 0xfffe
	v_dual_mov_b32 v7, s8 :: v_dual_mov_b32 v8, s9
	v_dual_mov_b32 v9, s10 :: v_dual_mov_b32 v10, s11
	s_clause 0x3
	global_store_b128 v11, v[0:3], s[6:7]
	global_store_b128 v11, v[7:10], s[6:7] offset:16
	global_store_b128 v11, v[7:10], s[6:7] offset:32
	;; [unrolled: 1-line block ×3, first 2 shown]
	s_and_saveexec_b32 s1, s0
	s_cbranch_execz .LBB72_16
; %bb.9:
	v_mov_b32_e32 v7, 0
	v_mov_b32_e32 v9, s5
	s_mov_b32 s6, exec_lo
	s_clause 0x1
	global_load_b64 v[10:11], v7, s[2:3] offset:32 scope:SCOPE_SYS
	global_load_b64 v[0:1], v7, s[2:3] offset:40
	s_wait_loadcnt 0x0
	v_dual_mov_b32 v8, s4 :: v_dual_and_b32 v1, s5, v1
	v_and_b32_e32 v0, s4, v0
	s_delay_alu instid0(VALU_DEP_2) | instskip(NEXT) | instid1(VALU_DEP_2)
	v_mul_lo_u32 v1, 24, v1
	v_mul_lo_u32 v2, 0, v0
	v_mul_hi_u32 v3, 24, v0
	v_mul_lo_u32 v0, 24, v0
	s_delay_alu instid0(VALU_DEP_3) | instskip(NEXT) | instid1(VALU_DEP_2)
	v_add_nc_u32_e32 v1, v1, v2
	v_add_co_u32 v4, vcc_lo, v5, v0
	s_delay_alu instid0(VALU_DEP_2) | instskip(SKIP_1) | instid1(VALU_DEP_1)
	v_add_nc_u32_e32 v1, v1, v3
	s_wait_alu 0xfffd
	v_add_co_ci_u32_e64 v5, null, v6, v1, vcc_lo
	global_store_b64 v[4:5], v[10:11], off
	global_wb scope:SCOPE_SYS
	s_wait_storecnt 0x0
	global_atomic_cmpswap_b64 v[2:3], v7, v[8:11], s[2:3] offset:32 th:TH_ATOMIC_RETURN scope:SCOPE_SYS
	s_wait_loadcnt 0x0
	v_cmpx_ne_u64_e64 v[2:3], v[10:11]
	s_cbranch_execz .LBB72_12
; %bb.10:
	s_mov_b32 s7, 0
.LBB72_11:                              ; =>This Inner Loop Header: Depth=1
	v_dual_mov_b32 v0, s4 :: v_dual_mov_b32 v1, s5
	s_sleep 1
	global_store_b64 v[4:5], v[2:3], off
	global_wb scope:SCOPE_SYS
	s_wait_storecnt 0x0
	global_atomic_cmpswap_b64 v[0:1], v7, v[0:3], s[2:3] offset:32 th:TH_ATOMIC_RETURN scope:SCOPE_SYS
	s_wait_loadcnt 0x0
	v_cmp_eq_u64_e32 vcc_lo, v[0:1], v[2:3]
	v_dual_mov_b32 v3, v1 :: v_dual_mov_b32 v2, v0
	s_wait_alu 0xfffe
	s_or_b32 s7, vcc_lo, s7
	s_wait_alu 0xfffe
	s_and_not1_b32 exec_lo, exec_lo, s7
	s_cbranch_execnz .LBB72_11
.LBB72_12:
	s_wait_alu 0xfffe
	s_or_b32 exec_lo, exec_lo, s6
	v_mov_b32_e32 v3, 0
	s_mov_b32 s7, exec_lo
	s_mov_b32 s6, exec_lo
	s_wait_alu 0xfffe
	v_mbcnt_lo_u32_b32 v2, s7, 0
	global_load_b64 v[0:1], v3, s[2:3] offset:16
	v_cmpx_eq_u32_e32 0, v2
	s_cbranch_execz .LBB72_14
; %bb.13:
	s_bcnt1_i32_b32 s7, s7
	s_wait_alu 0xfffe
	v_mov_b32_e32 v2, s7
	global_wb scope:SCOPE_SYS
	s_wait_loadcnt 0x0
	s_wait_storecnt 0x0
	global_atomic_add_u64 v[0:1], v[2:3], off offset:8 scope:SCOPE_SYS
.LBB72_14:
	s_or_b32 exec_lo, exec_lo, s6
	s_wait_loadcnt 0x0
	global_load_b64 v[2:3], v[0:1], off offset:16
	s_wait_loadcnt 0x0
	v_cmp_eq_u64_e32 vcc_lo, 0, v[2:3]
	s_cbranch_vccnz .LBB72_16
; %bb.15:
	global_load_b32 v0, v[0:1], off offset:24
	v_mov_b32_e32 v1, 0
	s_wait_loadcnt 0x0
	v_readfirstlane_b32 s6, v0
	global_wb scope:SCOPE_SYS
	s_wait_storecnt 0x0
	global_store_b64 v[2:3], v[0:1], off scope:SCOPE_SYS
	s_and_b32 m0, s6, 0xffffff
	s_sendmsg sendmsg(MSG_INTERRUPT)
.LBB72_16:
	s_wait_alu 0xfffe
	s_or_b32 exec_lo, exec_lo, s1
	s_branch .LBB72_20
.LBB72_17:                              ;   in Loop: Header=BB72_20 Depth=1
	s_wait_alu 0xfffe
	s_or_b32 exec_lo, exec_lo, s1
	s_delay_alu instid0(VALU_DEP_1)
	v_readfirstlane_b32 s1, v0
	s_cmp_eq_u32 s1, 0
	s_cbranch_scc1 .LBB72_19
; %bb.18:                               ;   in Loop: Header=BB72_20 Depth=1
	s_sleep 1
	s_cbranch_execnz .LBB72_20
	s_branch .LBB72_22
.LBB72_19:
	s_branch .LBB72_22
.LBB72_20:                              ; =>This Inner Loop Header: Depth=1
	v_mov_b32_e32 v0, 1
	s_and_saveexec_b32 s1, s0
	s_cbranch_execz .LBB72_17
; %bb.21:                               ;   in Loop: Header=BB72_20 Depth=1
	global_load_b32 v0, v[13:14], off offset:20 scope:SCOPE_SYS
	s_wait_loadcnt 0x0
	global_inv scope:SCOPE_SYS
	v_and_b32_e32 v0, 1, v0
	s_branch .LBB72_17
.LBB72_22:
	s_and_saveexec_b32 s6, s0
	s_cbranch_execz .LBB72_26
; %bb.23:
	v_mov_b32_e32 v6, 0
	s_clause 0x2
	global_load_b64 v[0:1], v6, s[2:3] offset:40
	global_load_b64 v[9:10], v6, s[2:3] offset:24 scope:SCOPE_SYS
	global_load_b64 v[2:3], v6, s[2:3]
	s_wait_loadcnt 0x2
	v_readfirstlane_b32 s8, v0
	v_readfirstlane_b32 s9, v1
	s_add_nc_u64 s[0:1], s[8:9], 1
	s_wait_alu 0xfffe
	s_add_nc_u64 s[4:5], s[0:1], s[4:5]
	s_wait_alu 0xfffe
	s_cmp_eq_u64 s[4:5], 0
	s_cselect_b32 s1, s1, s5
	s_cselect_b32 s0, s0, s4
	s_wait_alu 0xfffe
	v_mov_b32_e32 v8, s1
	s_and_b64 s[4:5], s[0:1], s[8:9]
	v_mov_b32_e32 v7, s0
	s_wait_alu 0xfffe
	s_mul_u64 s[4:5], s[4:5], 24
	s_wait_loadcnt 0x0
	s_wait_alu 0xfffe
	v_add_co_u32 v4, vcc_lo, v2, s4
	s_wait_alu 0xfffd
	v_add_co_ci_u32_e64 v5, null, s5, v3, vcc_lo
	global_store_b64 v[4:5], v[9:10], off
	global_wb scope:SCOPE_SYS
	s_wait_storecnt 0x0
	global_atomic_cmpswap_b64 v[2:3], v6, v[7:10], s[2:3] offset:24 th:TH_ATOMIC_RETURN scope:SCOPE_SYS
	s_wait_loadcnt 0x0
	v_cmp_ne_u64_e32 vcc_lo, v[2:3], v[9:10]
	s_and_b32 exec_lo, exec_lo, vcc_lo
	s_cbranch_execz .LBB72_26
; %bb.24:
	s_mov_b32 s4, 0
.LBB72_25:                              ; =>This Inner Loop Header: Depth=1
	v_dual_mov_b32 v0, s0 :: v_dual_mov_b32 v1, s1
	s_sleep 1
	global_store_b64 v[4:5], v[2:3], off
	global_wb scope:SCOPE_SYS
	s_wait_storecnt 0x0
	global_atomic_cmpswap_b64 v[0:1], v6, v[0:3], s[2:3] offset:24 th:TH_ATOMIC_RETURN scope:SCOPE_SYS
	s_wait_loadcnt 0x0
	v_cmp_eq_u64_e32 vcc_lo, v[0:1], v[2:3]
	v_dual_mov_b32 v3, v1 :: v_dual_mov_b32 v2, v0
	s_wait_alu 0xfffe
	s_or_b32 s4, vcc_lo, s4
	s_wait_alu 0xfffe
	s_and_not1_b32 exec_lo, exec_lo, s4
	s_cbranch_execnz .LBB72_25
.LBB72_26:
	s_wait_alu 0xfffe
	s_or_b32 exec_lo, exec_lo, s6
	s_wait_loadcnt 0x0
	s_wait_kmcnt 0x0
	s_setpc_b64 s[30:31]
.Lfunc_end72:
	.size	__ockl_printf_append_args, .Lfunc_end72-__ockl_printf_append_args
                                        ; -- End function
	.set .L__ockl_printf_append_args.num_vgpr, 18
	.set .L__ockl_printf_append_args.num_agpr, 0
	.set .L__ockl_printf_append_args.numbered_sgpr, 32
	.set .L__ockl_printf_append_args.num_named_barrier, 0
	.set .L__ockl_printf_append_args.private_seg_size, 0
	.set .L__ockl_printf_append_args.uses_vcc, 1
	.set .L__ockl_printf_append_args.uses_flat_scratch, 0
	.set .L__ockl_printf_append_args.has_dyn_sized_stack, 0
	.set .L__ockl_printf_append_args.has_recursion, 0
	.set .L__ockl_printf_append_args.has_indirect_call, 0
	.section	.AMDGPU.csdata,"",@progbits
; Function info:
; codeLenInByte = 1696
; TotalNumSgprs: 34
; NumVgprs: 18
; ScratchSize: 0
; MemoryBound: 0
	.text
	.p2align	2                               ; -- Begin function _ZL14no_device_codePKciS0_iS0_
	.type	_ZL14no_device_codePKciS0_iS0_,@function
_ZL14no_device_codePKciS0_iS0_:         ; @_ZL14no_device_codePKciS0_iS0_
; %bb.0:
	s_wait_loadcnt_dscnt 0x0
	s_wait_expcnt 0x0
	s_wait_samplecnt 0x0
	s_wait_bvhcnt 0x0
	s_wait_kmcnt 0x0
	s_mov_b32 s20, s33
	s_mov_b32 s33, s32
	s_xor_saveexec_b32 s0, -1
	scratch_store_b32 off, v39, s33         ; 4-byte Folded Spill
	s_wait_alu 0xfffe
	s_mov_b32 exec_lo, s0
	v_writelane_b32 v39, s30, 0
	s_add_co_i32 s32, s32, 16
	v_writelane_b32 v39, s31, 1
	s_load_b64 s[2:3], s[8:9], 0x50
	v_mbcnt_lo_u32_b32 v31, -1, 0
	v_mov_b32_e32 v6, 0
	v_mov_b32_e32 v7, 0
	s_delay_alu instid0(VALU_DEP_3) | instskip(SKIP_1) | instid1(VALU_DEP_1)
	v_readfirstlane_b32 s0, v31
	s_wait_alu 0xf1ff
	v_cmp_eq_u32_e64 s0, s0, v31
	s_and_saveexec_b32 s1, s0
	s_cbranch_execz .LBB73_6
; %bb.1:
	v_mov_b32_e32 v0, 0
	s_mov_b32 s4, exec_lo
	s_wait_kmcnt 0x0
	global_load_b64 v[3:4], v0, s[2:3] offset:24 scope:SCOPE_SYS
	s_wait_loadcnt 0x0
	global_inv scope:SCOPE_SYS
	s_clause 0x1
	global_load_b64 v[1:2], v0, s[2:3] offset:40
	global_load_b64 v[5:6], v0, s[2:3]
	s_wait_loadcnt 0x1
	v_and_b32_e32 v2, v2, v4
	v_and_b32_e32 v1, v1, v3
	s_delay_alu instid0(VALU_DEP_2) | instskip(NEXT) | instid1(VALU_DEP_2)
	v_mul_lo_u32 v2, 24, v2
	v_mul_lo_u32 v7, 0, v1
	v_mul_hi_u32 v8, 24, v1
	v_mul_lo_u32 v1, 24, v1
	s_delay_alu instid0(VALU_DEP_3) | instskip(SKIP_1) | instid1(VALU_DEP_2)
	v_add_nc_u32_e32 v2, v2, v7
	s_wait_loadcnt 0x0
	v_add_co_u32 v1, vcc_lo, v5, v1
	s_delay_alu instid0(VALU_DEP_2) | instskip(SKIP_1) | instid1(VALU_DEP_1)
	v_add_nc_u32_e32 v2, v2, v8
	s_wait_alu 0xfffd
	v_add_co_ci_u32_e64 v2, null, v6, v2, vcc_lo
	global_load_b64 v[1:2], v[1:2], off scope:SCOPE_SYS
	s_wait_loadcnt 0x0
	global_atomic_cmpswap_b64 v[6:7], v0, v[1:4], s[2:3] offset:24 th:TH_ATOMIC_RETURN scope:SCOPE_SYS
	s_wait_loadcnt 0x0
	global_inv scope:SCOPE_SYS
	v_cmpx_ne_u64_e64 v[6:7], v[3:4]
	s_cbranch_execz .LBB73_5
; %bb.2:
	s_mov_b32 s5, 0
.LBB73_3:                               ; =>This Inner Loop Header: Depth=1
	s_sleep 1
	s_clause 0x1
	global_load_b64 v[1:2], v0, s[2:3] offset:40
	global_load_b64 v[8:9], v0, s[2:3]
	v_dual_mov_b32 v3, v6 :: v_dual_mov_b32 v4, v7
	s_wait_loadcnt 0x1
	s_delay_alu instid0(VALU_DEP_1) | instskip(NEXT) | instid1(VALU_DEP_2)
	v_and_b32_e32 v1, v1, v3
	v_and_b32_e32 v2, v2, v4
	s_wait_loadcnt 0x0
	s_delay_alu instid0(VALU_DEP_2) | instskip(NEXT) | instid1(VALU_DEP_1)
	v_mad_co_u64_u32 v[5:6], null, v1, 24, v[8:9]
	v_mov_b32_e32 v1, v6
	s_delay_alu instid0(VALU_DEP_1) | instskip(NEXT) | instid1(VALU_DEP_1)
	v_mad_co_u64_u32 v[1:2], null, v2, 24, v[1:2]
	v_mov_b32_e32 v6, v1
	global_load_b64 v[1:2], v[5:6], off scope:SCOPE_SYS
	s_wait_loadcnt 0x0
	global_atomic_cmpswap_b64 v[6:7], v0, v[1:4], s[2:3] offset:24 th:TH_ATOMIC_RETURN scope:SCOPE_SYS
	s_wait_loadcnt 0x0
	global_inv scope:SCOPE_SYS
	v_cmp_eq_u64_e32 vcc_lo, v[6:7], v[3:4]
	s_wait_alu 0xfffe
	s_or_b32 s5, vcc_lo, s5
	s_wait_alu 0xfffe
	s_and_not1_b32 exec_lo, exec_lo, s5
	s_cbranch_execnz .LBB73_3
; %bb.4:
	s_or_b32 exec_lo, exec_lo, s5
.LBB73_5:
	s_wait_alu 0xfffe
	s_or_b32 exec_lo, exec_lo, s4
.LBB73_6:
	s_wait_alu 0xfffe
	s_or_b32 exec_lo, exec_lo, s1
	v_readfirstlane_b32 s4, v6
	v_mov_b32_e32 v5, 0
	v_readfirstlane_b32 s5, v7
	s_mov_b32 s1, exec_lo
	s_wait_kmcnt 0x0
	s_clause 0x1
	global_load_b64 v[8:9], v5, s[2:3] offset:40
	global_load_b128 v[0:3], v5, s[2:3]
	s_wait_loadcnt 0x1
	s_wait_alu 0xf1ff
	v_and_b32_e32 v11, s5, v9
	v_and_b32_e32 v10, s4, v8
	s_delay_alu instid0(VALU_DEP_2) | instskip(NEXT) | instid1(VALU_DEP_2)
	v_mul_lo_u32 v4, 24, v11
	v_mul_lo_u32 v6, 0, v10
	v_mul_hi_u32 v7, 24, v10
	v_mul_lo_u32 v8, 24, v10
	s_delay_alu instid0(VALU_DEP_3) | instskip(SKIP_1) | instid1(VALU_DEP_2)
	v_add_nc_u32_e32 v4, v4, v6
	s_wait_loadcnt 0x0
	v_add_co_u32 v8, vcc_lo, v0, v8
	s_delay_alu instid0(VALU_DEP_2) | instskip(SKIP_1) | instid1(VALU_DEP_1)
	v_add_nc_u32_e32 v4, v4, v7
	s_wait_alu 0xfffd
	v_add_co_ci_u32_e64 v9, null, v1, v4, vcc_lo
	s_and_saveexec_b32 s6, s0
	s_cbranch_execz .LBB73_8
; %bb.7:
	s_wait_alu 0xfffe
	v_dual_mov_b32 v4, s1 :: v_dual_mov_b32 v7, 1
	v_mov_b32_e32 v6, 2
	global_store_b128 v[8:9], v[4:7], off offset:8
.LBB73_8:
	s_wait_alu 0xfffe
	s_or_b32 exec_lo, exec_lo, s6
	v_lshlrev_b64_e32 v[10:11], 12, v[10:11]
	v_dual_mov_b32 v7, v5 :: v_dual_lshlrev_b32 v30, 6, v31
	s_mov_b32 s12, 0
	s_wait_alu 0xfffe
	s_mov_b32 s13, s12
	s_delay_alu instid0(VALU_DEP_2)
	v_add_co_u32 v2, vcc_lo, v2, v10
	s_wait_alu 0xfffd
	v_add_co_ci_u32_e64 v3, null, v3, v11, vcc_lo
	s_mov_b32 s14, s12
	v_add_co_u32 v10, vcc_lo, v2, v30
	s_mov_b32 s15, s12
	v_mov_b32_e32 v4, 33
	v_mov_b32_e32 v6, v5
	v_readfirstlane_b32 s6, v2
	v_readfirstlane_b32 s7, v3
	v_mov_b32_e32 v12, s12
	s_wait_alu 0xfffd
	v_add_co_ci_u32_e64 v11, null, 0, v3, vcc_lo
	s_wait_alu 0xfffe
	v_dual_mov_b32 v13, s13 :: v_dual_mov_b32 v14, s14
	v_mov_b32_e32 v15, s15
	s_clause 0x3
	global_store_b128 v30, v[4:7], s[6:7]
	global_store_b128 v30, v[12:15], s[6:7] offset:16
	global_store_b128 v30, v[12:15], s[6:7] offset:32
	;; [unrolled: 1-line block ×3, first 2 shown]
	s_and_saveexec_b32 s1, s0
	s_cbranch_execz .LBB73_16
; %bb.9:
	v_mov_b32_e32 v6, 0
	s_mov_b32 s6, exec_lo
	s_clause 0x1
	global_load_b64 v[14:15], v6, s[2:3] offset:32 scope:SCOPE_SYS
	global_load_b64 v[2:3], v6, s[2:3] offset:40
	v_dual_mov_b32 v13, s5 :: v_dual_mov_b32 v12, s4
	s_wait_loadcnt 0x0
	v_and_b32_e32 v3, s5, v3
	v_and_b32_e32 v2, s4, v2
	s_delay_alu instid0(VALU_DEP_2) | instskip(NEXT) | instid1(VALU_DEP_2)
	v_mul_lo_u32 v3, 24, v3
	v_mul_lo_u32 v4, 0, v2
	v_mul_hi_u32 v5, 24, v2
	v_mul_lo_u32 v2, 24, v2
	s_delay_alu instid0(VALU_DEP_3) | instskip(NEXT) | instid1(VALU_DEP_2)
	v_add_nc_u32_e32 v3, v3, v4
	v_add_co_u32 v4, vcc_lo, v0, v2
	s_delay_alu instid0(VALU_DEP_2) | instskip(SKIP_1) | instid1(VALU_DEP_1)
	v_add_nc_u32_e32 v3, v3, v5
	s_wait_alu 0xfffd
	v_add_co_ci_u32_e64 v5, null, v1, v3, vcc_lo
	global_store_b64 v[4:5], v[14:15], off
	global_wb scope:SCOPE_SYS
	s_wait_storecnt 0x0
	global_atomic_cmpswap_b64 v[2:3], v6, v[12:15], s[2:3] offset:32 th:TH_ATOMIC_RETURN scope:SCOPE_SYS
	s_wait_loadcnt 0x0
	v_cmpx_ne_u64_e64 v[2:3], v[14:15]
	s_cbranch_execz .LBB73_12
; %bb.10:
	s_mov_b32 s7, 0
.LBB73_11:                              ; =>This Inner Loop Header: Depth=1
	v_dual_mov_b32 v0, s4 :: v_dual_mov_b32 v1, s5
	s_sleep 1
	global_store_b64 v[4:5], v[2:3], off
	global_wb scope:SCOPE_SYS
	s_wait_storecnt 0x0
	global_atomic_cmpswap_b64 v[0:1], v6, v[0:3], s[2:3] offset:32 th:TH_ATOMIC_RETURN scope:SCOPE_SYS
	s_wait_loadcnt 0x0
	v_cmp_eq_u64_e32 vcc_lo, v[0:1], v[2:3]
	v_dual_mov_b32 v3, v1 :: v_dual_mov_b32 v2, v0
	s_wait_alu 0xfffe
	s_or_b32 s7, vcc_lo, s7
	s_wait_alu 0xfffe
	s_and_not1_b32 exec_lo, exec_lo, s7
	s_cbranch_execnz .LBB73_11
.LBB73_12:
	s_wait_alu 0xfffe
	s_or_b32 exec_lo, exec_lo, s6
	v_mov_b32_e32 v3, 0
	s_mov_b32 s7, exec_lo
	s_mov_b32 s6, exec_lo
	s_wait_alu 0xfffe
	v_mbcnt_lo_u32_b32 v2, s7, 0
	global_load_b64 v[0:1], v3, s[2:3] offset:16
	v_cmpx_eq_u32_e32 0, v2
	s_cbranch_execz .LBB73_14
; %bb.13:
	s_bcnt1_i32_b32 s7, s7
	s_wait_alu 0xfffe
	v_mov_b32_e32 v2, s7
	global_wb scope:SCOPE_SYS
	s_wait_loadcnt 0x0
	s_wait_storecnt 0x0
	global_atomic_add_u64 v[0:1], v[2:3], off offset:8 scope:SCOPE_SYS
.LBB73_14:
	s_or_b32 exec_lo, exec_lo, s6
	s_wait_loadcnt 0x0
	global_load_b64 v[2:3], v[0:1], off offset:16
	s_wait_loadcnt 0x0
	v_cmp_eq_u64_e32 vcc_lo, 0, v[2:3]
	s_cbranch_vccnz .LBB73_16
; %bb.15:
	global_load_b32 v0, v[0:1], off offset:24
	v_mov_b32_e32 v1, 0
	s_wait_loadcnt 0x0
	v_readfirstlane_b32 s6, v0
	global_wb scope:SCOPE_SYS
	s_wait_storecnt 0x0
	global_store_b64 v[2:3], v[0:1], off scope:SCOPE_SYS
	s_and_b32 m0, s6, 0xffffff
	s_sendmsg sendmsg(MSG_INTERRUPT)
.LBB73_16:
	s_wait_alu 0xfffe
	s_or_b32 exec_lo, exec_lo, s1
	s_branch .LBB73_20
.LBB73_17:                              ;   in Loop: Header=BB73_20 Depth=1
	s_wait_alu 0xfffe
	s_or_b32 exec_lo, exec_lo, s1
	s_delay_alu instid0(VALU_DEP_1)
	v_readfirstlane_b32 s1, v0
	s_cmp_eq_u32 s1, 0
	s_cbranch_scc1 .LBB73_19
; %bb.18:                               ;   in Loop: Header=BB73_20 Depth=1
	s_sleep 1
	s_cbranch_execnz .LBB73_20
	s_branch .LBB73_22
.LBB73_19:
	s_branch .LBB73_22
.LBB73_20:                              ; =>This Inner Loop Header: Depth=1
	v_mov_b32_e32 v0, 1
	s_and_saveexec_b32 s1, s0
	s_cbranch_execz .LBB73_17
; %bb.21:                               ;   in Loop: Header=BB73_20 Depth=1
	global_load_b32 v0, v[8:9], off offset:20 scope:SCOPE_SYS
	s_wait_loadcnt 0x0
	global_inv scope:SCOPE_SYS
	v_and_b32_e32 v0, 1, v0
	s_branch .LBB73_17
.LBB73_22:
	global_load_b64 v[4:5], v[10:11], off
	s_and_saveexec_b32 s6, s0
	s_cbranch_execz .LBB73_26
; %bb.23:
	v_mov_b32_e32 v8, 0
	s_clause 0x2
	global_load_b64 v[0:1], v8, s[2:3] offset:40
	global_load_b64 v[11:12], v8, s[2:3] offset:24 scope:SCOPE_SYS
	global_load_b64 v[2:3], v8, s[2:3]
	s_wait_loadcnt 0x2
	v_readfirstlane_b32 s10, v0
	v_readfirstlane_b32 s11, v1
	s_add_nc_u64 s[0:1], s[10:11], 1
	s_wait_alu 0xfffe
	s_add_nc_u64 s[4:5], s[0:1], s[4:5]
	s_wait_alu 0xfffe
	s_cmp_eq_u64 s[4:5], 0
	s_cselect_b32 s1, s1, s5
	s_cselect_b32 s0, s0, s4
	s_wait_alu 0xfffe
	v_mov_b32_e32 v10, s1
	s_and_b64 s[4:5], s[0:1], s[10:11]
	v_mov_b32_e32 v9, s0
	s_wait_alu 0xfffe
	s_mul_u64 s[4:5], s[4:5], 24
	s_wait_loadcnt 0x0
	s_wait_alu 0xfffe
	v_add_co_u32 v6, vcc_lo, v2, s4
	s_wait_alu 0xfffd
	v_add_co_ci_u32_e64 v7, null, s5, v3, vcc_lo
	global_store_b64 v[6:7], v[11:12], off
	global_wb scope:SCOPE_SYS
	s_wait_storecnt 0x0
	global_atomic_cmpswap_b64 v[2:3], v8, v[9:12], s[2:3] offset:24 th:TH_ATOMIC_RETURN scope:SCOPE_SYS
	s_wait_loadcnt 0x0
	v_cmp_ne_u64_e32 vcc_lo, v[2:3], v[11:12]
	s_and_b32 exec_lo, exec_lo, vcc_lo
	s_cbranch_execz .LBB73_26
; %bb.24:
	s_mov_b32 s4, 0
.LBB73_25:                              ; =>This Inner Loop Header: Depth=1
	v_dual_mov_b32 v0, s0 :: v_dual_mov_b32 v1, s1
	s_sleep 1
	global_store_b64 v[6:7], v[2:3], off
	global_wb scope:SCOPE_SYS
	s_wait_storecnt 0x0
	global_atomic_cmpswap_b64 v[0:1], v8, v[0:3], s[2:3] offset:24 th:TH_ATOMIC_RETURN scope:SCOPE_SYS
	s_wait_loadcnt 0x0
	v_cmp_eq_u64_e32 vcc_lo, v[0:1], v[2:3]
	v_dual_mov_b32 v3, v1 :: v_dual_mov_b32 v2, v0
	s_wait_alu 0xfffe
	s_or_b32 s4, vcc_lo, s4
	s_wait_alu 0xfffe
	s_and_not1_b32 exec_lo, exec_lo, s4
	s_cbranch_execnz .LBB73_25
.LBB73_26:
	s_wait_alu 0xfffe
	s_or_b32 exec_lo, exec_lo, s6
	s_getpc_b64 s[4:5]
	s_wait_alu 0xfffe
	s_sext_i32_i16 s5, s5
	s_add_co_u32 s4, s4, .str.5@rel32@lo+12
	s_wait_alu 0xfffe
	s_add_co_ci_u32 s5, s5, .str.5@rel32@hi+24
	s_wait_alu 0xfffe
	s_cmp_lg_u64 s[4:5], 0
	s_cbranch_scc0 .LBB73_104
; %bb.27:
	s_wait_loadcnt 0x0
	v_dual_mov_b32 v7, 0 :: v_dual_and_b32 v32, 2, v4
	v_dual_mov_b32 v1, v5 :: v_dual_and_b32 v0, -3, v4
	v_dual_mov_b32 v8, 2 :: v_dual_mov_b32 v9, 1
	s_mov_b64 s[6:7], 0x4d
	s_branch .LBB73_29
.LBB73_28:                              ;   in Loop: Header=BB73_29 Depth=1
	s_wait_alu 0xfffe
	s_or_b32 exec_lo, exec_lo, s14
	s_sub_nc_u64 s[6:7], s[6:7], s[10:11]
	s_add_nc_u64 s[4:5], s[4:5], s[10:11]
	s_wait_alu 0xfffe
	s_cmp_lg_u64 s[6:7], 0
	s_cbranch_scc0 .LBB73_105
.LBB73_29:                              ; =>This Loop Header: Depth=1
                                        ;     Child Loop BB73_32 Depth 2
                                        ;     Child Loop BB73_39 Depth 2
                                        ;     Child Loop BB73_46 Depth 2
                                        ;     Child Loop BB73_53 Depth 2
                                        ;     Child Loop BB73_60 Depth 2
                                        ;     Child Loop BB73_67 Depth 2
                                        ;     Child Loop BB73_74 Depth 2
                                        ;     Child Loop BB73_81 Depth 2
                                        ;     Child Loop BB73_89 Depth 2
                                        ;     Child Loop BB73_98 Depth 2
                                        ;     Child Loop BB73_103 Depth 2
	s_wait_alu 0xfffe
	v_cmp_lt_u64_e64 s0, s[6:7], 56
	v_cmp_gt_u64_e64 s1, s[6:7], 7
	s_and_b32 s0, s0, exec_lo
	s_cselect_b32 s11, s7, 0
	s_cselect_b32 s10, s6, 56
	s_and_b32 vcc_lo, exec_lo, s1
	s_wait_alu 0xfffe
	s_cbranch_vccnz .LBB73_34
; %bb.30:                               ;   in Loop: Header=BB73_29 Depth=1
	v_mov_b32_e32 v2, 0
	v_mov_b32_e32 v3, 0
	s_cmp_eq_u64 s[6:7], 0
	s_cbranch_scc1 .LBB73_33
; %bb.31:                               ;   in Loop: Header=BB73_29 Depth=1
	s_mov_b64 s[0:1], 0
	s_mov_b64 s[12:13], 0
.LBB73_32:                              ;   Parent Loop BB73_29 Depth=1
                                        ; =>  This Inner Loop Header: Depth=2
	s_wait_alu 0xfffe
	s_add_nc_u64 s[14:15], s[4:5], s[12:13]
	s_add_nc_u64 s[12:13], s[12:13], 1
	global_load_u8 v6, v7, s[14:15]
	s_wait_alu 0xfffe
	s_cmp_lg_u32 s10, s12
	s_wait_loadcnt 0x0
	v_and_b32_e32 v6, 0xffff, v6
	s_delay_alu instid0(VALU_DEP_1) | instskip(SKIP_1) | instid1(VALU_DEP_1)
	v_lshlrev_b64_e32 v[10:11], s0, v[6:7]
	s_add_nc_u64 s[0:1], s[0:1], 8
	v_or_b32_e32 v2, v10, v2
	s_delay_alu instid0(VALU_DEP_2)
	v_or_b32_e32 v3, v11, v3
	s_cbranch_scc1 .LBB73_32
.LBB73_33:                              ;   in Loop: Header=BB73_29 Depth=1
	s_mov_b64 s[12:13], s[4:5]
	s_mov_b32 s16, 0
	s_cbranch_execz .LBB73_35
	s_branch .LBB73_36
.LBB73_34:                              ;   in Loop: Header=BB73_29 Depth=1
	s_add_nc_u64 s[12:13], s[4:5], 8
	s_mov_b32 s16, 0
.LBB73_35:                              ;   in Loop: Header=BB73_29 Depth=1
	global_load_b64 v[2:3], v7, s[4:5]
	s_add_co_i32 s16, s10, -8
.LBB73_36:                              ;   in Loop: Header=BB73_29 Depth=1
	s_wait_alu 0xfffe
	s_cmp_gt_u32 s16, 7
	s_cbranch_scc1 .LBB73_41
; %bb.37:                               ;   in Loop: Header=BB73_29 Depth=1
	v_mov_b32_e32 v10, 0
	v_mov_b32_e32 v11, 0
	s_cmp_eq_u32 s16, 0
	s_cbranch_scc1 .LBB73_40
; %bb.38:                               ;   in Loop: Header=BB73_29 Depth=1
	s_mov_b64 s[0:1], 0
	s_mov_b64 s[14:15], 0
.LBB73_39:                              ;   Parent Loop BB73_29 Depth=1
                                        ; =>  This Inner Loop Header: Depth=2
	s_wait_alu 0xfffe
	s_add_nc_u64 s[18:19], s[12:13], s[14:15]
	s_add_nc_u64 s[14:15], s[14:15], 1
	global_load_u8 v6, v7, s[18:19]
	s_wait_alu 0xfffe
	s_cmp_lg_u32 s16, s14
	s_wait_loadcnt 0x0
	v_and_b32_e32 v6, 0xffff, v6
	s_delay_alu instid0(VALU_DEP_1) | instskip(SKIP_1) | instid1(VALU_DEP_1)
	v_lshlrev_b64_e32 v[12:13], s0, v[6:7]
	s_add_nc_u64 s[0:1], s[0:1], 8
	v_or_b32_e32 v10, v12, v10
	s_delay_alu instid0(VALU_DEP_2)
	v_or_b32_e32 v11, v13, v11
	s_cbranch_scc1 .LBB73_39
.LBB73_40:                              ;   in Loop: Header=BB73_29 Depth=1
	s_mov_b64 s[0:1], s[12:13]
	s_mov_b32 s17, 0
	s_cbranch_execz .LBB73_42
	s_branch .LBB73_43
.LBB73_41:                              ;   in Loop: Header=BB73_29 Depth=1
	s_add_nc_u64 s[0:1], s[12:13], 8
                                        ; implicit-def: $vgpr10_vgpr11
	s_mov_b32 s17, 0
.LBB73_42:                              ;   in Loop: Header=BB73_29 Depth=1
	global_load_b64 v[10:11], v7, s[12:13]
	s_add_co_i32 s17, s16, -8
.LBB73_43:                              ;   in Loop: Header=BB73_29 Depth=1
	s_wait_alu 0xfffe
	s_cmp_gt_u32 s17, 7
	s_cbranch_scc1 .LBB73_48
; %bb.44:                               ;   in Loop: Header=BB73_29 Depth=1
	v_mov_b32_e32 v12, 0
	v_mov_b32_e32 v13, 0
	s_cmp_eq_u32 s17, 0
	s_cbranch_scc1 .LBB73_47
; %bb.45:                               ;   in Loop: Header=BB73_29 Depth=1
	s_mov_b64 s[12:13], 0
	s_mov_b64 s[14:15], 0
.LBB73_46:                              ;   Parent Loop BB73_29 Depth=1
                                        ; =>  This Inner Loop Header: Depth=2
	s_wait_alu 0xfffe
	s_add_nc_u64 s[18:19], s[0:1], s[14:15]
	s_add_nc_u64 s[14:15], s[14:15], 1
	global_load_u8 v6, v7, s[18:19]
	s_wait_alu 0xfffe
	s_cmp_lg_u32 s17, s14
	s_wait_loadcnt 0x0
	v_and_b32_e32 v6, 0xffff, v6
	s_delay_alu instid0(VALU_DEP_1) | instskip(SKIP_1) | instid1(VALU_DEP_1)
	v_lshlrev_b64_e32 v[14:15], s12, v[6:7]
	s_add_nc_u64 s[12:13], s[12:13], 8
	v_or_b32_e32 v12, v14, v12
	s_delay_alu instid0(VALU_DEP_2)
	v_or_b32_e32 v13, v15, v13
	s_cbranch_scc1 .LBB73_46
.LBB73_47:                              ;   in Loop: Header=BB73_29 Depth=1
	s_mov_b64 s[12:13], s[0:1]
	s_mov_b32 s16, 0
	s_cbranch_execz .LBB73_49
	s_branch .LBB73_50
.LBB73_48:                              ;   in Loop: Header=BB73_29 Depth=1
	s_add_nc_u64 s[12:13], s[0:1], 8
	s_mov_b32 s16, 0
.LBB73_49:                              ;   in Loop: Header=BB73_29 Depth=1
	global_load_b64 v[12:13], v7, s[0:1]
	s_add_co_i32 s16, s17, -8
.LBB73_50:                              ;   in Loop: Header=BB73_29 Depth=1
	s_wait_alu 0xfffe
	s_cmp_gt_u32 s16, 7
	s_cbranch_scc1 .LBB73_55
; %bb.51:                               ;   in Loop: Header=BB73_29 Depth=1
	v_mov_b32_e32 v14, 0
	v_mov_b32_e32 v15, 0
	s_cmp_eq_u32 s16, 0
	s_cbranch_scc1 .LBB73_54
; %bb.52:                               ;   in Loop: Header=BB73_29 Depth=1
	s_mov_b64 s[0:1], 0
	s_mov_b64 s[14:15], 0
.LBB73_53:                              ;   Parent Loop BB73_29 Depth=1
                                        ; =>  This Inner Loop Header: Depth=2
	s_wait_alu 0xfffe
	s_add_nc_u64 s[18:19], s[12:13], s[14:15]
	s_add_nc_u64 s[14:15], s[14:15], 1
	global_load_u8 v6, v7, s[18:19]
	s_wait_alu 0xfffe
	s_cmp_lg_u32 s16, s14
	s_wait_loadcnt 0x0
	v_and_b32_e32 v6, 0xffff, v6
	s_delay_alu instid0(VALU_DEP_1) | instskip(SKIP_1) | instid1(VALU_DEP_1)
	v_lshlrev_b64_e32 v[16:17], s0, v[6:7]
	s_add_nc_u64 s[0:1], s[0:1], 8
	v_or_b32_e32 v14, v16, v14
	s_delay_alu instid0(VALU_DEP_2)
	v_or_b32_e32 v15, v17, v15
	s_cbranch_scc1 .LBB73_53
.LBB73_54:                              ;   in Loop: Header=BB73_29 Depth=1
	s_mov_b64 s[0:1], s[12:13]
	s_mov_b32 s17, 0
	s_cbranch_execz .LBB73_56
	s_branch .LBB73_57
.LBB73_55:                              ;   in Loop: Header=BB73_29 Depth=1
	s_add_nc_u64 s[0:1], s[12:13], 8
                                        ; implicit-def: $vgpr14_vgpr15
	s_mov_b32 s17, 0
.LBB73_56:                              ;   in Loop: Header=BB73_29 Depth=1
	global_load_b64 v[14:15], v7, s[12:13]
	s_add_co_i32 s17, s16, -8
.LBB73_57:                              ;   in Loop: Header=BB73_29 Depth=1
	s_wait_alu 0xfffe
	s_cmp_gt_u32 s17, 7
	s_cbranch_scc1 .LBB73_62
; %bb.58:                               ;   in Loop: Header=BB73_29 Depth=1
	v_mov_b32_e32 v16, 0
	v_mov_b32_e32 v17, 0
	s_cmp_eq_u32 s17, 0
	s_cbranch_scc1 .LBB73_61
; %bb.59:                               ;   in Loop: Header=BB73_29 Depth=1
	s_mov_b64 s[12:13], 0
	s_mov_b64 s[14:15], 0
.LBB73_60:                              ;   Parent Loop BB73_29 Depth=1
                                        ; =>  This Inner Loop Header: Depth=2
	s_wait_alu 0xfffe
	s_add_nc_u64 s[18:19], s[0:1], s[14:15]
	s_add_nc_u64 s[14:15], s[14:15], 1
	global_load_u8 v6, v7, s[18:19]
	s_wait_alu 0xfffe
	s_cmp_lg_u32 s17, s14
	s_wait_loadcnt 0x0
	v_and_b32_e32 v6, 0xffff, v6
	s_delay_alu instid0(VALU_DEP_1) | instskip(SKIP_1) | instid1(VALU_DEP_1)
	v_lshlrev_b64_e32 v[18:19], s12, v[6:7]
	s_add_nc_u64 s[12:13], s[12:13], 8
	v_or_b32_e32 v16, v18, v16
	s_delay_alu instid0(VALU_DEP_2)
	v_or_b32_e32 v17, v19, v17
	s_cbranch_scc1 .LBB73_60
.LBB73_61:                              ;   in Loop: Header=BB73_29 Depth=1
	s_mov_b64 s[12:13], s[0:1]
	s_mov_b32 s16, 0
	s_cbranch_execz .LBB73_63
	s_branch .LBB73_64
.LBB73_62:                              ;   in Loop: Header=BB73_29 Depth=1
	s_add_nc_u64 s[12:13], s[0:1], 8
	s_mov_b32 s16, 0
.LBB73_63:                              ;   in Loop: Header=BB73_29 Depth=1
	global_load_b64 v[16:17], v7, s[0:1]
	s_add_co_i32 s16, s17, -8
.LBB73_64:                              ;   in Loop: Header=BB73_29 Depth=1
	s_wait_alu 0xfffe
	s_cmp_gt_u32 s16, 7
	s_cbranch_scc1 .LBB73_69
; %bb.65:                               ;   in Loop: Header=BB73_29 Depth=1
	v_mov_b32_e32 v18, 0
	v_mov_b32_e32 v19, 0
	s_cmp_eq_u32 s16, 0
	s_cbranch_scc1 .LBB73_68
; %bb.66:                               ;   in Loop: Header=BB73_29 Depth=1
	s_mov_b64 s[0:1], 0
	s_mov_b64 s[14:15], 0
.LBB73_67:                              ;   Parent Loop BB73_29 Depth=1
                                        ; =>  This Inner Loop Header: Depth=2
	s_wait_alu 0xfffe
	s_add_nc_u64 s[18:19], s[12:13], s[14:15]
	s_add_nc_u64 s[14:15], s[14:15], 1
	global_load_u8 v6, v7, s[18:19]
	s_wait_alu 0xfffe
	s_cmp_lg_u32 s16, s14
	s_wait_loadcnt 0x0
	v_and_b32_e32 v6, 0xffff, v6
	s_delay_alu instid0(VALU_DEP_1) | instskip(SKIP_1) | instid1(VALU_DEP_1)
	v_lshlrev_b64_e32 v[20:21], s0, v[6:7]
	s_add_nc_u64 s[0:1], s[0:1], 8
	v_or_b32_e32 v18, v20, v18
	s_delay_alu instid0(VALU_DEP_2)
	v_or_b32_e32 v19, v21, v19
	s_cbranch_scc1 .LBB73_67
.LBB73_68:                              ;   in Loop: Header=BB73_29 Depth=1
	s_mov_b64 s[0:1], s[12:13]
	s_mov_b32 s17, 0
	s_cbranch_execz .LBB73_70
	s_branch .LBB73_71
.LBB73_69:                              ;   in Loop: Header=BB73_29 Depth=1
	s_add_nc_u64 s[0:1], s[12:13], 8
                                        ; implicit-def: $vgpr18_vgpr19
	s_mov_b32 s17, 0
.LBB73_70:                              ;   in Loop: Header=BB73_29 Depth=1
	global_load_b64 v[18:19], v7, s[12:13]
	s_add_co_i32 s17, s16, -8
.LBB73_71:                              ;   in Loop: Header=BB73_29 Depth=1
	s_wait_alu 0xfffe
	s_cmp_gt_u32 s17, 7
	s_cbranch_scc1 .LBB73_76
; %bb.72:                               ;   in Loop: Header=BB73_29 Depth=1
	v_mov_b32_e32 v20, 0
	v_mov_b32_e32 v21, 0
	s_cmp_eq_u32 s17, 0
	s_cbranch_scc1 .LBB73_75
; %bb.73:                               ;   in Loop: Header=BB73_29 Depth=1
	s_mov_b64 s[12:13], 0
	s_mov_b64 s[14:15], s[0:1]
.LBB73_74:                              ;   Parent Loop BB73_29 Depth=1
                                        ; =>  This Inner Loop Header: Depth=2
	global_load_u8 v6, v7, s[14:15]
	s_add_co_i32 s17, s17, -1
	s_wait_alu 0xfffe
	s_add_nc_u64 s[14:15], s[14:15], 1
	s_cmp_lg_u32 s17, 0
	s_wait_loadcnt 0x0
	v_and_b32_e32 v6, 0xffff, v6
	s_delay_alu instid0(VALU_DEP_1) | instskip(SKIP_1) | instid1(VALU_DEP_1)
	v_lshlrev_b64_e32 v[22:23], s12, v[6:7]
	s_add_nc_u64 s[12:13], s[12:13], 8
	v_or_b32_e32 v20, v22, v20
	s_delay_alu instid0(VALU_DEP_2)
	v_or_b32_e32 v21, v23, v21
	s_cbranch_scc1 .LBB73_74
.LBB73_75:                              ;   in Loop: Header=BB73_29 Depth=1
	s_cbranch_execz .LBB73_77
	s_branch .LBB73_78
.LBB73_76:                              ;   in Loop: Header=BB73_29 Depth=1
.LBB73_77:                              ;   in Loop: Header=BB73_29 Depth=1
	global_load_b64 v[20:21], v7, s[0:1]
.LBB73_78:                              ;   in Loop: Header=BB73_29 Depth=1
	v_readfirstlane_b32 s0, v31
	v_mov_b32_e32 v26, 0
	v_mov_b32_e32 v27, 0
	s_wait_alu 0xf1ff
	s_delay_alu instid0(VALU_DEP_3)
	v_cmp_eq_u32_e64 s0, s0, v31
	s_and_saveexec_b32 s1, s0
	s_cbranch_execz .LBB73_84
; %bb.79:                               ;   in Loop: Header=BB73_29 Depth=1
	global_load_b64 v[24:25], v7, s[2:3] offset:24 scope:SCOPE_SYS
	s_wait_loadcnt 0x0
	global_inv scope:SCOPE_SYS
	s_clause 0x1
	global_load_b64 v[22:23], v7, s[2:3] offset:40
	global_load_b64 v[26:27], v7, s[2:3]
	s_mov_b32 s12, exec_lo
	s_wait_loadcnt 0x1
	v_and_b32_e32 v6, v23, v25
	v_and_b32_e32 v22, v22, v24
	s_delay_alu instid0(VALU_DEP_2) | instskip(NEXT) | instid1(VALU_DEP_2)
	v_mul_lo_u32 v6, 24, v6
	v_mul_lo_u32 v23, 0, v22
	v_mul_hi_u32 v28, 24, v22
	v_mul_lo_u32 v22, 24, v22
	s_delay_alu instid0(VALU_DEP_3) | instskip(SKIP_1) | instid1(VALU_DEP_2)
	v_add_nc_u32_e32 v6, v6, v23
	s_wait_loadcnt 0x0
	v_add_co_u32 v22, vcc_lo, v26, v22
	s_delay_alu instid0(VALU_DEP_2) | instskip(SKIP_1) | instid1(VALU_DEP_1)
	v_add_nc_u32_e32 v6, v6, v28
	s_wait_alu 0xfffd
	v_add_co_ci_u32_e64 v23, null, v27, v6, vcc_lo
	global_load_b64 v[22:23], v[22:23], off scope:SCOPE_SYS
	s_wait_loadcnt 0x0
	global_atomic_cmpswap_b64 v[26:27], v7, v[22:25], s[2:3] offset:24 th:TH_ATOMIC_RETURN scope:SCOPE_SYS
	s_wait_loadcnt 0x0
	global_inv scope:SCOPE_SYS
	v_cmpx_ne_u64_e64 v[26:27], v[24:25]
	s_cbranch_execz .LBB73_83
; %bb.80:                               ;   in Loop: Header=BB73_29 Depth=1
	s_mov_b32 s13, 0
.LBB73_81:                              ;   Parent Loop BB73_29 Depth=1
                                        ; =>  This Inner Loop Header: Depth=2
	s_sleep 1
	s_clause 0x1
	global_load_b64 v[22:23], v7, s[2:3] offset:40
	global_load_b64 v[28:29], v7, s[2:3]
	v_dual_mov_b32 v24, v26 :: v_dual_mov_b32 v25, v27
	s_wait_loadcnt 0x1
	s_delay_alu instid0(VALU_DEP_1) | instskip(NEXT) | instid1(VALU_DEP_2)
	v_and_b32_e32 v6, v22, v24
	v_and_b32_e32 v22, v23, v25
	s_wait_loadcnt 0x0
	s_delay_alu instid0(VALU_DEP_2) | instskip(NEXT) | instid1(VALU_DEP_1)
	v_mad_co_u64_u32 v[26:27], null, v6, 24, v[28:29]
	v_mov_b32_e32 v6, v27
	s_delay_alu instid0(VALU_DEP_1) | instskip(NEXT) | instid1(VALU_DEP_1)
	v_mad_co_u64_u32 v[22:23], null, v22, 24, v[6:7]
	v_mov_b32_e32 v27, v22
	global_load_b64 v[22:23], v[26:27], off scope:SCOPE_SYS
	s_wait_loadcnt 0x0
	global_atomic_cmpswap_b64 v[26:27], v7, v[22:25], s[2:3] offset:24 th:TH_ATOMIC_RETURN scope:SCOPE_SYS
	s_wait_loadcnt 0x0
	global_inv scope:SCOPE_SYS
	v_cmp_eq_u64_e32 vcc_lo, v[26:27], v[24:25]
	s_wait_alu 0xfffe
	s_or_b32 s13, vcc_lo, s13
	s_wait_alu 0xfffe
	s_and_not1_b32 exec_lo, exec_lo, s13
	s_cbranch_execnz .LBB73_81
; %bb.82:                               ;   in Loop: Header=BB73_29 Depth=1
	s_or_b32 exec_lo, exec_lo, s13
.LBB73_83:                              ;   in Loop: Header=BB73_29 Depth=1
	s_wait_alu 0xfffe
	s_or_b32 exec_lo, exec_lo, s12
.LBB73_84:                              ;   in Loop: Header=BB73_29 Depth=1
	s_wait_alu 0xfffe
	s_or_b32 exec_lo, exec_lo, s1
	s_clause 0x1
	global_load_b64 v[28:29], v7, s[2:3] offset:40
	global_load_b128 v[22:25], v7, s[2:3]
	v_readfirstlane_b32 s13, v27
	v_readfirstlane_b32 s12, v26
	s_mov_b32 s1, exec_lo
	s_wait_loadcnt 0x1
	s_wait_alu 0xf1ff
	v_and_b32_e32 v29, s13, v29
	v_and_b32_e32 v28, s12, v28
	s_delay_alu instid0(VALU_DEP_2) | instskip(NEXT) | instid1(VALU_DEP_2)
	v_mul_lo_u32 v6, 24, v29
	v_mul_lo_u32 v26, 0, v28
	v_mul_hi_u32 v27, 24, v28
	v_mul_lo_u32 v33, 24, v28
	s_delay_alu instid0(VALU_DEP_3) | instskip(SKIP_1) | instid1(VALU_DEP_2)
	v_add_nc_u32_e32 v6, v6, v26
	s_wait_loadcnt 0x0
	v_add_co_u32 v26, vcc_lo, v22, v33
	s_delay_alu instid0(VALU_DEP_2) | instskip(SKIP_1) | instid1(VALU_DEP_1)
	v_add_nc_u32_e32 v6, v6, v27
	s_wait_alu 0xfffd
	v_add_co_ci_u32_e64 v27, null, v23, v6, vcc_lo
	s_and_saveexec_b32 s14, s0
	s_cbranch_execz .LBB73_86
; %bb.85:                               ;   in Loop: Header=BB73_29 Depth=1
	s_wait_alu 0xfffe
	v_mov_b32_e32 v6, s1
	global_store_b128 v[26:27], v[6:9], off offset:8
.LBB73_86:                              ;   in Loop: Header=BB73_29 Depth=1
	s_wait_alu 0xfffe
	s_or_b32 exec_lo, exec_lo, s14
	v_cmp_lt_u64_e64 vcc_lo, s[6:7], 57
	v_lshlrev_b64_e32 v[28:29], 12, v[28:29]
	v_and_b32_e32 v0, 0xffffff1f, v0
	s_lshl_b32 s1, s10, 2
	s_wait_alu 0xfffe
	s_add_co_i32 s1, s1, 28
	s_wait_alu 0xfffd
	v_cndmask_b32_e32 v6, 0, v32, vcc_lo
	v_add_co_u32 v24, vcc_lo, v24, v28
	s_wait_alu 0xfffd
	v_add_co_ci_u32_e64 v25, null, v25, v29, vcc_lo
	s_delay_alu instid0(VALU_DEP_3) | instskip(NEXT) | instid1(VALU_DEP_3)
	v_or_b32_e32 v0, v0, v6
	v_readfirstlane_b32 s14, v24
	s_delay_alu instid0(VALU_DEP_3) | instskip(SKIP_1) | instid1(VALU_DEP_3)
	v_readfirstlane_b32 s15, v25
	s_wait_alu 0xfffe
	v_and_or_b32 v0, 0x1e0, s1, v0
	s_clause 0x3
	global_store_b128 v30, v[0:3], s[14:15]
	global_store_b128 v30, v[10:13], s[14:15] offset:16
	global_store_b128 v30, v[14:17], s[14:15] offset:32
	;; [unrolled: 1-line block ×3, first 2 shown]
	s_and_saveexec_b32 s1, s0
	s_cbranch_execz .LBB73_94
; %bb.87:                               ;   in Loop: Header=BB73_29 Depth=1
	s_clause 0x1
	global_load_b64 v[14:15], v7, s[2:3] offset:32 scope:SCOPE_SYS
	global_load_b64 v[0:1], v7, s[2:3] offset:40
	s_mov_b32 s14, exec_lo
	v_dual_mov_b32 v12, s12 :: v_dual_mov_b32 v13, s13
	s_wait_loadcnt 0x0
	v_and_b32_e32 v0, s12, v0
	v_and_b32_e32 v1, s13, v1
	s_delay_alu instid0(VALU_DEP_2) | instskip(NEXT) | instid1(VALU_DEP_2)
	v_mul_lo_u32 v2, 0, v0
	v_mul_lo_u32 v1, 24, v1
	v_mul_hi_u32 v3, 24, v0
	v_mul_lo_u32 v0, 24, v0
	s_delay_alu instid0(VALU_DEP_3) | instskip(NEXT) | instid1(VALU_DEP_2)
	v_add_nc_u32_e32 v1, v1, v2
	v_add_co_u32 v10, vcc_lo, v22, v0
	s_delay_alu instid0(VALU_DEP_2) | instskip(SKIP_1) | instid1(VALU_DEP_1)
	v_add_nc_u32_e32 v1, v1, v3
	s_wait_alu 0xfffd
	v_add_co_ci_u32_e64 v11, null, v23, v1, vcc_lo
	global_store_b64 v[10:11], v[14:15], off
	global_wb scope:SCOPE_SYS
	s_wait_storecnt 0x0
	global_atomic_cmpswap_b64 v[2:3], v7, v[12:15], s[2:3] offset:32 th:TH_ATOMIC_RETURN scope:SCOPE_SYS
	s_wait_loadcnt 0x0
	v_cmpx_ne_u64_e64 v[2:3], v[14:15]
	s_cbranch_execz .LBB73_90
; %bb.88:                               ;   in Loop: Header=BB73_29 Depth=1
	s_mov_b32 s15, 0
.LBB73_89:                              ;   Parent Loop BB73_29 Depth=1
                                        ; =>  This Inner Loop Header: Depth=2
	v_dual_mov_b32 v0, s12 :: v_dual_mov_b32 v1, s13
	s_sleep 1
	global_store_b64 v[10:11], v[2:3], off
	global_wb scope:SCOPE_SYS
	s_wait_storecnt 0x0
	global_atomic_cmpswap_b64 v[0:1], v7, v[0:3], s[2:3] offset:32 th:TH_ATOMIC_RETURN scope:SCOPE_SYS
	s_wait_loadcnt 0x0
	v_cmp_eq_u64_e32 vcc_lo, v[0:1], v[2:3]
	v_dual_mov_b32 v3, v1 :: v_dual_mov_b32 v2, v0
	s_wait_alu 0xfffe
	s_or_b32 s15, vcc_lo, s15
	s_wait_alu 0xfffe
	s_and_not1_b32 exec_lo, exec_lo, s15
	s_cbranch_execnz .LBB73_89
.LBB73_90:                              ;   in Loop: Header=BB73_29 Depth=1
	s_wait_alu 0xfffe
	s_or_b32 exec_lo, exec_lo, s14
	global_load_b64 v[0:1], v7, s[2:3] offset:16
	s_mov_b32 s15, exec_lo
	s_mov_b32 s14, exec_lo
	s_wait_alu 0xfffe
	v_mbcnt_lo_u32_b32 v2, s15, 0
	s_delay_alu instid0(VALU_DEP_1)
	v_cmpx_eq_u32_e32 0, v2
	s_cbranch_execz .LBB73_92
; %bb.91:                               ;   in Loop: Header=BB73_29 Depth=1
	s_bcnt1_i32_b32 s15, s15
	s_wait_alu 0xfffe
	v_mov_b32_e32 v6, s15
	global_wb scope:SCOPE_SYS
	s_wait_loadcnt 0x0
	s_wait_storecnt 0x0
	global_atomic_add_u64 v[0:1], v[6:7], off offset:8 scope:SCOPE_SYS
.LBB73_92:                              ;   in Loop: Header=BB73_29 Depth=1
	s_or_b32 exec_lo, exec_lo, s14
	s_wait_loadcnt 0x0
	global_load_b64 v[2:3], v[0:1], off offset:16
	s_wait_loadcnt 0x0
	v_cmp_eq_u64_e32 vcc_lo, 0, v[2:3]
	s_cbranch_vccnz .LBB73_94
; %bb.93:                               ;   in Loop: Header=BB73_29 Depth=1
	global_load_b32 v6, v[0:1], off offset:24
	s_wait_loadcnt 0x0
	v_readfirstlane_b32 s14, v6
	global_wb scope:SCOPE_SYS
	s_wait_storecnt 0x0
	global_store_b64 v[2:3], v[6:7], off scope:SCOPE_SYS
	s_and_b32 m0, s14, 0xffffff
	s_sendmsg sendmsg(MSG_INTERRUPT)
.LBB73_94:                              ;   in Loop: Header=BB73_29 Depth=1
	s_wait_alu 0xfffe
	s_or_b32 exec_lo, exec_lo, s1
	v_add_co_u32 v0, vcc_lo, v24, v30
	s_wait_alu 0xfffd
	v_add_co_ci_u32_e64 v1, null, 0, v25, vcc_lo
	s_branch .LBB73_98
.LBB73_95:                              ;   in Loop: Header=BB73_98 Depth=2
	s_wait_alu 0xfffe
	s_or_b32 exec_lo, exec_lo, s1
	s_delay_alu instid0(VALU_DEP_1)
	v_readfirstlane_b32 s1, v2
	s_cmp_eq_u32 s1, 0
	s_cbranch_scc1 .LBB73_97
; %bb.96:                               ;   in Loop: Header=BB73_98 Depth=2
	s_sleep 1
	s_cbranch_execnz .LBB73_98
	s_branch .LBB73_100
.LBB73_97:                              ;   in Loop: Header=BB73_29 Depth=1
	s_branch .LBB73_100
.LBB73_98:                              ;   Parent Loop BB73_29 Depth=1
                                        ; =>  This Inner Loop Header: Depth=2
	v_mov_b32_e32 v2, 1
	s_and_saveexec_b32 s1, s0
	s_cbranch_execz .LBB73_95
; %bb.99:                               ;   in Loop: Header=BB73_98 Depth=2
	global_load_b32 v2, v[26:27], off offset:20 scope:SCOPE_SYS
	s_wait_loadcnt 0x0
	global_inv scope:SCOPE_SYS
	v_and_b32_e32 v2, 1, v2
	s_branch .LBB73_95
.LBB73_100:                             ;   in Loop: Header=BB73_29 Depth=1
	global_load_b64 v[0:1], v[0:1], off
	s_and_saveexec_b32 s14, s0
	s_cbranch_execz .LBB73_28
; %bb.101:                              ;   in Loop: Header=BB73_29 Depth=1
	s_clause 0x2
	global_load_b64 v[2:3], v7, s[2:3] offset:40
	global_load_b64 v[14:15], v7, s[2:3] offset:24 scope:SCOPE_SYS
	global_load_b64 v[10:11], v7, s[2:3]
	s_wait_loadcnt 0x2
	v_readfirstlane_b32 s16, v2
	v_readfirstlane_b32 s17, v3
	s_add_nc_u64 s[0:1], s[16:17], 1
	s_wait_alu 0xfffe
	s_add_nc_u64 s[12:13], s[0:1], s[12:13]
	s_wait_alu 0xfffe
	s_cmp_eq_u64 s[12:13], 0
	s_cselect_b32 s1, s1, s13
	s_cselect_b32 s0, s0, s12
	s_wait_alu 0xfffe
	v_dual_mov_b32 v13, s1 :: v_dual_mov_b32 v12, s0
	s_and_b64 s[12:13], s[0:1], s[16:17]
	s_wait_alu 0xfffe
	s_mul_u64 s[12:13], s[12:13], 24
	s_wait_loadcnt 0x0
	s_wait_alu 0xfffe
	v_add_co_u32 v2, vcc_lo, v10, s12
	s_wait_alu 0xfffd
	v_add_co_ci_u32_e64 v3, null, s13, v11, vcc_lo
	global_store_b64 v[2:3], v[14:15], off
	global_wb scope:SCOPE_SYS
	s_wait_storecnt 0x0
	global_atomic_cmpswap_b64 v[12:13], v7, v[12:15], s[2:3] offset:24 th:TH_ATOMIC_RETURN scope:SCOPE_SYS
	s_wait_loadcnt 0x0
	v_cmp_ne_u64_e32 vcc_lo, v[12:13], v[14:15]
	s_and_b32 exec_lo, exec_lo, vcc_lo
	s_cbranch_execz .LBB73_28
; %bb.102:                              ;   in Loop: Header=BB73_29 Depth=1
	s_mov_b32 s12, 0
.LBB73_103:                             ;   Parent Loop BB73_29 Depth=1
                                        ; =>  This Inner Loop Header: Depth=2
	v_dual_mov_b32 v10, s0 :: v_dual_mov_b32 v11, s1
	s_sleep 1
	global_store_b64 v[2:3], v[12:13], off
	global_wb scope:SCOPE_SYS
	s_wait_storecnt 0x0
	global_atomic_cmpswap_b64 v[10:11], v7, v[10:13], s[2:3] offset:24 th:TH_ATOMIC_RETURN scope:SCOPE_SYS
	s_wait_loadcnt 0x0
	v_cmp_eq_u64_e32 vcc_lo, v[10:11], v[12:13]
	v_dual_mov_b32 v13, v11 :: v_dual_mov_b32 v12, v10
	s_wait_alu 0xfffe
	s_or_b32 s12, vcc_lo, s12
	s_wait_alu 0xfffe
	s_and_not1_b32 exec_lo, exec_lo, s12
	s_cbranch_execnz .LBB73_103
	s_branch .LBB73_28
.LBB73_104:
                                        ; implicit-def: $vgpr0_vgpr1
	s_cbranch_execnz .LBB73_106
	s_branch .LBB73_133
.LBB73_105:
	s_branch .LBB73_133
.LBB73_106:
	v_readfirstlane_b32 s0, v31
	v_mov_b32_e32 v7, 0
	v_mov_b32_e32 v8, 0
	s_wait_alu 0xf1ff
	s_delay_alu instid0(VALU_DEP_3)
	v_cmp_eq_u32_e64 s0, s0, v31
	s_and_saveexec_b32 s1, s0
	s_cbranch_execz .LBB73_112
; %bb.107:
	s_wait_loadcnt 0x0
	v_mov_b32_e32 v0, 0
	s_mov_b32 s4, exec_lo
	global_load_b64 v[9:10], v0, s[2:3] offset:24 scope:SCOPE_SYS
	s_wait_loadcnt 0x0
	global_inv scope:SCOPE_SYS
	s_clause 0x1
	global_load_b64 v[1:2], v0, s[2:3] offset:40
	global_load_b64 v[6:7], v0, s[2:3]
	s_wait_loadcnt 0x1
	v_and_b32_e32 v2, v2, v10
	v_and_b32_e32 v1, v1, v9
	s_delay_alu instid0(VALU_DEP_2) | instskip(NEXT) | instid1(VALU_DEP_2)
	v_mul_lo_u32 v2, 24, v2
	v_mul_lo_u32 v3, 0, v1
	v_mul_hi_u32 v8, 24, v1
	v_mul_lo_u32 v1, 24, v1
	s_delay_alu instid0(VALU_DEP_3) | instskip(SKIP_1) | instid1(VALU_DEP_2)
	v_add_nc_u32_e32 v2, v2, v3
	s_wait_loadcnt 0x0
	v_add_co_u32 v1, vcc_lo, v6, v1
	s_delay_alu instid0(VALU_DEP_2) | instskip(SKIP_1) | instid1(VALU_DEP_1)
	v_add_nc_u32_e32 v2, v2, v8
	s_wait_alu 0xfffd
	v_add_co_ci_u32_e64 v2, null, v7, v2, vcc_lo
	global_load_b64 v[7:8], v[1:2], off scope:SCOPE_SYS
	s_wait_loadcnt 0x0
	global_atomic_cmpswap_b64 v[7:8], v0, v[7:10], s[2:3] offset:24 th:TH_ATOMIC_RETURN scope:SCOPE_SYS
	s_wait_loadcnt 0x0
	global_inv scope:SCOPE_SYS
	v_cmpx_ne_u64_e64 v[7:8], v[9:10]
	s_cbranch_execz .LBB73_111
; %bb.108:
	s_mov_b32 s5, 0
.LBB73_109:                             ; =>This Inner Loop Header: Depth=1
	s_sleep 1
	s_clause 0x1
	global_load_b64 v[1:2], v0, s[2:3] offset:40
	global_load_b64 v[11:12], v0, s[2:3]
	v_dual_mov_b32 v10, v8 :: v_dual_mov_b32 v9, v7
	s_wait_loadcnt 0x1
	s_delay_alu instid0(VALU_DEP_1) | instskip(SKIP_1) | instid1(VALU_DEP_1)
	v_and_b32_e32 v1, v1, v9
	s_wait_loadcnt 0x0
	v_mad_co_u64_u32 v[6:7], null, v1, 24, v[11:12]
	s_delay_alu instid0(VALU_DEP_1) | instskip(NEXT) | instid1(VALU_DEP_1)
	v_dual_mov_b32 v1, v7 :: v_dual_and_b32 v2, v2, v10
	v_mad_co_u64_u32 v[1:2], null, v2, 24, v[1:2]
	s_delay_alu instid0(VALU_DEP_1)
	v_mov_b32_e32 v7, v1
	global_load_b64 v[7:8], v[6:7], off scope:SCOPE_SYS
	s_wait_loadcnt 0x0
	global_atomic_cmpswap_b64 v[7:8], v0, v[7:10], s[2:3] offset:24 th:TH_ATOMIC_RETURN scope:SCOPE_SYS
	s_wait_loadcnt 0x0
	global_inv scope:SCOPE_SYS
	v_cmp_eq_u64_e32 vcc_lo, v[7:8], v[9:10]
	s_wait_alu 0xfffe
	s_or_b32 s5, vcc_lo, s5
	s_wait_alu 0xfffe
	s_and_not1_b32 exec_lo, exec_lo, s5
	s_cbranch_execnz .LBB73_109
; %bb.110:
	s_or_b32 exec_lo, exec_lo, s5
.LBB73_111:
	s_wait_alu 0xfffe
	s_or_b32 exec_lo, exec_lo, s4
.LBB73_112:
	s_wait_alu 0xfffe
	s_or_b32 exec_lo, exec_lo, s1
	v_readfirstlane_b32 s5, v8
	v_mov_b32_e32 v6, 0
	v_readfirstlane_b32 s4, v7
	s_mov_b32 s1, exec_lo
	global_load_b64 v[9:10], v6, s[2:3] offset:40
	s_wait_loadcnt 0x1
	global_load_b128 v[0:3], v6, s[2:3]
	s_wait_loadcnt 0x1
	s_wait_alu 0xf1ff
	v_and_b32_e32 v11, s5, v10
	v_and_b32_e32 v10, s4, v9
	s_delay_alu instid0(VALU_DEP_2) | instskip(NEXT) | instid1(VALU_DEP_2)
	v_mul_lo_u32 v7, 24, v11
	v_mul_lo_u32 v8, 0, v10
	v_mul_hi_u32 v9, 24, v10
	v_mul_lo_u32 v12, 24, v10
	s_delay_alu instid0(VALU_DEP_3) | instskip(SKIP_1) | instid1(VALU_DEP_2)
	v_add_nc_u32_e32 v7, v7, v8
	s_wait_loadcnt 0x0
	v_add_co_u32 v8, vcc_lo, v0, v12
	s_delay_alu instid0(VALU_DEP_2) | instskip(SKIP_1) | instid1(VALU_DEP_1)
	v_add_nc_u32_e32 v7, v7, v9
	s_wait_alu 0xfffd
	v_add_co_ci_u32_e64 v9, null, v1, v7, vcc_lo
	s_and_saveexec_b32 s6, s0
	s_cbranch_execz .LBB73_114
; %bb.113:
	s_wait_alu 0xfffe
	v_dual_mov_b32 v12, s1 :: v_dual_mov_b32 v13, v6
	v_dual_mov_b32 v14, 2 :: v_dual_mov_b32 v15, 1
	global_store_b128 v[8:9], v[12:15], off offset:8
.LBB73_114:
	s_wait_alu 0xfffe
	s_or_b32 exec_lo, exec_lo, s6
	v_lshlrev_b64_e32 v[10:11], 12, v[10:11]
	s_mov_b32 s12, 0
	v_and_or_b32 v4, 0xffffff1f, v4, 32
	s_wait_alu 0xfffe
	s_mov_b32 s13, s12
	s_mov_b32 s14, s12
	;; [unrolled: 1-line block ×3, first 2 shown]
	v_add_co_u32 v2, vcc_lo, v2, v10
	s_wait_alu 0xfffd
	v_add_co_ci_u32_e64 v3, null, v3, v11, vcc_lo
	v_dual_mov_b32 v7, v6 :: v_dual_mov_b32 v12, s12
	s_delay_alu instid0(VALU_DEP_3) | instskip(SKIP_1) | instid1(VALU_DEP_4)
	v_add_co_u32 v10, vcc_lo, v2, v30
	v_readfirstlane_b32 s6, v2
	v_readfirstlane_b32 s7, v3
	s_wait_alu 0xfffd
	v_add_co_ci_u32_e64 v11, null, 0, v3, vcc_lo
	s_wait_alu 0xfffe
	v_dual_mov_b32 v13, s13 :: v_dual_mov_b32 v14, s14
	v_mov_b32_e32 v15, s15
	s_clause 0x3
	global_store_b128 v30, v[4:7], s[6:7]
	global_store_b128 v30, v[12:15], s[6:7] offset:16
	global_store_b128 v30, v[12:15], s[6:7] offset:32
	;; [unrolled: 1-line block ×3, first 2 shown]
	s_and_saveexec_b32 s1, s0
	s_cbranch_execz .LBB73_122
; %bb.115:
	v_mov_b32_e32 v6, 0
	s_mov_b32 s6, exec_lo
	s_clause 0x1
	global_load_b64 v[14:15], v6, s[2:3] offset:32 scope:SCOPE_SYS
	global_load_b64 v[2:3], v6, s[2:3] offset:40
	v_dual_mov_b32 v13, s5 :: v_dual_mov_b32 v12, s4
	s_wait_loadcnt 0x0
	v_and_b32_e32 v3, s5, v3
	v_and_b32_e32 v2, s4, v2
	s_delay_alu instid0(VALU_DEP_2) | instskip(NEXT) | instid1(VALU_DEP_2)
	v_mul_lo_u32 v3, 24, v3
	v_mul_lo_u32 v4, 0, v2
	v_mul_hi_u32 v5, 24, v2
	v_mul_lo_u32 v2, 24, v2
	s_delay_alu instid0(VALU_DEP_3) | instskip(NEXT) | instid1(VALU_DEP_2)
	v_add_nc_u32_e32 v3, v3, v4
	v_add_co_u32 v4, vcc_lo, v0, v2
	s_delay_alu instid0(VALU_DEP_2) | instskip(SKIP_1) | instid1(VALU_DEP_1)
	v_add_nc_u32_e32 v3, v3, v5
	s_wait_alu 0xfffd
	v_add_co_ci_u32_e64 v5, null, v1, v3, vcc_lo
	global_store_b64 v[4:5], v[14:15], off
	global_wb scope:SCOPE_SYS
	s_wait_storecnt 0x0
	global_atomic_cmpswap_b64 v[2:3], v6, v[12:15], s[2:3] offset:32 th:TH_ATOMIC_RETURN scope:SCOPE_SYS
	s_wait_loadcnt 0x0
	v_cmpx_ne_u64_e64 v[2:3], v[14:15]
	s_cbranch_execz .LBB73_118
; %bb.116:
	s_mov_b32 s7, 0
.LBB73_117:                             ; =>This Inner Loop Header: Depth=1
	v_dual_mov_b32 v0, s4 :: v_dual_mov_b32 v1, s5
	s_sleep 1
	global_store_b64 v[4:5], v[2:3], off
	global_wb scope:SCOPE_SYS
	s_wait_storecnt 0x0
	global_atomic_cmpswap_b64 v[0:1], v6, v[0:3], s[2:3] offset:32 th:TH_ATOMIC_RETURN scope:SCOPE_SYS
	s_wait_loadcnt 0x0
	v_cmp_eq_u64_e32 vcc_lo, v[0:1], v[2:3]
	v_dual_mov_b32 v3, v1 :: v_dual_mov_b32 v2, v0
	s_wait_alu 0xfffe
	s_or_b32 s7, vcc_lo, s7
	s_wait_alu 0xfffe
	s_and_not1_b32 exec_lo, exec_lo, s7
	s_cbranch_execnz .LBB73_117
.LBB73_118:
	s_wait_alu 0xfffe
	s_or_b32 exec_lo, exec_lo, s6
	v_mov_b32_e32 v3, 0
	s_mov_b32 s7, exec_lo
	s_mov_b32 s6, exec_lo
	s_wait_alu 0xfffe
	v_mbcnt_lo_u32_b32 v2, s7, 0
	global_load_b64 v[0:1], v3, s[2:3] offset:16
	v_cmpx_eq_u32_e32 0, v2
	s_cbranch_execz .LBB73_120
; %bb.119:
	s_bcnt1_i32_b32 s7, s7
	s_wait_alu 0xfffe
	v_mov_b32_e32 v2, s7
	global_wb scope:SCOPE_SYS
	s_wait_loadcnt 0x0
	s_wait_storecnt 0x0
	global_atomic_add_u64 v[0:1], v[2:3], off offset:8 scope:SCOPE_SYS
.LBB73_120:
	s_or_b32 exec_lo, exec_lo, s6
	s_wait_loadcnt 0x0
	global_load_b64 v[2:3], v[0:1], off offset:16
	s_wait_loadcnt 0x0
	v_cmp_eq_u64_e32 vcc_lo, 0, v[2:3]
	s_cbranch_vccnz .LBB73_122
; %bb.121:
	global_load_b32 v0, v[0:1], off offset:24
	v_mov_b32_e32 v1, 0
	s_wait_loadcnt 0x0
	v_readfirstlane_b32 s6, v0
	global_wb scope:SCOPE_SYS
	s_wait_storecnt 0x0
	global_store_b64 v[2:3], v[0:1], off scope:SCOPE_SYS
	s_and_b32 m0, s6, 0xffffff
	s_sendmsg sendmsg(MSG_INTERRUPT)
.LBB73_122:
	s_wait_alu 0xfffe
	s_or_b32 exec_lo, exec_lo, s1
	s_branch .LBB73_126
.LBB73_123:                             ;   in Loop: Header=BB73_126 Depth=1
	s_wait_alu 0xfffe
	s_or_b32 exec_lo, exec_lo, s1
	s_delay_alu instid0(VALU_DEP_1)
	v_readfirstlane_b32 s1, v0
	s_cmp_eq_u32 s1, 0
	s_cbranch_scc1 .LBB73_125
; %bb.124:                              ;   in Loop: Header=BB73_126 Depth=1
	s_sleep 1
	s_cbranch_execnz .LBB73_126
	s_branch .LBB73_128
.LBB73_125:
	s_branch .LBB73_128
.LBB73_126:                             ; =>This Inner Loop Header: Depth=1
	v_mov_b32_e32 v0, 1
	s_and_saveexec_b32 s1, s0
	s_cbranch_execz .LBB73_123
; %bb.127:                              ;   in Loop: Header=BB73_126 Depth=1
	global_load_b32 v0, v[8:9], off offset:20 scope:SCOPE_SYS
	s_wait_loadcnt 0x0
	global_inv scope:SCOPE_SYS
	v_and_b32_e32 v0, 1, v0
	s_branch .LBB73_123
.LBB73_128:
	global_load_b64 v[0:1], v[10:11], off
	s_and_saveexec_b32 s6, s0
	s_cbranch_execz .LBB73_132
; %bb.129:
	v_mov_b32_e32 v8, 0
	s_clause 0x2
	global_load_b64 v[2:3], v8, s[2:3] offset:40
	global_load_b64 v[11:12], v8, s[2:3] offset:24 scope:SCOPE_SYS
	global_load_b64 v[4:5], v8, s[2:3]
	s_wait_loadcnt 0x2
	v_readfirstlane_b32 s10, v2
	v_readfirstlane_b32 s11, v3
	s_add_nc_u64 s[0:1], s[10:11], 1
	s_wait_alu 0xfffe
	s_add_nc_u64 s[4:5], s[0:1], s[4:5]
	s_wait_alu 0xfffe
	s_cmp_eq_u64 s[4:5], 0
	s_cselect_b32 s1, s1, s5
	s_cselect_b32 s0, s0, s4
	s_wait_alu 0xfffe
	v_mov_b32_e32 v10, s1
	s_and_b64 s[4:5], s[0:1], s[10:11]
	v_mov_b32_e32 v9, s0
	s_wait_alu 0xfffe
	s_mul_u64 s[4:5], s[4:5], 24
	s_wait_loadcnt 0x0
	s_wait_alu 0xfffe
	v_add_co_u32 v6, vcc_lo, v4, s4
	s_wait_alu 0xfffd
	v_add_co_ci_u32_e64 v7, null, s5, v5, vcc_lo
	global_store_b64 v[6:7], v[11:12], off
	global_wb scope:SCOPE_SYS
	s_wait_storecnt 0x0
	global_atomic_cmpswap_b64 v[4:5], v8, v[9:12], s[2:3] offset:24 th:TH_ATOMIC_RETURN scope:SCOPE_SYS
	s_wait_loadcnt 0x0
	v_cmp_ne_u64_e32 vcc_lo, v[4:5], v[11:12]
	s_and_b32 exec_lo, exec_lo, vcc_lo
	s_cbranch_execz .LBB73_132
; %bb.130:
	s_mov_b32 s4, 0
.LBB73_131:                             ; =>This Inner Loop Header: Depth=1
	v_dual_mov_b32 v2, s0 :: v_dual_mov_b32 v3, s1
	s_sleep 1
	global_store_b64 v[6:7], v[4:5], off
	global_wb scope:SCOPE_SYS
	s_wait_storecnt 0x0
	global_atomic_cmpswap_b64 v[2:3], v8, v[2:5], s[2:3] offset:24 th:TH_ATOMIC_RETURN scope:SCOPE_SYS
	s_wait_loadcnt 0x0
	v_cmp_eq_u64_e32 vcc_lo, v[2:3], v[4:5]
	v_dual_mov_b32 v5, v3 :: v_dual_mov_b32 v4, v2
	s_wait_alu 0xfffe
	s_or_b32 s4, vcc_lo, s4
	s_wait_alu 0xfffe
	s_and_not1_b32 exec_lo, exec_lo, s4
	s_cbranch_execnz .LBB73_131
.LBB73_132:
	s_wait_alu 0xfffe
	s_or_b32 exec_lo, exec_lo, s6
.LBB73_133:
	s_getpc_b64 s[0:1]
	s_wait_alu 0xfffe
	s_sext_i32_i16 s1, s1
	s_add_co_u32 s0, s0, .str.3@rel32@lo+12
	s_wait_alu 0xfffe
	s_add_co_ci_u32 s1, s1, .str.3@rel32@hi+24
	s_mov_b64 s[4:5], 0
	s_wait_alu 0xfffe
	s_cmp_lg_u64 s[0:1], 0
	s_cselect_b32 s6, -1, 0
	s_cmp_eq_u64 s[0:1], 0
	s_cbranch_scc1 .LBB73_137
; %bb.134:
	s_getpc_b64 s[0:1]
	s_wait_alu 0xfffe
	s_sext_i32_i16 s1, s1
	s_add_co_u32 s0, s0, .str.3@rel32@lo+11
	s_wait_alu 0xfffe
	s_add_co_ci_u32 s1, s1, .str.3@rel32@hi+23
.LBB73_135:                             ; =>This Inner Loop Header: Depth=1
	s_load_u8 s4, s[0:1], 0x1
	s_add_nc_u64 s[0:1], s[0:1], 1
	s_wait_kmcnt 0x0
	s_cmp_lg_u32 s4, 0
	s_cbranch_scc1 .LBB73_135
; %bb.136:
	s_getpc_b64 s[4:5]
	s_wait_alu 0xfffe
	s_sext_i32_i16 s5, s5
	s_add_co_u32 s4, s4, .str.3@rel32@lo+12
	s_wait_alu 0xfffe
	s_add_co_ci_u32 s5, s5, .str.3@rel32@hi+24
	s_wait_alu 0xfffe
	s_sub_nc_u64 s[0:1], s[0:1], s[4:5]
	s_wait_alu 0xfffe
	s_add_nc_u64 s[4:5], s[0:1], 1
.LBB73_137:
	s_wait_alu 0xfffe
	s_and_b32 vcc_lo, exec_lo, s6
	s_wait_alu 0xfffe
	s_cbranch_vccz .LBB73_215
; %bb.138:
	s_wait_loadcnt 0x0
	v_dual_mov_b32 v7, 0 :: v_dual_and_b32 v32, 2, v0
	v_dual_mov_b32 v3, v1 :: v_dual_and_b32 v2, -3, v0
	v_dual_mov_b32 v8, 2 :: v_dual_mov_b32 v9, 1
	s_getpc_b64 s[6:7]
	s_wait_alu 0xfffe
	s_sext_i32_i16 s7, s7
	s_add_co_u32 s6, s6, .str.3@rel32@lo+12
	s_wait_alu 0xfffe
	s_add_co_ci_u32 s7, s7, .str.3@rel32@hi+24
	s_branch .LBB73_140
.LBB73_139:                             ;   in Loop: Header=BB73_140 Depth=1
	s_wait_alu 0xfffe
	s_or_b32 exec_lo, exec_lo, s14
	s_sub_nc_u64 s[4:5], s[4:5], s[10:11]
	s_add_nc_u64 s[6:7], s[6:7], s[10:11]
	s_wait_alu 0xfffe
	s_cmp_lg_u64 s[4:5], 0
	s_cbranch_scc0 .LBB73_216
.LBB73_140:                             ; =>This Loop Header: Depth=1
                                        ;     Child Loop BB73_143 Depth 2
                                        ;     Child Loop BB73_150 Depth 2
	;; [unrolled: 1-line block ×11, first 2 shown]
	v_cmp_lt_u64_e64 s0, s[4:5], 56
	v_cmp_gt_u64_e64 s1, s[4:5], 7
	s_and_b32 s0, s0, exec_lo
	s_cselect_b32 s11, s5, 0
	s_cselect_b32 s10, s4, 56
	s_and_b32 vcc_lo, exec_lo, s1
	s_wait_alu 0xfffe
	s_cbranch_vccnz .LBB73_145
; %bb.141:                              ;   in Loop: Header=BB73_140 Depth=1
	v_mov_b32_e32 v4, 0
	v_mov_b32_e32 v5, 0
	s_cmp_eq_u64 s[4:5], 0
	s_cbranch_scc1 .LBB73_144
; %bb.142:                              ;   in Loop: Header=BB73_140 Depth=1
	s_mov_b64 s[0:1], 0
	s_mov_b64 s[12:13], 0
.LBB73_143:                             ;   Parent Loop BB73_140 Depth=1
                                        ; =>  This Inner Loop Header: Depth=2
	s_wait_alu 0xfffe
	s_add_nc_u64 s[14:15], s[6:7], s[12:13]
	s_add_nc_u64 s[12:13], s[12:13], 1
	global_load_u8 v6, v7, s[14:15]
	s_wait_alu 0xfffe
	s_cmp_lg_u32 s10, s12
	s_wait_loadcnt 0x0
	v_and_b32_e32 v6, 0xffff, v6
	s_delay_alu instid0(VALU_DEP_1) | instskip(SKIP_1) | instid1(VALU_DEP_1)
	v_lshlrev_b64_e32 v[10:11], s0, v[6:7]
	s_add_nc_u64 s[0:1], s[0:1], 8
	v_or_b32_e32 v4, v10, v4
	s_delay_alu instid0(VALU_DEP_2)
	v_or_b32_e32 v5, v11, v5
	s_cbranch_scc1 .LBB73_143
.LBB73_144:                             ;   in Loop: Header=BB73_140 Depth=1
	s_mov_b64 s[12:13], s[6:7]
	s_mov_b32 s16, 0
	s_cbranch_execz .LBB73_146
	s_branch .LBB73_147
.LBB73_145:                             ;   in Loop: Header=BB73_140 Depth=1
	s_add_nc_u64 s[12:13], s[6:7], 8
	s_mov_b32 s16, 0
.LBB73_146:                             ;   in Loop: Header=BB73_140 Depth=1
	global_load_b64 v[4:5], v7, s[6:7]
	s_add_co_i32 s16, s10, -8
.LBB73_147:                             ;   in Loop: Header=BB73_140 Depth=1
	s_wait_alu 0xfffe
	s_cmp_gt_u32 s16, 7
	s_cbranch_scc1 .LBB73_152
; %bb.148:                              ;   in Loop: Header=BB73_140 Depth=1
	v_mov_b32_e32 v10, 0
	v_mov_b32_e32 v11, 0
	s_cmp_eq_u32 s16, 0
	s_cbranch_scc1 .LBB73_151
; %bb.149:                              ;   in Loop: Header=BB73_140 Depth=1
	s_mov_b64 s[0:1], 0
	s_mov_b64 s[14:15], 0
.LBB73_150:                             ;   Parent Loop BB73_140 Depth=1
                                        ; =>  This Inner Loop Header: Depth=2
	s_wait_alu 0xfffe
	s_add_nc_u64 s[18:19], s[12:13], s[14:15]
	s_add_nc_u64 s[14:15], s[14:15], 1
	global_load_u8 v6, v7, s[18:19]
	s_wait_alu 0xfffe
	s_cmp_lg_u32 s16, s14
	s_wait_loadcnt 0x0
	v_and_b32_e32 v6, 0xffff, v6
	s_delay_alu instid0(VALU_DEP_1) | instskip(SKIP_1) | instid1(VALU_DEP_1)
	v_lshlrev_b64_e32 v[12:13], s0, v[6:7]
	s_add_nc_u64 s[0:1], s[0:1], 8
	v_or_b32_e32 v10, v12, v10
	s_delay_alu instid0(VALU_DEP_2)
	v_or_b32_e32 v11, v13, v11
	s_cbranch_scc1 .LBB73_150
.LBB73_151:                             ;   in Loop: Header=BB73_140 Depth=1
	s_mov_b64 s[0:1], s[12:13]
	s_mov_b32 s17, 0
	s_cbranch_execz .LBB73_153
	s_branch .LBB73_154
.LBB73_152:                             ;   in Loop: Header=BB73_140 Depth=1
	s_add_nc_u64 s[0:1], s[12:13], 8
                                        ; implicit-def: $vgpr10_vgpr11
	s_mov_b32 s17, 0
.LBB73_153:                             ;   in Loop: Header=BB73_140 Depth=1
	global_load_b64 v[10:11], v7, s[12:13]
	s_add_co_i32 s17, s16, -8
.LBB73_154:                             ;   in Loop: Header=BB73_140 Depth=1
	s_wait_alu 0xfffe
	s_cmp_gt_u32 s17, 7
	s_cbranch_scc1 .LBB73_159
; %bb.155:                              ;   in Loop: Header=BB73_140 Depth=1
	v_mov_b32_e32 v12, 0
	v_mov_b32_e32 v13, 0
	s_cmp_eq_u32 s17, 0
	s_cbranch_scc1 .LBB73_158
; %bb.156:                              ;   in Loop: Header=BB73_140 Depth=1
	s_mov_b64 s[12:13], 0
	s_mov_b64 s[14:15], 0
.LBB73_157:                             ;   Parent Loop BB73_140 Depth=1
                                        ; =>  This Inner Loop Header: Depth=2
	s_wait_alu 0xfffe
	s_add_nc_u64 s[18:19], s[0:1], s[14:15]
	s_add_nc_u64 s[14:15], s[14:15], 1
	global_load_u8 v6, v7, s[18:19]
	s_wait_alu 0xfffe
	s_cmp_lg_u32 s17, s14
	s_wait_loadcnt 0x0
	v_and_b32_e32 v6, 0xffff, v6
	s_delay_alu instid0(VALU_DEP_1) | instskip(SKIP_1) | instid1(VALU_DEP_1)
	v_lshlrev_b64_e32 v[14:15], s12, v[6:7]
	s_add_nc_u64 s[12:13], s[12:13], 8
	v_or_b32_e32 v12, v14, v12
	s_delay_alu instid0(VALU_DEP_2)
	v_or_b32_e32 v13, v15, v13
	s_cbranch_scc1 .LBB73_157
.LBB73_158:                             ;   in Loop: Header=BB73_140 Depth=1
	s_mov_b64 s[12:13], s[0:1]
	s_mov_b32 s16, 0
	s_cbranch_execz .LBB73_160
	s_branch .LBB73_161
.LBB73_159:                             ;   in Loop: Header=BB73_140 Depth=1
	s_add_nc_u64 s[12:13], s[0:1], 8
	s_mov_b32 s16, 0
.LBB73_160:                             ;   in Loop: Header=BB73_140 Depth=1
	global_load_b64 v[12:13], v7, s[0:1]
	s_add_co_i32 s16, s17, -8
.LBB73_161:                             ;   in Loop: Header=BB73_140 Depth=1
	s_wait_alu 0xfffe
	s_cmp_gt_u32 s16, 7
	s_cbranch_scc1 .LBB73_166
; %bb.162:                              ;   in Loop: Header=BB73_140 Depth=1
	v_mov_b32_e32 v14, 0
	v_mov_b32_e32 v15, 0
	s_cmp_eq_u32 s16, 0
	s_cbranch_scc1 .LBB73_165
; %bb.163:                              ;   in Loop: Header=BB73_140 Depth=1
	s_mov_b64 s[0:1], 0
	s_mov_b64 s[14:15], 0
.LBB73_164:                             ;   Parent Loop BB73_140 Depth=1
                                        ; =>  This Inner Loop Header: Depth=2
	s_wait_alu 0xfffe
	s_add_nc_u64 s[18:19], s[12:13], s[14:15]
	s_add_nc_u64 s[14:15], s[14:15], 1
	global_load_u8 v6, v7, s[18:19]
	s_wait_alu 0xfffe
	s_cmp_lg_u32 s16, s14
	s_wait_loadcnt 0x0
	v_and_b32_e32 v6, 0xffff, v6
	s_delay_alu instid0(VALU_DEP_1) | instskip(SKIP_1) | instid1(VALU_DEP_1)
	v_lshlrev_b64_e32 v[16:17], s0, v[6:7]
	s_add_nc_u64 s[0:1], s[0:1], 8
	v_or_b32_e32 v14, v16, v14
	s_delay_alu instid0(VALU_DEP_2)
	v_or_b32_e32 v15, v17, v15
	s_cbranch_scc1 .LBB73_164
.LBB73_165:                             ;   in Loop: Header=BB73_140 Depth=1
	s_mov_b64 s[0:1], s[12:13]
	s_mov_b32 s17, 0
	s_cbranch_execz .LBB73_167
	s_branch .LBB73_168
.LBB73_166:                             ;   in Loop: Header=BB73_140 Depth=1
	s_add_nc_u64 s[0:1], s[12:13], 8
                                        ; implicit-def: $vgpr14_vgpr15
	s_mov_b32 s17, 0
.LBB73_167:                             ;   in Loop: Header=BB73_140 Depth=1
	global_load_b64 v[14:15], v7, s[12:13]
	s_add_co_i32 s17, s16, -8
.LBB73_168:                             ;   in Loop: Header=BB73_140 Depth=1
	s_wait_alu 0xfffe
	s_cmp_gt_u32 s17, 7
	s_cbranch_scc1 .LBB73_173
; %bb.169:                              ;   in Loop: Header=BB73_140 Depth=1
	v_mov_b32_e32 v16, 0
	v_mov_b32_e32 v17, 0
	s_cmp_eq_u32 s17, 0
	s_cbranch_scc1 .LBB73_172
; %bb.170:                              ;   in Loop: Header=BB73_140 Depth=1
	s_mov_b64 s[12:13], 0
	s_mov_b64 s[14:15], 0
.LBB73_171:                             ;   Parent Loop BB73_140 Depth=1
                                        ; =>  This Inner Loop Header: Depth=2
	s_wait_alu 0xfffe
	s_add_nc_u64 s[18:19], s[0:1], s[14:15]
	s_add_nc_u64 s[14:15], s[14:15], 1
	global_load_u8 v6, v7, s[18:19]
	s_wait_alu 0xfffe
	s_cmp_lg_u32 s17, s14
	s_wait_loadcnt 0x0
	v_and_b32_e32 v6, 0xffff, v6
	s_delay_alu instid0(VALU_DEP_1) | instskip(SKIP_1) | instid1(VALU_DEP_1)
	v_lshlrev_b64_e32 v[18:19], s12, v[6:7]
	s_add_nc_u64 s[12:13], s[12:13], 8
	v_or_b32_e32 v16, v18, v16
	s_delay_alu instid0(VALU_DEP_2)
	v_or_b32_e32 v17, v19, v17
	s_cbranch_scc1 .LBB73_171
.LBB73_172:                             ;   in Loop: Header=BB73_140 Depth=1
	s_mov_b64 s[12:13], s[0:1]
	s_mov_b32 s16, 0
	s_cbranch_execz .LBB73_174
	s_branch .LBB73_175
.LBB73_173:                             ;   in Loop: Header=BB73_140 Depth=1
	s_add_nc_u64 s[12:13], s[0:1], 8
	s_mov_b32 s16, 0
.LBB73_174:                             ;   in Loop: Header=BB73_140 Depth=1
	global_load_b64 v[16:17], v7, s[0:1]
	s_add_co_i32 s16, s17, -8
.LBB73_175:                             ;   in Loop: Header=BB73_140 Depth=1
	s_wait_alu 0xfffe
	s_cmp_gt_u32 s16, 7
	s_cbranch_scc1 .LBB73_180
; %bb.176:                              ;   in Loop: Header=BB73_140 Depth=1
	v_mov_b32_e32 v18, 0
	v_mov_b32_e32 v19, 0
	s_cmp_eq_u32 s16, 0
	s_cbranch_scc1 .LBB73_179
; %bb.177:                              ;   in Loop: Header=BB73_140 Depth=1
	s_mov_b64 s[0:1], 0
	s_mov_b64 s[14:15], 0
.LBB73_178:                             ;   Parent Loop BB73_140 Depth=1
                                        ; =>  This Inner Loop Header: Depth=2
	s_wait_alu 0xfffe
	s_add_nc_u64 s[18:19], s[12:13], s[14:15]
	s_add_nc_u64 s[14:15], s[14:15], 1
	global_load_u8 v6, v7, s[18:19]
	s_wait_alu 0xfffe
	s_cmp_lg_u32 s16, s14
	s_wait_loadcnt 0x0
	v_and_b32_e32 v6, 0xffff, v6
	s_delay_alu instid0(VALU_DEP_1) | instskip(SKIP_1) | instid1(VALU_DEP_1)
	v_lshlrev_b64_e32 v[20:21], s0, v[6:7]
	s_add_nc_u64 s[0:1], s[0:1], 8
	v_or_b32_e32 v18, v20, v18
	s_delay_alu instid0(VALU_DEP_2)
	v_or_b32_e32 v19, v21, v19
	s_cbranch_scc1 .LBB73_178
.LBB73_179:                             ;   in Loop: Header=BB73_140 Depth=1
	s_mov_b64 s[0:1], s[12:13]
	s_mov_b32 s17, 0
	s_cbranch_execz .LBB73_181
	s_branch .LBB73_182
.LBB73_180:                             ;   in Loop: Header=BB73_140 Depth=1
	s_add_nc_u64 s[0:1], s[12:13], 8
                                        ; implicit-def: $vgpr18_vgpr19
	s_mov_b32 s17, 0
.LBB73_181:                             ;   in Loop: Header=BB73_140 Depth=1
	global_load_b64 v[18:19], v7, s[12:13]
	s_add_co_i32 s17, s16, -8
.LBB73_182:                             ;   in Loop: Header=BB73_140 Depth=1
	s_wait_alu 0xfffe
	s_cmp_gt_u32 s17, 7
	s_cbranch_scc1 .LBB73_187
; %bb.183:                              ;   in Loop: Header=BB73_140 Depth=1
	v_mov_b32_e32 v20, 0
	v_mov_b32_e32 v21, 0
	s_cmp_eq_u32 s17, 0
	s_cbranch_scc1 .LBB73_186
; %bb.184:                              ;   in Loop: Header=BB73_140 Depth=1
	s_mov_b64 s[12:13], 0
	s_mov_b64 s[14:15], s[0:1]
.LBB73_185:                             ;   Parent Loop BB73_140 Depth=1
                                        ; =>  This Inner Loop Header: Depth=2
	global_load_u8 v6, v7, s[14:15]
	s_add_co_i32 s17, s17, -1
	s_wait_alu 0xfffe
	s_add_nc_u64 s[14:15], s[14:15], 1
	s_cmp_lg_u32 s17, 0
	s_wait_loadcnt 0x0
	v_and_b32_e32 v6, 0xffff, v6
	s_delay_alu instid0(VALU_DEP_1) | instskip(SKIP_1) | instid1(VALU_DEP_1)
	v_lshlrev_b64_e32 v[22:23], s12, v[6:7]
	s_add_nc_u64 s[12:13], s[12:13], 8
	v_or_b32_e32 v20, v22, v20
	s_delay_alu instid0(VALU_DEP_2)
	v_or_b32_e32 v21, v23, v21
	s_cbranch_scc1 .LBB73_185
.LBB73_186:                             ;   in Loop: Header=BB73_140 Depth=1
	s_cbranch_execz .LBB73_188
	s_branch .LBB73_189
.LBB73_187:                             ;   in Loop: Header=BB73_140 Depth=1
.LBB73_188:                             ;   in Loop: Header=BB73_140 Depth=1
	global_load_b64 v[20:21], v7, s[0:1]
.LBB73_189:                             ;   in Loop: Header=BB73_140 Depth=1
	v_readfirstlane_b32 s0, v31
	v_mov_b32_e32 v26, 0
	v_mov_b32_e32 v27, 0
	s_wait_alu 0xf1ff
	s_delay_alu instid0(VALU_DEP_3)
	v_cmp_eq_u32_e64 s0, s0, v31
	s_and_saveexec_b32 s1, s0
	s_cbranch_execz .LBB73_195
; %bb.190:                              ;   in Loop: Header=BB73_140 Depth=1
	global_load_b64 v[24:25], v7, s[2:3] offset:24 scope:SCOPE_SYS
	s_wait_loadcnt 0x0
	global_inv scope:SCOPE_SYS
	s_clause 0x1
	global_load_b64 v[22:23], v7, s[2:3] offset:40
	global_load_b64 v[26:27], v7, s[2:3]
	s_mov_b32 s12, exec_lo
	s_wait_loadcnt 0x1
	v_and_b32_e32 v6, v23, v25
	v_and_b32_e32 v22, v22, v24
	s_delay_alu instid0(VALU_DEP_2) | instskip(NEXT) | instid1(VALU_DEP_2)
	v_mul_lo_u32 v6, 24, v6
	v_mul_lo_u32 v23, 0, v22
	v_mul_hi_u32 v28, 24, v22
	v_mul_lo_u32 v22, 24, v22
	s_delay_alu instid0(VALU_DEP_3) | instskip(SKIP_1) | instid1(VALU_DEP_2)
	v_add_nc_u32_e32 v6, v6, v23
	s_wait_loadcnt 0x0
	v_add_co_u32 v22, vcc_lo, v26, v22
	s_delay_alu instid0(VALU_DEP_2) | instskip(SKIP_1) | instid1(VALU_DEP_1)
	v_add_nc_u32_e32 v6, v6, v28
	s_wait_alu 0xfffd
	v_add_co_ci_u32_e64 v23, null, v27, v6, vcc_lo
	global_load_b64 v[22:23], v[22:23], off scope:SCOPE_SYS
	s_wait_loadcnt 0x0
	global_atomic_cmpswap_b64 v[26:27], v7, v[22:25], s[2:3] offset:24 th:TH_ATOMIC_RETURN scope:SCOPE_SYS
	s_wait_loadcnt 0x0
	global_inv scope:SCOPE_SYS
	v_cmpx_ne_u64_e64 v[26:27], v[24:25]
	s_cbranch_execz .LBB73_194
; %bb.191:                              ;   in Loop: Header=BB73_140 Depth=1
	s_mov_b32 s13, 0
.LBB73_192:                             ;   Parent Loop BB73_140 Depth=1
                                        ; =>  This Inner Loop Header: Depth=2
	s_sleep 1
	s_clause 0x1
	global_load_b64 v[22:23], v7, s[2:3] offset:40
	global_load_b64 v[28:29], v7, s[2:3]
	v_dual_mov_b32 v24, v26 :: v_dual_mov_b32 v25, v27
	s_wait_loadcnt 0x1
	s_delay_alu instid0(VALU_DEP_1) | instskip(NEXT) | instid1(VALU_DEP_2)
	v_and_b32_e32 v6, v22, v24
	v_and_b32_e32 v22, v23, v25
	s_wait_loadcnt 0x0
	s_delay_alu instid0(VALU_DEP_2) | instskip(NEXT) | instid1(VALU_DEP_1)
	v_mad_co_u64_u32 v[26:27], null, v6, 24, v[28:29]
	v_mov_b32_e32 v6, v27
	s_delay_alu instid0(VALU_DEP_1) | instskip(NEXT) | instid1(VALU_DEP_1)
	v_mad_co_u64_u32 v[22:23], null, v22, 24, v[6:7]
	v_mov_b32_e32 v27, v22
	global_load_b64 v[22:23], v[26:27], off scope:SCOPE_SYS
	s_wait_loadcnt 0x0
	global_atomic_cmpswap_b64 v[26:27], v7, v[22:25], s[2:3] offset:24 th:TH_ATOMIC_RETURN scope:SCOPE_SYS
	s_wait_loadcnt 0x0
	global_inv scope:SCOPE_SYS
	v_cmp_eq_u64_e32 vcc_lo, v[26:27], v[24:25]
	s_wait_alu 0xfffe
	s_or_b32 s13, vcc_lo, s13
	s_wait_alu 0xfffe
	s_and_not1_b32 exec_lo, exec_lo, s13
	s_cbranch_execnz .LBB73_192
; %bb.193:                              ;   in Loop: Header=BB73_140 Depth=1
	s_or_b32 exec_lo, exec_lo, s13
.LBB73_194:                             ;   in Loop: Header=BB73_140 Depth=1
	s_wait_alu 0xfffe
	s_or_b32 exec_lo, exec_lo, s12
.LBB73_195:                             ;   in Loop: Header=BB73_140 Depth=1
	s_wait_alu 0xfffe
	s_or_b32 exec_lo, exec_lo, s1
	s_clause 0x1
	global_load_b64 v[28:29], v7, s[2:3] offset:40
	global_load_b128 v[22:25], v7, s[2:3]
	v_readfirstlane_b32 s13, v27
	v_readfirstlane_b32 s12, v26
	s_mov_b32 s1, exec_lo
	s_wait_loadcnt 0x1
	s_wait_alu 0xf1ff
	v_and_b32_e32 v29, s13, v29
	v_and_b32_e32 v28, s12, v28
	s_delay_alu instid0(VALU_DEP_2) | instskip(NEXT) | instid1(VALU_DEP_2)
	v_mul_lo_u32 v6, 24, v29
	v_mul_lo_u32 v26, 0, v28
	v_mul_hi_u32 v27, 24, v28
	v_mul_lo_u32 v33, 24, v28
	s_delay_alu instid0(VALU_DEP_3) | instskip(SKIP_1) | instid1(VALU_DEP_2)
	v_add_nc_u32_e32 v6, v6, v26
	s_wait_loadcnt 0x0
	v_add_co_u32 v26, vcc_lo, v22, v33
	s_delay_alu instid0(VALU_DEP_2) | instskip(SKIP_1) | instid1(VALU_DEP_1)
	v_add_nc_u32_e32 v6, v6, v27
	s_wait_alu 0xfffd
	v_add_co_ci_u32_e64 v27, null, v23, v6, vcc_lo
	s_and_saveexec_b32 s14, s0
	s_cbranch_execz .LBB73_197
; %bb.196:                              ;   in Loop: Header=BB73_140 Depth=1
	s_wait_alu 0xfffe
	v_mov_b32_e32 v6, s1
	global_store_b128 v[26:27], v[6:9], off offset:8
.LBB73_197:                             ;   in Loop: Header=BB73_140 Depth=1
	s_wait_alu 0xfffe
	s_or_b32 exec_lo, exec_lo, s14
	v_cmp_lt_u64_e64 vcc_lo, s[4:5], 57
	v_lshlrev_b64_e32 v[28:29], 12, v[28:29]
	v_and_b32_e32 v2, 0xffffff1f, v2
	s_lshl_b32 s1, s10, 2
	s_wait_alu 0xfffe
	s_add_co_i32 s1, s1, 28
	s_wait_alu 0xfffd
	v_cndmask_b32_e32 v6, 0, v32, vcc_lo
	v_add_co_u32 v24, vcc_lo, v24, v28
	s_wait_alu 0xfffd
	v_add_co_ci_u32_e64 v25, null, v25, v29, vcc_lo
	s_delay_alu instid0(VALU_DEP_3) | instskip(NEXT) | instid1(VALU_DEP_3)
	v_or_b32_e32 v2, v2, v6
	v_readfirstlane_b32 s14, v24
	s_delay_alu instid0(VALU_DEP_3) | instskip(SKIP_1) | instid1(VALU_DEP_3)
	v_readfirstlane_b32 s15, v25
	s_wait_alu 0xfffe
	v_and_or_b32 v2, 0x1e0, s1, v2
	s_clause 0x3
	global_store_b128 v30, v[2:5], s[14:15]
	global_store_b128 v30, v[10:13], s[14:15] offset:16
	global_store_b128 v30, v[14:17], s[14:15] offset:32
	;; [unrolled: 1-line block ×3, first 2 shown]
	s_and_saveexec_b32 s1, s0
	s_cbranch_execz .LBB73_205
; %bb.198:                              ;   in Loop: Header=BB73_140 Depth=1
	s_clause 0x1
	global_load_b64 v[14:15], v7, s[2:3] offset:32 scope:SCOPE_SYS
	global_load_b64 v[2:3], v7, s[2:3] offset:40
	s_mov_b32 s14, exec_lo
	v_dual_mov_b32 v12, s12 :: v_dual_mov_b32 v13, s13
	s_wait_loadcnt 0x0
	v_and_b32_e32 v2, s12, v2
	v_and_b32_e32 v3, s13, v3
	s_delay_alu instid0(VALU_DEP_2) | instskip(NEXT) | instid1(VALU_DEP_2)
	v_mul_lo_u32 v4, 0, v2
	v_mul_lo_u32 v3, 24, v3
	v_mul_hi_u32 v5, 24, v2
	v_mul_lo_u32 v2, 24, v2
	s_delay_alu instid0(VALU_DEP_3) | instskip(NEXT) | instid1(VALU_DEP_2)
	v_add_nc_u32_e32 v3, v3, v4
	v_add_co_u32 v10, vcc_lo, v22, v2
	s_delay_alu instid0(VALU_DEP_2) | instskip(SKIP_1) | instid1(VALU_DEP_1)
	v_add_nc_u32_e32 v3, v3, v5
	s_wait_alu 0xfffd
	v_add_co_ci_u32_e64 v11, null, v23, v3, vcc_lo
	global_store_b64 v[10:11], v[14:15], off
	global_wb scope:SCOPE_SYS
	s_wait_storecnt 0x0
	global_atomic_cmpswap_b64 v[4:5], v7, v[12:15], s[2:3] offset:32 th:TH_ATOMIC_RETURN scope:SCOPE_SYS
	s_wait_loadcnt 0x0
	v_cmpx_ne_u64_e64 v[4:5], v[14:15]
	s_cbranch_execz .LBB73_201
; %bb.199:                              ;   in Loop: Header=BB73_140 Depth=1
	s_mov_b32 s15, 0
.LBB73_200:                             ;   Parent Loop BB73_140 Depth=1
                                        ; =>  This Inner Loop Header: Depth=2
	v_dual_mov_b32 v2, s12 :: v_dual_mov_b32 v3, s13
	s_sleep 1
	global_store_b64 v[10:11], v[4:5], off
	global_wb scope:SCOPE_SYS
	s_wait_storecnt 0x0
	global_atomic_cmpswap_b64 v[2:3], v7, v[2:5], s[2:3] offset:32 th:TH_ATOMIC_RETURN scope:SCOPE_SYS
	s_wait_loadcnt 0x0
	v_cmp_eq_u64_e32 vcc_lo, v[2:3], v[4:5]
	v_dual_mov_b32 v5, v3 :: v_dual_mov_b32 v4, v2
	s_wait_alu 0xfffe
	s_or_b32 s15, vcc_lo, s15
	s_wait_alu 0xfffe
	s_and_not1_b32 exec_lo, exec_lo, s15
	s_cbranch_execnz .LBB73_200
.LBB73_201:                             ;   in Loop: Header=BB73_140 Depth=1
	s_wait_alu 0xfffe
	s_or_b32 exec_lo, exec_lo, s14
	global_load_b64 v[2:3], v7, s[2:3] offset:16
	s_mov_b32 s15, exec_lo
	s_mov_b32 s14, exec_lo
	s_wait_alu 0xfffe
	v_mbcnt_lo_u32_b32 v4, s15, 0
	s_delay_alu instid0(VALU_DEP_1)
	v_cmpx_eq_u32_e32 0, v4
	s_cbranch_execz .LBB73_203
; %bb.202:                              ;   in Loop: Header=BB73_140 Depth=1
	s_bcnt1_i32_b32 s15, s15
	s_wait_alu 0xfffe
	v_mov_b32_e32 v6, s15
	global_wb scope:SCOPE_SYS
	s_wait_loadcnt 0x0
	s_wait_storecnt 0x0
	global_atomic_add_u64 v[2:3], v[6:7], off offset:8 scope:SCOPE_SYS
.LBB73_203:                             ;   in Loop: Header=BB73_140 Depth=1
	s_or_b32 exec_lo, exec_lo, s14
	s_wait_loadcnt 0x0
	global_load_b64 v[4:5], v[2:3], off offset:16
	s_wait_loadcnt 0x0
	v_cmp_eq_u64_e32 vcc_lo, 0, v[4:5]
	s_cbranch_vccnz .LBB73_205
; %bb.204:                              ;   in Loop: Header=BB73_140 Depth=1
	global_load_b32 v6, v[2:3], off offset:24
	s_wait_loadcnt 0x0
	v_readfirstlane_b32 s14, v6
	global_wb scope:SCOPE_SYS
	s_wait_storecnt 0x0
	global_store_b64 v[4:5], v[6:7], off scope:SCOPE_SYS
	s_and_b32 m0, s14, 0xffffff
	s_sendmsg sendmsg(MSG_INTERRUPT)
.LBB73_205:                             ;   in Loop: Header=BB73_140 Depth=1
	s_wait_alu 0xfffe
	s_or_b32 exec_lo, exec_lo, s1
	v_add_co_u32 v2, vcc_lo, v24, v30
	s_wait_alu 0xfffd
	v_add_co_ci_u32_e64 v3, null, 0, v25, vcc_lo
	s_branch .LBB73_209
.LBB73_206:                             ;   in Loop: Header=BB73_209 Depth=2
	s_wait_alu 0xfffe
	s_or_b32 exec_lo, exec_lo, s1
	s_delay_alu instid0(VALU_DEP_1)
	v_readfirstlane_b32 s1, v4
	s_cmp_eq_u32 s1, 0
	s_cbranch_scc1 .LBB73_208
; %bb.207:                              ;   in Loop: Header=BB73_209 Depth=2
	s_sleep 1
	s_cbranch_execnz .LBB73_209
	s_branch .LBB73_211
.LBB73_208:                             ;   in Loop: Header=BB73_140 Depth=1
	s_branch .LBB73_211
.LBB73_209:                             ;   Parent Loop BB73_140 Depth=1
                                        ; =>  This Inner Loop Header: Depth=2
	v_mov_b32_e32 v4, 1
	s_and_saveexec_b32 s1, s0
	s_cbranch_execz .LBB73_206
; %bb.210:                              ;   in Loop: Header=BB73_209 Depth=2
	global_load_b32 v4, v[26:27], off offset:20 scope:SCOPE_SYS
	s_wait_loadcnt 0x0
	global_inv scope:SCOPE_SYS
	v_and_b32_e32 v4, 1, v4
	s_branch .LBB73_206
.LBB73_211:                             ;   in Loop: Header=BB73_140 Depth=1
	global_load_b64 v[2:3], v[2:3], off
	s_and_saveexec_b32 s14, s0
	s_cbranch_execz .LBB73_139
; %bb.212:                              ;   in Loop: Header=BB73_140 Depth=1
	s_clause 0x2
	global_load_b64 v[4:5], v7, s[2:3] offset:40
	global_load_b64 v[14:15], v7, s[2:3] offset:24 scope:SCOPE_SYS
	global_load_b64 v[10:11], v7, s[2:3]
	s_wait_loadcnt 0x2
	v_readfirstlane_b32 s16, v4
	v_readfirstlane_b32 s17, v5
	s_add_nc_u64 s[0:1], s[16:17], 1
	s_wait_alu 0xfffe
	s_add_nc_u64 s[12:13], s[0:1], s[12:13]
	s_wait_alu 0xfffe
	s_cmp_eq_u64 s[12:13], 0
	s_cselect_b32 s1, s1, s13
	s_cselect_b32 s0, s0, s12
	s_wait_alu 0xfffe
	v_dual_mov_b32 v13, s1 :: v_dual_mov_b32 v12, s0
	s_and_b64 s[12:13], s[0:1], s[16:17]
	s_wait_alu 0xfffe
	s_mul_u64 s[12:13], s[12:13], 24
	s_wait_loadcnt 0x0
	s_wait_alu 0xfffe
	v_add_co_u32 v4, vcc_lo, v10, s12
	s_wait_alu 0xfffd
	v_add_co_ci_u32_e64 v5, null, s13, v11, vcc_lo
	global_store_b64 v[4:5], v[14:15], off
	global_wb scope:SCOPE_SYS
	s_wait_storecnt 0x0
	global_atomic_cmpswap_b64 v[12:13], v7, v[12:15], s[2:3] offset:24 th:TH_ATOMIC_RETURN scope:SCOPE_SYS
	s_wait_loadcnt 0x0
	v_cmp_ne_u64_e32 vcc_lo, v[12:13], v[14:15]
	s_and_b32 exec_lo, exec_lo, vcc_lo
	s_cbranch_execz .LBB73_139
; %bb.213:                              ;   in Loop: Header=BB73_140 Depth=1
	s_mov_b32 s12, 0
.LBB73_214:                             ;   Parent Loop BB73_140 Depth=1
                                        ; =>  This Inner Loop Header: Depth=2
	v_dual_mov_b32 v10, s0 :: v_dual_mov_b32 v11, s1
	s_sleep 1
	global_store_b64 v[4:5], v[12:13], off
	global_wb scope:SCOPE_SYS
	s_wait_storecnt 0x0
	global_atomic_cmpswap_b64 v[10:11], v7, v[10:13], s[2:3] offset:24 th:TH_ATOMIC_RETURN scope:SCOPE_SYS
	s_wait_loadcnt 0x0
	v_cmp_eq_u64_e32 vcc_lo, v[10:11], v[12:13]
	v_dual_mov_b32 v13, v11 :: v_dual_mov_b32 v12, v10
	s_wait_alu 0xfffe
	s_or_b32 s12, vcc_lo, s12
	s_wait_alu 0xfffe
	s_and_not1_b32 exec_lo, exec_lo, s12
	s_cbranch_execnz .LBB73_214
	s_branch .LBB73_139
.LBB73_215:
                                        ; implicit-def: $vgpr2_vgpr3
	s_cbranch_execnz .LBB73_217
	s_branch .LBB73_244
.LBB73_216:
	s_branch .LBB73_244
.LBB73_217:
	v_readfirstlane_b32 s0, v31
	v_mov_b32_e32 v8, 0
	v_mov_b32_e32 v9, 0
	s_wait_alu 0xf1ff
	s_delay_alu instid0(VALU_DEP_3)
	v_cmp_eq_u32_e64 s0, s0, v31
	s_and_saveexec_b32 s1, s0
	s_cbranch_execz .LBB73_223
; %bb.218:
	s_wait_loadcnt 0x0
	v_mov_b32_e32 v2, 0
	s_mov_b32 s4, exec_lo
	global_load_b64 v[5:6], v2, s[2:3] offset:24 scope:SCOPE_SYS
	s_wait_loadcnt 0x0
	global_inv scope:SCOPE_SYS
	s_clause 0x1
	global_load_b64 v[3:4], v2, s[2:3] offset:40
	global_load_b64 v[7:8], v2, s[2:3]
	s_wait_loadcnt 0x1
	v_and_b32_e32 v4, v4, v6
	v_and_b32_e32 v3, v3, v5
	s_delay_alu instid0(VALU_DEP_2) | instskip(NEXT) | instid1(VALU_DEP_2)
	v_mul_lo_u32 v4, 24, v4
	v_mul_lo_u32 v9, 0, v3
	v_mul_hi_u32 v10, 24, v3
	v_mul_lo_u32 v3, 24, v3
	s_delay_alu instid0(VALU_DEP_3) | instskip(SKIP_1) | instid1(VALU_DEP_2)
	v_add_nc_u32_e32 v4, v4, v9
	s_wait_loadcnt 0x0
	v_add_co_u32 v3, vcc_lo, v7, v3
	s_delay_alu instid0(VALU_DEP_2) | instskip(SKIP_1) | instid1(VALU_DEP_1)
	v_add_nc_u32_e32 v4, v4, v10
	s_wait_alu 0xfffd
	v_add_co_ci_u32_e64 v4, null, v8, v4, vcc_lo
	global_load_b64 v[3:4], v[3:4], off scope:SCOPE_SYS
	s_wait_loadcnt 0x0
	global_atomic_cmpswap_b64 v[8:9], v2, v[3:6], s[2:3] offset:24 th:TH_ATOMIC_RETURN scope:SCOPE_SYS
	s_wait_loadcnt 0x0
	global_inv scope:SCOPE_SYS
	v_cmpx_ne_u64_e64 v[8:9], v[5:6]
	s_cbranch_execz .LBB73_222
; %bb.219:
	s_mov_b32 s5, 0
.LBB73_220:                             ; =>This Inner Loop Header: Depth=1
	s_sleep 1
	s_clause 0x1
	global_load_b64 v[3:4], v2, s[2:3] offset:40
	global_load_b64 v[10:11], v2, s[2:3]
	v_dual_mov_b32 v5, v8 :: v_dual_mov_b32 v6, v9
	s_wait_loadcnt 0x1
	s_delay_alu instid0(VALU_DEP_1) | instskip(NEXT) | instid1(VALU_DEP_2)
	v_and_b32_e32 v3, v3, v5
	v_and_b32_e32 v4, v4, v6
	s_wait_loadcnt 0x0
	s_delay_alu instid0(VALU_DEP_2) | instskip(NEXT) | instid1(VALU_DEP_1)
	v_mad_co_u64_u32 v[7:8], null, v3, 24, v[10:11]
	v_mov_b32_e32 v3, v8
	s_delay_alu instid0(VALU_DEP_1) | instskip(NEXT) | instid1(VALU_DEP_1)
	v_mad_co_u64_u32 v[3:4], null, v4, 24, v[3:4]
	v_mov_b32_e32 v8, v3
	global_load_b64 v[3:4], v[7:8], off scope:SCOPE_SYS
	s_wait_loadcnt 0x0
	global_atomic_cmpswap_b64 v[8:9], v2, v[3:6], s[2:3] offset:24 th:TH_ATOMIC_RETURN scope:SCOPE_SYS
	s_wait_loadcnt 0x0
	global_inv scope:SCOPE_SYS
	v_cmp_eq_u64_e32 vcc_lo, v[8:9], v[5:6]
	s_wait_alu 0xfffe
	s_or_b32 s5, vcc_lo, s5
	s_wait_alu 0xfffe
	s_and_not1_b32 exec_lo, exec_lo, s5
	s_cbranch_execnz .LBB73_220
; %bb.221:
	s_or_b32 exec_lo, exec_lo, s5
.LBB73_222:
	s_wait_alu 0xfffe
	s_or_b32 exec_lo, exec_lo, s4
.LBB73_223:
	s_wait_alu 0xfffe
	s_or_b32 exec_lo, exec_lo, s1
	v_readfirstlane_b32 s5, v9
	s_wait_loadcnt 0x0
	v_mov_b32_e32 v2, 0
	v_readfirstlane_b32 s4, v8
	s_mov_b32 s1, exec_lo
	s_clause 0x1
	global_load_b64 v[10:11], v2, s[2:3] offset:40
	global_load_b128 v[4:7], v2, s[2:3]
	s_wait_loadcnt 0x1
	s_wait_alu 0xf1ff
	v_and_b32_e32 v11, s5, v11
	v_and_b32_e32 v10, s4, v10
	s_delay_alu instid0(VALU_DEP_2) | instskip(NEXT) | instid1(VALU_DEP_2)
	v_mul_lo_u32 v3, 24, v11
	v_mul_lo_u32 v8, 0, v10
	v_mul_hi_u32 v9, 24, v10
	v_mul_lo_u32 v12, 24, v10
	s_delay_alu instid0(VALU_DEP_3) | instskip(SKIP_1) | instid1(VALU_DEP_2)
	v_add_nc_u32_e32 v3, v3, v8
	s_wait_loadcnt 0x0
	v_add_co_u32 v8, vcc_lo, v4, v12
	s_delay_alu instid0(VALU_DEP_2) | instskip(SKIP_1) | instid1(VALU_DEP_1)
	v_add_nc_u32_e32 v3, v3, v9
	s_wait_alu 0xfffd
	v_add_co_ci_u32_e64 v9, null, v5, v3, vcc_lo
	s_and_saveexec_b32 s6, s0
	s_cbranch_execz .LBB73_225
; %bb.224:
	s_wait_alu 0xfffe
	v_dual_mov_b32 v12, s1 :: v_dual_mov_b32 v13, v2
	v_dual_mov_b32 v14, 2 :: v_dual_mov_b32 v15, 1
	global_store_b128 v[8:9], v[12:15], off offset:8
.LBB73_225:
	s_wait_alu 0xfffe
	s_or_b32 exec_lo, exec_lo, s6
	v_lshlrev_b64_e32 v[10:11], 12, v[10:11]
	s_mov_b32 s12, 0
	v_and_or_b32 v0, 0xffffff1f, v0, 32
	s_wait_alu 0xfffe
	s_mov_b32 s13, s12
	s_mov_b32 s14, s12
	;; [unrolled: 1-line block ×3, first 2 shown]
	v_add_co_u32 v6, vcc_lo, v6, v10
	s_wait_alu 0xfffd
	v_add_co_ci_u32_e64 v7, null, v7, v11, vcc_lo
	v_dual_mov_b32 v3, v2 :: v_dual_mov_b32 v10, s12
	s_delay_alu instid0(VALU_DEP_3) | instskip(SKIP_1) | instid1(VALU_DEP_4)
	v_readfirstlane_b32 s6, v6
	v_add_co_u32 v6, vcc_lo, v6, v30
	v_readfirstlane_b32 s7, v7
	s_wait_alu 0xfffd
	v_add_co_ci_u32_e64 v7, null, 0, v7, vcc_lo
	s_wait_alu 0xfffe
	v_dual_mov_b32 v11, s13 :: v_dual_mov_b32 v12, s14
	v_mov_b32_e32 v13, s15
	s_clause 0x3
	global_store_b128 v30, v[0:3], s[6:7]
	global_store_b128 v30, v[10:13], s[6:7] offset:16
	global_store_b128 v30, v[10:13], s[6:7] offset:32
	;; [unrolled: 1-line block ×3, first 2 shown]
	s_and_saveexec_b32 s1, s0
	s_cbranch_execz .LBB73_233
; %bb.226:
	v_mov_b32_e32 v10, 0
	s_mov_b32 s6, exec_lo
	s_clause 0x1
	global_load_b64 v[13:14], v10, s[2:3] offset:32 scope:SCOPE_SYS
	global_load_b64 v[0:1], v10, s[2:3] offset:40
	v_dual_mov_b32 v11, s4 :: v_dual_mov_b32 v12, s5
	s_wait_loadcnt 0x0
	v_and_b32_e32 v1, s5, v1
	v_and_b32_e32 v0, s4, v0
	s_delay_alu instid0(VALU_DEP_2) | instskip(NEXT) | instid1(VALU_DEP_2)
	v_mul_lo_u32 v1, 24, v1
	v_mul_lo_u32 v2, 0, v0
	v_mul_hi_u32 v3, 24, v0
	v_mul_lo_u32 v0, 24, v0
	s_delay_alu instid0(VALU_DEP_3) | instskip(NEXT) | instid1(VALU_DEP_2)
	v_add_nc_u32_e32 v1, v1, v2
	v_add_co_u32 v4, vcc_lo, v4, v0
	s_delay_alu instid0(VALU_DEP_2) | instskip(SKIP_1) | instid1(VALU_DEP_1)
	v_add_nc_u32_e32 v1, v1, v3
	s_wait_alu 0xfffd
	v_add_co_ci_u32_e64 v5, null, v5, v1, vcc_lo
	global_store_b64 v[4:5], v[13:14], off
	global_wb scope:SCOPE_SYS
	s_wait_storecnt 0x0
	global_atomic_cmpswap_b64 v[2:3], v10, v[11:14], s[2:3] offset:32 th:TH_ATOMIC_RETURN scope:SCOPE_SYS
	s_wait_loadcnt 0x0
	v_cmpx_ne_u64_e64 v[2:3], v[13:14]
	s_cbranch_execz .LBB73_229
; %bb.227:
	s_mov_b32 s7, 0
.LBB73_228:                             ; =>This Inner Loop Header: Depth=1
	v_dual_mov_b32 v0, s4 :: v_dual_mov_b32 v1, s5
	s_sleep 1
	global_store_b64 v[4:5], v[2:3], off
	global_wb scope:SCOPE_SYS
	s_wait_storecnt 0x0
	global_atomic_cmpswap_b64 v[0:1], v10, v[0:3], s[2:3] offset:32 th:TH_ATOMIC_RETURN scope:SCOPE_SYS
	s_wait_loadcnt 0x0
	v_cmp_eq_u64_e32 vcc_lo, v[0:1], v[2:3]
	v_dual_mov_b32 v3, v1 :: v_dual_mov_b32 v2, v0
	s_wait_alu 0xfffe
	s_or_b32 s7, vcc_lo, s7
	s_wait_alu 0xfffe
	s_and_not1_b32 exec_lo, exec_lo, s7
	s_cbranch_execnz .LBB73_228
.LBB73_229:
	s_wait_alu 0xfffe
	s_or_b32 exec_lo, exec_lo, s6
	v_mov_b32_e32 v3, 0
	s_mov_b32 s7, exec_lo
	s_mov_b32 s6, exec_lo
	s_wait_alu 0xfffe
	v_mbcnt_lo_u32_b32 v2, s7, 0
	global_load_b64 v[0:1], v3, s[2:3] offset:16
	v_cmpx_eq_u32_e32 0, v2
	s_cbranch_execz .LBB73_231
; %bb.230:
	s_bcnt1_i32_b32 s7, s7
	s_wait_alu 0xfffe
	v_mov_b32_e32 v2, s7
	global_wb scope:SCOPE_SYS
	s_wait_loadcnt 0x0
	s_wait_storecnt 0x0
	global_atomic_add_u64 v[0:1], v[2:3], off offset:8 scope:SCOPE_SYS
.LBB73_231:
	s_or_b32 exec_lo, exec_lo, s6
	s_wait_loadcnt 0x0
	global_load_b64 v[2:3], v[0:1], off offset:16
	s_wait_loadcnt 0x0
	v_cmp_eq_u64_e32 vcc_lo, 0, v[2:3]
	s_cbranch_vccnz .LBB73_233
; %bb.232:
	global_load_b32 v0, v[0:1], off offset:24
	v_mov_b32_e32 v1, 0
	s_wait_loadcnt 0x0
	v_readfirstlane_b32 s6, v0
	global_wb scope:SCOPE_SYS
	s_wait_storecnt 0x0
	global_store_b64 v[2:3], v[0:1], off scope:SCOPE_SYS
	s_and_b32 m0, s6, 0xffffff
	s_sendmsg sendmsg(MSG_INTERRUPT)
.LBB73_233:
	s_wait_alu 0xfffe
	s_or_b32 exec_lo, exec_lo, s1
	s_branch .LBB73_237
.LBB73_234:                             ;   in Loop: Header=BB73_237 Depth=1
	s_wait_alu 0xfffe
	s_or_b32 exec_lo, exec_lo, s1
	s_delay_alu instid0(VALU_DEP_1)
	v_readfirstlane_b32 s1, v0
	s_cmp_eq_u32 s1, 0
	s_cbranch_scc1 .LBB73_236
; %bb.235:                              ;   in Loop: Header=BB73_237 Depth=1
	s_sleep 1
	s_cbranch_execnz .LBB73_237
	s_branch .LBB73_239
.LBB73_236:
	s_branch .LBB73_239
.LBB73_237:                             ; =>This Inner Loop Header: Depth=1
	v_mov_b32_e32 v0, 1
	s_and_saveexec_b32 s1, s0
	s_cbranch_execz .LBB73_234
; %bb.238:                              ;   in Loop: Header=BB73_237 Depth=1
	global_load_b32 v0, v[8:9], off offset:20 scope:SCOPE_SYS
	s_wait_loadcnt 0x0
	global_inv scope:SCOPE_SYS
	v_and_b32_e32 v0, 1, v0
	s_branch .LBB73_234
.LBB73_239:
	global_load_b64 v[2:3], v[6:7], off
	s_and_saveexec_b32 s6, s0
	s_cbranch_execz .LBB73_243
; %bb.240:
	v_mov_b32_e32 v8, 0
	s_clause 0x2
	global_load_b64 v[0:1], v8, s[2:3] offset:40
	global_load_b64 v[11:12], v8, s[2:3] offset:24 scope:SCOPE_SYS
	global_load_b64 v[4:5], v8, s[2:3]
	s_wait_loadcnt 0x2
	v_readfirstlane_b32 s10, v0
	v_readfirstlane_b32 s11, v1
	s_add_nc_u64 s[0:1], s[10:11], 1
	s_wait_alu 0xfffe
	s_add_nc_u64 s[4:5], s[0:1], s[4:5]
	s_wait_alu 0xfffe
	s_cmp_eq_u64 s[4:5], 0
	s_cselect_b32 s1, s1, s5
	s_cselect_b32 s0, s0, s4
	s_wait_alu 0xfffe
	v_mov_b32_e32 v10, s1
	s_and_b64 s[4:5], s[0:1], s[10:11]
	v_mov_b32_e32 v9, s0
	s_wait_alu 0xfffe
	s_mul_u64 s[4:5], s[4:5], 24
	s_wait_loadcnt 0x0
	s_wait_alu 0xfffe
	v_add_co_u32 v0, vcc_lo, v4, s4
	s_wait_alu 0xfffd
	v_add_co_ci_u32_e64 v1, null, s5, v5, vcc_lo
	global_store_b64 v[0:1], v[11:12], off
	global_wb scope:SCOPE_SYS
	s_wait_storecnt 0x0
	global_atomic_cmpswap_b64 v[6:7], v8, v[9:12], s[2:3] offset:24 th:TH_ATOMIC_RETURN scope:SCOPE_SYS
	s_wait_loadcnt 0x0
	v_cmp_ne_u64_e32 vcc_lo, v[6:7], v[11:12]
	s_and_b32 exec_lo, exec_lo, vcc_lo
	s_cbranch_execz .LBB73_243
; %bb.241:
	s_mov_b32 s4, 0
.LBB73_242:                             ; =>This Inner Loop Header: Depth=1
	v_dual_mov_b32 v4, s0 :: v_dual_mov_b32 v5, s1
	s_sleep 1
	global_store_b64 v[0:1], v[6:7], off
	global_wb scope:SCOPE_SYS
	s_wait_storecnt 0x0
	global_atomic_cmpswap_b64 v[4:5], v8, v[4:7], s[2:3] offset:24 th:TH_ATOMIC_RETURN scope:SCOPE_SYS
	s_wait_loadcnt 0x0
	v_cmp_eq_u64_e32 vcc_lo, v[4:5], v[6:7]
	v_dual_mov_b32 v7, v5 :: v_dual_mov_b32 v6, v4
	s_wait_alu 0xfffe
	s_or_b32 s4, vcc_lo, s4
	s_wait_alu 0xfffe
	s_and_not1_b32 exec_lo, exec_lo, s4
	s_cbranch_execnz .LBB73_242
.LBB73_243:
	s_wait_alu 0xfffe
	s_or_b32 exec_lo, exec_lo, s6
.LBB73_244:
	v_readfirstlane_b32 s0, v31
	s_wait_loadcnt 0x0
	v_mov_b32_e32 v0, 0
	v_mov_b32_e32 v1, 0
	s_wait_alu 0xf1ff
	v_cmp_eq_u32_e64 s0, s0, v31
	s_and_saveexec_b32 s1, s0
	s_cbranch_execz .LBB73_250
; %bb.245:
	v_mov_b32_e32 v4, 0
	s_mov_b32 s4, exec_lo
	global_load_b64 v[7:8], v4, s[2:3] offset:24 scope:SCOPE_SYS
	s_wait_loadcnt 0x0
	global_inv scope:SCOPE_SYS
	s_clause 0x1
	global_load_b64 v[0:1], v4, s[2:3] offset:40
	global_load_b64 v[5:6], v4, s[2:3]
	s_wait_loadcnt 0x1
	v_and_b32_e32 v1, v1, v8
	v_and_b32_e32 v0, v0, v7
	s_delay_alu instid0(VALU_DEP_2) | instskip(NEXT) | instid1(VALU_DEP_2)
	v_mul_lo_u32 v1, 24, v1
	v_mul_lo_u32 v9, 0, v0
	v_mul_hi_u32 v10, 24, v0
	v_mul_lo_u32 v0, 24, v0
	s_delay_alu instid0(VALU_DEP_3) | instskip(SKIP_1) | instid1(VALU_DEP_2)
	v_add_nc_u32_e32 v1, v1, v9
	s_wait_loadcnt 0x0
	v_add_co_u32 v0, vcc_lo, v5, v0
	s_delay_alu instid0(VALU_DEP_2) | instskip(SKIP_1) | instid1(VALU_DEP_1)
	v_add_nc_u32_e32 v1, v1, v10
	s_wait_alu 0xfffd
	v_add_co_ci_u32_e64 v1, null, v6, v1, vcc_lo
	global_load_b64 v[5:6], v[0:1], off scope:SCOPE_SYS
	s_wait_loadcnt 0x0
	global_atomic_cmpswap_b64 v[0:1], v4, v[5:8], s[2:3] offset:24 th:TH_ATOMIC_RETURN scope:SCOPE_SYS
	s_wait_loadcnt 0x0
	global_inv scope:SCOPE_SYS
	v_cmpx_ne_u64_e64 v[0:1], v[7:8]
	s_cbranch_execz .LBB73_249
; %bb.246:
	s_mov_b32 s5, 0
.LBB73_247:                             ; =>This Inner Loop Header: Depth=1
	s_sleep 1
	s_clause 0x1
	global_load_b64 v[5:6], v4, s[2:3] offset:40
	global_load_b64 v[9:10], v4, s[2:3]
	v_dual_mov_b32 v8, v1 :: v_dual_mov_b32 v7, v0
	s_wait_loadcnt 0x1
	s_delay_alu instid0(VALU_DEP_1) | instskip(NEXT) | instid1(VALU_DEP_2)
	v_and_b32_e32 v0, v5, v7
	v_and_b32_e32 v5, v6, v8
	s_wait_loadcnt 0x0
	s_delay_alu instid0(VALU_DEP_2) | instskip(NEXT) | instid1(VALU_DEP_1)
	v_mad_co_u64_u32 v[0:1], null, v0, 24, v[9:10]
	v_mad_co_u64_u32 v[5:6], null, v5, 24, v[1:2]
	s_delay_alu instid0(VALU_DEP_1)
	v_mov_b32_e32 v1, v5
	global_load_b64 v[5:6], v[0:1], off scope:SCOPE_SYS
	s_wait_loadcnt 0x0
	global_atomic_cmpswap_b64 v[0:1], v4, v[5:8], s[2:3] offset:24 th:TH_ATOMIC_RETURN scope:SCOPE_SYS
	s_wait_loadcnt 0x0
	global_inv scope:SCOPE_SYS
	v_cmp_eq_u64_e32 vcc_lo, v[0:1], v[7:8]
	s_wait_alu 0xfffe
	s_or_b32 s5, vcc_lo, s5
	s_wait_alu 0xfffe
	s_and_not1_b32 exec_lo, exec_lo, s5
	s_cbranch_execnz .LBB73_247
; %bb.248:
	s_or_b32 exec_lo, exec_lo, s5
.LBB73_249:
	s_wait_alu 0xfffe
	s_or_b32 exec_lo, exec_lo, s4
.LBB73_250:
	s_wait_alu 0xfffe
	s_or_b32 exec_lo, exec_lo, s1
	v_readfirstlane_b32 s4, v0
	v_mov_b32_e32 v5, 0
	v_readfirstlane_b32 s5, v1
	s_mov_b32 s1, exec_lo
	s_clause 0x1
	global_load_b64 v[10:11], v5, s[2:3] offset:40
	global_load_b128 v[6:9], v5, s[2:3]
	s_wait_loadcnt 0x1
	s_wait_alu 0xf1ff
	v_and_b32_e32 v1, s5, v11
	v_and_b32_e32 v0, s4, v10
	s_delay_alu instid0(VALU_DEP_2) | instskip(NEXT) | instid1(VALU_DEP_2)
	v_mul_lo_u32 v4, 24, v1
	v_mul_lo_u32 v10, 0, v0
	v_mul_hi_u32 v11, 24, v0
	v_mul_lo_u32 v12, 24, v0
	s_delay_alu instid0(VALU_DEP_3) | instskip(SKIP_1) | instid1(VALU_DEP_2)
	v_add_nc_u32_e32 v4, v4, v10
	s_wait_loadcnt 0x0
	v_add_co_u32 v10, vcc_lo, v6, v12
	s_delay_alu instid0(VALU_DEP_2) | instskip(SKIP_1) | instid1(VALU_DEP_1)
	v_add_nc_u32_e32 v4, v4, v11
	s_wait_alu 0xfffd
	v_add_co_ci_u32_e64 v11, null, v7, v4, vcc_lo
	s_and_saveexec_b32 s6, s0
	s_cbranch_execz .LBB73_252
; %bb.251:
	s_wait_alu 0xfffe
	v_dual_mov_b32 v4, s1 :: v_dual_mov_b32 v15, 1
	v_dual_mov_b32 v14, 2 :: v_dual_mov_b32 v13, v5
	s_delay_alu instid0(VALU_DEP_2)
	v_mov_b32_e32 v12, v4
	global_store_b128 v[10:11], v[12:15], off offset:8
.LBB73_252:
	s_wait_alu 0xfffe
	s_or_b32 exec_lo, exec_lo, s6
	v_lshlrev_b64_e32 v[0:1], 12, v[0:1]
	s_mov_b32 s12, 0
	v_and_or_b32 v2, 0xffffff1f, v2, 32
	s_wait_alu 0xfffe
	s_mov_b32 s13, s12
	s_mov_b32 s14, s12
	;; [unrolled: 1-line block ×3, first 2 shown]
	v_add_co_u32 v0, vcc_lo, v8, v0
	s_wait_alu 0xfffd
	v_add_co_ci_u32_e64 v1, null, v9, v1, vcc_lo
	v_mov_b32_e32 v4, 0x347
	s_delay_alu instid0(VALU_DEP_3) | instskip(SKIP_1) | instid1(VALU_DEP_4)
	v_add_co_u32 v8, vcc_lo, v0, v30
	v_readfirstlane_b32 s6, v0
	v_readfirstlane_b32 s7, v1
	s_wait_alu 0xfffe
	v_dual_mov_b32 v12, s12 :: v_dual_mov_b32 v15, s15
	s_wait_alu 0xfffd
	v_add_co_ci_u32_e64 v9, null, 0, v1, vcc_lo
	v_dual_mov_b32 v13, s13 :: v_dual_mov_b32 v14, s14
	s_clause 0x3
	global_store_b128 v30, v[2:5], s[6:7]
	global_store_b128 v30, v[12:15], s[6:7] offset:16
	global_store_b128 v30, v[12:15], s[6:7] offset:32
	;; [unrolled: 1-line block ×3, first 2 shown]
	s_and_saveexec_b32 s1, s0
	s_cbranch_execz .LBB73_260
; %bb.253:
	v_mov_b32_e32 v12, 0
	s_mov_b32 s6, exec_lo
	s_clause 0x1
	global_load_b64 v[15:16], v12, s[2:3] offset:32 scope:SCOPE_SYS
	global_load_b64 v[0:1], v12, s[2:3] offset:40
	v_dual_mov_b32 v13, s4 :: v_dual_mov_b32 v14, s5
	s_wait_loadcnt 0x0
	v_and_b32_e32 v1, s5, v1
	v_and_b32_e32 v0, s4, v0
	s_delay_alu instid0(VALU_DEP_2) | instskip(NEXT) | instid1(VALU_DEP_2)
	v_mul_lo_u32 v1, 24, v1
	v_mul_lo_u32 v2, 0, v0
	v_mul_hi_u32 v3, 24, v0
	v_mul_lo_u32 v0, 24, v0
	s_delay_alu instid0(VALU_DEP_3) | instskip(NEXT) | instid1(VALU_DEP_2)
	v_add_nc_u32_e32 v1, v1, v2
	v_add_co_u32 v4, vcc_lo, v6, v0
	s_delay_alu instid0(VALU_DEP_2) | instskip(SKIP_1) | instid1(VALU_DEP_1)
	v_add_nc_u32_e32 v1, v1, v3
	s_wait_alu 0xfffd
	v_add_co_ci_u32_e64 v5, null, v7, v1, vcc_lo
	global_store_b64 v[4:5], v[15:16], off
	global_wb scope:SCOPE_SYS
	s_wait_storecnt 0x0
	global_atomic_cmpswap_b64 v[2:3], v12, v[13:16], s[2:3] offset:32 th:TH_ATOMIC_RETURN scope:SCOPE_SYS
	s_wait_loadcnt 0x0
	v_cmpx_ne_u64_e64 v[2:3], v[15:16]
	s_cbranch_execz .LBB73_256
; %bb.254:
	s_mov_b32 s7, 0
.LBB73_255:                             ; =>This Inner Loop Header: Depth=1
	v_dual_mov_b32 v0, s4 :: v_dual_mov_b32 v1, s5
	s_sleep 1
	global_store_b64 v[4:5], v[2:3], off
	global_wb scope:SCOPE_SYS
	s_wait_storecnt 0x0
	global_atomic_cmpswap_b64 v[0:1], v12, v[0:3], s[2:3] offset:32 th:TH_ATOMIC_RETURN scope:SCOPE_SYS
	s_wait_loadcnt 0x0
	v_cmp_eq_u64_e32 vcc_lo, v[0:1], v[2:3]
	v_dual_mov_b32 v3, v1 :: v_dual_mov_b32 v2, v0
	s_wait_alu 0xfffe
	s_or_b32 s7, vcc_lo, s7
	s_wait_alu 0xfffe
	s_and_not1_b32 exec_lo, exec_lo, s7
	s_cbranch_execnz .LBB73_255
.LBB73_256:
	s_wait_alu 0xfffe
	s_or_b32 exec_lo, exec_lo, s6
	v_mov_b32_e32 v3, 0
	s_mov_b32 s7, exec_lo
	s_mov_b32 s6, exec_lo
	s_wait_alu 0xfffe
	v_mbcnt_lo_u32_b32 v2, s7, 0
	global_load_b64 v[0:1], v3, s[2:3] offset:16
	v_cmpx_eq_u32_e32 0, v2
	s_cbranch_execz .LBB73_258
; %bb.257:
	s_bcnt1_i32_b32 s7, s7
	s_wait_alu 0xfffe
	v_mov_b32_e32 v2, s7
	global_wb scope:SCOPE_SYS
	s_wait_loadcnt 0x0
	s_wait_storecnt 0x0
	global_atomic_add_u64 v[0:1], v[2:3], off offset:8 scope:SCOPE_SYS
.LBB73_258:
	s_or_b32 exec_lo, exec_lo, s6
	s_wait_loadcnt 0x0
	global_load_b64 v[2:3], v[0:1], off offset:16
	s_wait_loadcnt 0x0
	v_cmp_eq_u64_e32 vcc_lo, 0, v[2:3]
	s_cbranch_vccnz .LBB73_260
; %bb.259:
	global_load_b32 v0, v[0:1], off offset:24
	v_mov_b32_e32 v1, 0
	s_wait_loadcnt 0x0
	v_readfirstlane_b32 s6, v0
	global_wb scope:SCOPE_SYS
	s_wait_storecnt 0x0
	global_store_b64 v[2:3], v[0:1], off scope:SCOPE_SYS
	s_and_b32 m0, s6, 0xffffff
	s_sendmsg sendmsg(MSG_INTERRUPT)
.LBB73_260:
	s_wait_alu 0xfffe
	s_or_b32 exec_lo, exec_lo, s1
	s_branch .LBB73_264
.LBB73_261:                             ;   in Loop: Header=BB73_264 Depth=1
	s_wait_alu 0xfffe
	s_or_b32 exec_lo, exec_lo, s1
	s_delay_alu instid0(VALU_DEP_1)
	v_readfirstlane_b32 s1, v0
	s_cmp_eq_u32 s1, 0
	s_cbranch_scc1 .LBB73_263
; %bb.262:                              ;   in Loop: Header=BB73_264 Depth=1
	s_sleep 1
	s_cbranch_execnz .LBB73_264
	s_branch .LBB73_266
.LBB73_263:
	s_branch .LBB73_266
.LBB73_264:                             ; =>This Inner Loop Header: Depth=1
	v_mov_b32_e32 v0, 1
	s_and_saveexec_b32 s1, s0
	s_cbranch_execz .LBB73_261
; %bb.265:                              ;   in Loop: Header=BB73_264 Depth=1
	global_load_b32 v0, v[10:11], off offset:20 scope:SCOPE_SYS
	s_wait_loadcnt 0x0
	global_inv scope:SCOPE_SYS
	v_and_b32_e32 v0, 1, v0
	s_branch .LBB73_261
.LBB73_266:
	global_load_b64 v[0:1], v[8:9], off
	s_and_saveexec_b32 s6, s0
	s_cbranch_execz .LBB73_270
; %bb.267:
	v_mov_b32_e32 v8, 0
	s_clause 0x2
	global_load_b64 v[2:3], v8, s[2:3] offset:40
	global_load_b64 v[11:12], v8, s[2:3] offset:24 scope:SCOPE_SYS
	global_load_b64 v[4:5], v8, s[2:3]
	s_wait_loadcnt 0x2
	v_readfirstlane_b32 s10, v2
	v_readfirstlane_b32 s11, v3
	s_add_nc_u64 s[0:1], s[10:11], 1
	s_wait_alu 0xfffe
	s_add_nc_u64 s[4:5], s[0:1], s[4:5]
	s_wait_alu 0xfffe
	s_cmp_eq_u64 s[4:5], 0
	s_cselect_b32 s1, s1, s5
	s_cselect_b32 s0, s0, s4
	s_wait_alu 0xfffe
	v_mov_b32_e32 v10, s1
	s_and_b64 s[4:5], s[0:1], s[10:11]
	v_mov_b32_e32 v9, s0
	s_wait_alu 0xfffe
	s_mul_u64 s[4:5], s[4:5], 24
	s_wait_loadcnt 0x0
	s_wait_alu 0xfffe
	v_add_co_u32 v6, vcc_lo, v4, s4
	s_wait_alu 0xfffd
	v_add_co_ci_u32_e64 v7, null, s5, v5, vcc_lo
	global_store_b64 v[6:7], v[11:12], off
	global_wb scope:SCOPE_SYS
	s_wait_storecnt 0x0
	global_atomic_cmpswap_b64 v[4:5], v8, v[9:12], s[2:3] offset:24 th:TH_ATOMIC_RETURN scope:SCOPE_SYS
	s_wait_loadcnt 0x0
	v_cmp_ne_u64_e32 vcc_lo, v[4:5], v[11:12]
	s_and_b32 exec_lo, exec_lo, vcc_lo
	s_cbranch_execz .LBB73_270
; %bb.268:
	s_mov_b32 s4, 0
.LBB73_269:                             ; =>This Inner Loop Header: Depth=1
	v_dual_mov_b32 v2, s0 :: v_dual_mov_b32 v3, s1
	s_sleep 1
	global_store_b64 v[6:7], v[4:5], off
	global_wb scope:SCOPE_SYS
	s_wait_storecnt 0x0
	global_atomic_cmpswap_b64 v[2:3], v8, v[2:5], s[2:3] offset:24 th:TH_ATOMIC_RETURN scope:SCOPE_SYS
	s_wait_loadcnt 0x0
	v_cmp_eq_u64_e32 vcc_lo, v[2:3], v[4:5]
	v_dual_mov_b32 v5, v3 :: v_dual_mov_b32 v4, v2
	s_wait_alu 0xfffe
	s_or_b32 s4, vcc_lo, s4
	s_wait_alu 0xfffe
	s_and_not1_b32 exec_lo, exec_lo, s4
	s_cbranch_execnz .LBB73_269
.LBB73_270:
	s_wait_alu 0xfffe
	s_or_b32 exec_lo, exec_lo, s6
	s_getpc_b64 s[0:1]
	s_wait_alu 0xfffe
	s_sext_i32_i16 s1, s1
	s_add_co_u32 s0, s0, __FUNCTION__._ZL15flash_attn_tileILi96ELi96ELi8ELi8ELb1EEvPKcS1_S1_S1_S1_PKiPfP15HIP_vector_typeIfLj2EEffffjfiS5_IjLj3EEiiiiiiiiiiiliiliiiiil@rel32@lo+12
	s_wait_alu 0xfffe
	s_add_co_ci_u32 s1, s1, __FUNCTION__._ZL15flash_attn_tileILi96ELi96ELi8ELi8ELb1EEvPKcS1_S1_S1_S1_PKiPfP15HIP_vector_typeIfLj2EEffffjfiS5_IjLj3EEiiiiiiiiiiiliiliiiiil@rel32@hi+24
	s_wait_alu 0xfffe
	v_dual_mov_b32 v2, s0 :: v_dual_mov_b32 v3, s1
	s_cmp_lg_u64 s[0:1], 0
	s_mov_b64 s[14:15], s[8:9]
	s_cselect_b32 s4, 16, 0
	s_wait_alu 0xfffe
	v_dual_mov_b32 v5, 0 :: v_dual_mov_b32 v4, s4
	s_getpc_b64 s[2:3]
	s_wait_alu 0xfffe
	s_sext_i32_i16 s3, s3
	s_add_co_u32 s2, s2, __ockl_printf_append_string_n@rel32@lo+12
	s_wait_alu 0xfffe
	s_add_co_ci_u32 s3, s3, __ockl_printf_append_string_n@rel32@hi+24
	s_wait_alu 0xfffe
	s_swappc_b64 s[30:31], s[2:3]
	v_dual_mov_b32 v2, 0x514 :: v_dual_mov_b32 v3, 0
	v_mov_b32_e32 v4, 1
	s_getpc_b64 s[0:1]
	s_wait_alu 0xfffe
	s_sext_i32_i16 s1, s1
	s_add_co_u32 s0, s0, __ockl_printf_append_args@rel32@lo+12
	s_wait_alu 0xfffe
	s_add_co_ci_u32 s1, s1, __ockl_printf_append_args@rel32@hi+24
	s_mov_b64 s[8:9], s[14:15]
	s_wait_alu 0xfffe
	s_swappc_b64 s[30:31], s[0:1]
	s_trap 2
.Lfunc_end73:
	.size	_ZL14no_device_codePKciS0_iS0_, .Lfunc_end73-_ZL14no_device_codePKciS0_iS0_
                                        ; -- End function
	.set .L_ZL14no_device_codePKciS0_iS0_.num_vgpr, max(40, .L__ockl_printf_append_string_n.num_vgpr, .L__ockl_printf_append_args.num_vgpr)
	.set .L_ZL14no_device_codePKciS0_iS0_.num_agpr, max(0, .L__ockl_printf_append_string_n.num_agpr, .L__ockl_printf_append_args.num_agpr)
	.set .L_ZL14no_device_codePKciS0_iS0_.numbered_sgpr, max(34, .L__ockl_printf_append_string_n.numbered_sgpr, .L__ockl_printf_append_args.numbered_sgpr)
	.set .L_ZL14no_device_codePKciS0_iS0_.num_named_barrier, max(0, .L__ockl_printf_append_string_n.num_named_barrier, .L__ockl_printf_append_args.num_named_barrier)
	.set .L_ZL14no_device_codePKciS0_iS0_.private_seg_size, 16+max(.L__ockl_printf_append_string_n.private_seg_size, .L__ockl_printf_append_args.private_seg_size)
	.set .L_ZL14no_device_codePKciS0_iS0_.uses_vcc, or(1, .L__ockl_printf_append_string_n.uses_vcc, .L__ockl_printf_append_args.uses_vcc)
	.set .L_ZL14no_device_codePKciS0_iS0_.uses_flat_scratch, or(0, .L__ockl_printf_append_string_n.uses_flat_scratch, .L__ockl_printf_append_args.uses_flat_scratch)
	.set .L_ZL14no_device_codePKciS0_iS0_.has_dyn_sized_stack, or(0, .L__ockl_printf_append_string_n.has_dyn_sized_stack, .L__ockl_printf_append_args.has_dyn_sized_stack)
	.set .L_ZL14no_device_codePKciS0_iS0_.has_recursion, or(0, .L__ockl_printf_append_string_n.has_recursion, .L__ockl_printf_append_args.has_recursion)
	.set .L_ZL14no_device_codePKciS0_iS0_.has_indirect_call, or(0, .L__ockl_printf_append_string_n.has_indirect_call, .L__ockl_printf_append_args.has_indirect_call)
	.section	.AMDGPU.csdata,"",@progbits
; Function info:
; codeLenInByte = 12692
; TotalNumSgprs: 36
; NumVgprs: 40
; ScratchSize: 16
; MemoryBound: 0
	.section	.text._ZL15flash_attn_tileILi96ELi96ELi8ELi8ELb1EEvPKcS1_S1_S1_S1_PKiPfP15HIP_vector_typeIfLj2EEffffjfiS5_IjLj3EEiiiiiiiiiiiliiliiiiil,"axG",@progbits,_ZL15flash_attn_tileILi96ELi96ELi8ELi8ELb1EEvPKcS1_S1_S1_S1_PKiPfP15HIP_vector_typeIfLj2EEffffjfiS5_IjLj3EEiiiiiiiiiiiliiliiiiil,comdat
	.globl	_ZL15flash_attn_tileILi96ELi96ELi8ELi8ELb1EEvPKcS1_S1_S1_S1_PKiPfP15HIP_vector_typeIfLj2EEffffjfiS5_IjLj3EEiiiiiiiiiiiliiliiiiil ; -- Begin function _ZL15flash_attn_tileILi96ELi96ELi8ELi8ELb1EEvPKcS1_S1_S1_S1_PKiPfP15HIP_vector_typeIfLj2EEffffjfiS5_IjLj3EEiiiiiiiiiiiliiliiiiil
	.p2align	8
	.type	_ZL15flash_attn_tileILi96ELi96ELi8ELi8ELb1EEvPKcS1_S1_S1_S1_PKiPfP15HIP_vector_typeIfLj2EEffffjfiS5_IjLj3EEiiiiiiiiiiiliiliiiiil,@function
_ZL15flash_attn_tileILi96ELi96ELi8ELi8ELb1EEvPKcS1_S1_S1_S1_PKiPfP15HIP_vector_typeIfLj2EEffffjfiS5_IjLj3EEiiiiiiiiiiiliiliiiiil: ; @_ZL15flash_attn_tileILi96ELi96ELi8ELi8ELb1EEvPKcS1_S1_S1_S1_PKiPfP15HIP_vector_typeIfLj2EEffffjfiS5_IjLj3EEiiiiiiiiiiiliiliiiiil
; %bb.0:
	s_getpc_b64 s[2:3]
	s_sext_i32_i16 s3, s3
	s_add_co_u32 s2, s2, _ZL14no_device_codePKciS0_iS0_@rel32@lo+8
	s_add_co_ci_u32 s3, s3, _ZL14no_device_codePKciS0_iS0_@rel32@hi+16
	s_add_nc_u64 s[8:9], s[0:1], 0xd0
	s_mov_b32 s32, 0
	s_swappc_b64 s[30:31], s[2:3]
	.section	.rodata,"a",@progbits
	.p2align	6, 0x0
	.amdhsa_kernel _ZL15flash_attn_tileILi96ELi96ELi8ELi8ELb1EEvPKcS1_S1_S1_S1_PKiPfP15HIP_vector_typeIfLj2EEffffjfiS5_IjLj3EEiiiiiiiiiiiliiliiiiil
		.amdhsa_group_segment_fixed_size 0
		.amdhsa_private_segment_fixed_size 16
		.amdhsa_kernarg_size 464
		.amdhsa_user_sgpr_count 2
		.amdhsa_user_sgpr_dispatch_ptr 0
		.amdhsa_user_sgpr_queue_ptr 0
		.amdhsa_user_sgpr_kernarg_segment_ptr 1
		.amdhsa_user_sgpr_dispatch_id 0
		.amdhsa_user_sgpr_private_segment_size 0
		.amdhsa_wavefront_size32 1
		.amdhsa_uses_dynamic_stack 0
		.amdhsa_enable_private_segment 1
		.amdhsa_system_sgpr_workgroup_id_x 1
		.amdhsa_system_sgpr_workgroup_id_y 0
		.amdhsa_system_sgpr_workgroup_id_z 0
		.amdhsa_system_sgpr_workgroup_info 0
		.amdhsa_system_vgpr_workitem_id 0
		.amdhsa_next_free_vgpr 40
		.amdhsa_next_free_sgpr 34
		.amdhsa_reserve_vcc 1
		.amdhsa_float_round_mode_32 0
		.amdhsa_float_round_mode_16_64 0
		.amdhsa_float_denorm_mode_32 3
		.amdhsa_float_denorm_mode_16_64 3
		.amdhsa_fp16_overflow 0
		.amdhsa_workgroup_processor_mode 1
		.amdhsa_memory_ordered 1
		.amdhsa_forward_progress 1
		.amdhsa_inst_pref_size 1
		.amdhsa_round_robin_scheduling 0
		.amdhsa_exception_fp_ieee_invalid_op 0
		.amdhsa_exception_fp_denorm_src 0
		.amdhsa_exception_fp_ieee_div_zero 0
		.amdhsa_exception_fp_ieee_overflow 0
		.amdhsa_exception_fp_ieee_underflow 0
		.amdhsa_exception_fp_ieee_inexact 0
		.amdhsa_exception_int_div_zero 0
	.end_amdhsa_kernel
	.section	.text._ZL15flash_attn_tileILi96ELi96ELi8ELi8ELb1EEvPKcS1_S1_S1_S1_PKiPfP15HIP_vector_typeIfLj2EEffffjfiS5_IjLj3EEiiiiiiiiiiiliiliiiiil,"axG",@progbits,_ZL15flash_attn_tileILi96ELi96ELi8ELi8ELb1EEvPKcS1_S1_S1_S1_PKiPfP15HIP_vector_typeIfLj2EEffffjfiS5_IjLj3EEiiiiiiiiiiiliiliiiiil,comdat
.Lfunc_end74:
	.size	_ZL15flash_attn_tileILi96ELi96ELi8ELi8ELb1EEvPKcS1_S1_S1_S1_PKiPfP15HIP_vector_typeIfLj2EEffffjfiS5_IjLj3EEiiiiiiiiiiiliiliiiiil, .Lfunc_end74-_ZL15flash_attn_tileILi96ELi96ELi8ELi8ELb1EEvPKcS1_S1_S1_S1_PKiPfP15HIP_vector_typeIfLj2EEffffjfiS5_IjLj3EEiiiiiiiiiiiliiliiiiil
                                        ; -- End function
	.set _ZL15flash_attn_tileILi96ELi96ELi8ELi8ELb1EEvPKcS1_S1_S1_S1_PKiPfP15HIP_vector_typeIfLj2EEffffjfiS5_IjLj3EEiiiiiiiiiiiliiliiiiil.num_vgpr, max(0, .L_ZL14no_device_codePKciS0_iS0_.num_vgpr)
	.set _ZL15flash_attn_tileILi96ELi96ELi8ELi8ELb1EEvPKcS1_S1_S1_S1_PKiPfP15HIP_vector_typeIfLj2EEffffjfiS5_IjLj3EEiiiiiiiiiiiliiliiiiil.num_agpr, max(0, .L_ZL14no_device_codePKciS0_iS0_.num_agpr)
	.set _ZL15flash_attn_tileILi96ELi96ELi8ELi8ELb1EEvPKcS1_S1_S1_S1_PKiPfP15HIP_vector_typeIfLj2EEffffjfiS5_IjLj3EEiiiiiiiiiiiliiliiiiil.numbered_sgpr, max(33, .L_ZL14no_device_codePKciS0_iS0_.numbered_sgpr)
	.set _ZL15flash_attn_tileILi96ELi96ELi8ELi8ELb1EEvPKcS1_S1_S1_S1_PKiPfP15HIP_vector_typeIfLj2EEffffjfiS5_IjLj3EEiiiiiiiiiiiliiliiiiil.num_named_barrier, max(0, .L_ZL14no_device_codePKciS0_iS0_.num_named_barrier)
	.set _ZL15flash_attn_tileILi96ELi96ELi8ELi8ELb1EEvPKcS1_S1_S1_S1_PKiPfP15HIP_vector_typeIfLj2EEffffjfiS5_IjLj3EEiiiiiiiiiiiliiliiiiil.private_seg_size, 0+max(.L_ZL14no_device_codePKciS0_iS0_.private_seg_size)
	.set _ZL15flash_attn_tileILi96ELi96ELi8ELi8ELb1EEvPKcS1_S1_S1_S1_PKiPfP15HIP_vector_typeIfLj2EEffffjfiS5_IjLj3EEiiiiiiiiiiiliiliiiiil.uses_vcc, or(1, .L_ZL14no_device_codePKciS0_iS0_.uses_vcc)
	.set _ZL15flash_attn_tileILi96ELi96ELi8ELi8ELb1EEvPKcS1_S1_S1_S1_PKiPfP15HIP_vector_typeIfLj2EEffffjfiS5_IjLj3EEiiiiiiiiiiiliiliiiiil.uses_flat_scratch, or(0, .L_ZL14no_device_codePKciS0_iS0_.uses_flat_scratch)
	.set _ZL15flash_attn_tileILi96ELi96ELi8ELi8ELb1EEvPKcS1_S1_S1_S1_PKiPfP15HIP_vector_typeIfLj2EEffffjfiS5_IjLj3EEiiiiiiiiiiiliiliiiiil.has_dyn_sized_stack, or(0, .L_ZL14no_device_codePKciS0_iS0_.has_dyn_sized_stack)
	.set _ZL15flash_attn_tileILi96ELi96ELi8ELi8ELb1EEvPKcS1_S1_S1_S1_PKiPfP15HIP_vector_typeIfLj2EEffffjfiS5_IjLj3EEiiiiiiiiiiiliiliiiiil.has_recursion, or(0, .L_ZL14no_device_codePKciS0_iS0_.has_recursion)
	.set _ZL15flash_attn_tileILi96ELi96ELi8ELi8ELb1EEvPKcS1_S1_S1_S1_PKiPfP15HIP_vector_typeIfLj2EEffffjfiS5_IjLj3EEiiiiiiiiiiiliiliiiiil.has_indirect_call, or(0, .L_ZL14no_device_codePKciS0_iS0_.has_indirect_call)
	.section	.AMDGPU.csdata,"",@progbits
; Kernel info:
; codeLenInByte = 40
; TotalNumSgprs: 36
; NumVgprs: 40
; ScratchSize: 16
; MemoryBound: 0
; FloatMode: 240
; IeeeMode: 1
; LDSByteSize: 0 bytes/workgroup (compile time only)
; SGPRBlocks: 0
; VGPRBlocks: 4
; NumSGPRsForWavesPerEU: 36
; NumVGPRsForWavesPerEU: 40
; Occupancy: 16
; WaveLimiterHint : 1
; COMPUTE_PGM_RSRC2:SCRATCH_EN: 1
; COMPUTE_PGM_RSRC2:USER_SGPR: 2
; COMPUTE_PGM_RSRC2:TRAP_HANDLER: 0
; COMPUTE_PGM_RSRC2:TGID_X_EN: 1
; COMPUTE_PGM_RSRC2:TGID_Y_EN: 0
; COMPUTE_PGM_RSRC2:TGID_Z_EN: 0
; COMPUTE_PGM_RSRC2:TIDIG_COMP_CNT: 0
	.section	.text._ZL15flash_attn_tileILi96ELi96ELi4ELi8ELb1EEvPKcS1_S1_S1_S1_PKiPfP15HIP_vector_typeIfLj2EEffffjfiS5_IjLj3EEiiiiiiiiiiiliiliiiiil,"axG",@progbits,_ZL15flash_attn_tileILi96ELi96ELi4ELi8ELb1EEvPKcS1_S1_S1_S1_PKiPfP15HIP_vector_typeIfLj2EEffffjfiS5_IjLj3EEiiiiiiiiiiiliiliiiiil,comdat
	.globl	_ZL15flash_attn_tileILi96ELi96ELi4ELi8ELb1EEvPKcS1_S1_S1_S1_PKiPfP15HIP_vector_typeIfLj2EEffffjfiS5_IjLj3EEiiiiiiiiiiiliiliiiiil ; -- Begin function _ZL15flash_attn_tileILi96ELi96ELi4ELi8ELb1EEvPKcS1_S1_S1_S1_PKiPfP15HIP_vector_typeIfLj2EEffffjfiS5_IjLj3EEiiiiiiiiiiiliiliiiiil
	.p2align	8
	.type	_ZL15flash_attn_tileILi96ELi96ELi4ELi8ELb1EEvPKcS1_S1_S1_S1_PKiPfP15HIP_vector_typeIfLj2EEffffjfiS5_IjLj3EEiiiiiiiiiiiliiliiiiil,@function
_ZL15flash_attn_tileILi96ELi96ELi4ELi8ELb1EEvPKcS1_S1_S1_S1_PKiPfP15HIP_vector_typeIfLj2EEffffjfiS5_IjLj3EEiiiiiiiiiiiliiliiiiil: ; @_ZL15flash_attn_tileILi96ELi96ELi4ELi8ELb1EEvPKcS1_S1_S1_S1_PKiPfP15HIP_vector_typeIfLj2EEffffjfiS5_IjLj3EEiiiiiiiiiiiliiliiiiil
; %bb.0:
	s_getpc_b64 s[2:3]
	s_sext_i32_i16 s3, s3
	s_add_co_u32 s2, s2, _ZL14no_device_codePKciS0_iS0_@rel32@lo+8
	s_add_co_ci_u32 s3, s3, _ZL14no_device_codePKciS0_iS0_@rel32@hi+16
	s_add_nc_u64 s[8:9], s[0:1], 0xd0
	s_mov_b32 s32, 0
	s_swappc_b64 s[30:31], s[2:3]
	.section	.rodata,"a",@progbits
	.p2align	6, 0x0
	.amdhsa_kernel _ZL15flash_attn_tileILi96ELi96ELi4ELi8ELb1EEvPKcS1_S1_S1_S1_PKiPfP15HIP_vector_typeIfLj2EEffffjfiS5_IjLj3EEiiiiiiiiiiiliiliiiiil
		.amdhsa_group_segment_fixed_size 0
		.amdhsa_private_segment_fixed_size 16
		.amdhsa_kernarg_size 464
		.amdhsa_user_sgpr_count 2
		.amdhsa_user_sgpr_dispatch_ptr 0
		.amdhsa_user_sgpr_queue_ptr 0
		.amdhsa_user_sgpr_kernarg_segment_ptr 1
		.amdhsa_user_sgpr_dispatch_id 0
		.amdhsa_user_sgpr_private_segment_size 0
		.amdhsa_wavefront_size32 1
		.amdhsa_uses_dynamic_stack 0
		.amdhsa_enable_private_segment 1
		.amdhsa_system_sgpr_workgroup_id_x 1
		.amdhsa_system_sgpr_workgroup_id_y 0
		.amdhsa_system_sgpr_workgroup_id_z 0
		.amdhsa_system_sgpr_workgroup_info 0
		.amdhsa_system_vgpr_workitem_id 0
		.amdhsa_next_free_vgpr 40
		.amdhsa_next_free_sgpr 34
		.amdhsa_reserve_vcc 1
		.amdhsa_float_round_mode_32 0
		.amdhsa_float_round_mode_16_64 0
		.amdhsa_float_denorm_mode_32 3
		.amdhsa_float_denorm_mode_16_64 3
		.amdhsa_fp16_overflow 0
		.amdhsa_workgroup_processor_mode 1
		.amdhsa_memory_ordered 1
		.amdhsa_forward_progress 1
		.amdhsa_inst_pref_size 1
		.amdhsa_round_robin_scheduling 0
		.amdhsa_exception_fp_ieee_invalid_op 0
		.amdhsa_exception_fp_denorm_src 0
		.amdhsa_exception_fp_ieee_div_zero 0
		.amdhsa_exception_fp_ieee_overflow 0
		.amdhsa_exception_fp_ieee_underflow 0
		.amdhsa_exception_fp_ieee_inexact 0
		.amdhsa_exception_int_div_zero 0
	.end_amdhsa_kernel
	.section	.text._ZL15flash_attn_tileILi96ELi96ELi4ELi8ELb1EEvPKcS1_S1_S1_S1_PKiPfP15HIP_vector_typeIfLj2EEffffjfiS5_IjLj3EEiiiiiiiiiiiliiliiiiil,"axG",@progbits,_ZL15flash_attn_tileILi96ELi96ELi4ELi8ELb1EEvPKcS1_S1_S1_S1_PKiPfP15HIP_vector_typeIfLj2EEffffjfiS5_IjLj3EEiiiiiiiiiiiliiliiiiil,comdat
.Lfunc_end75:
	.size	_ZL15flash_attn_tileILi96ELi96ELi4ELi8ELb1EEvPKcS1_S1_S1_S1_PKiPfP15HIP_vector_typeIfLj2EEffffjfiS5_IjLj3EEiiiiiiiiiiiliiliiiiil, .Lfunc_end75-_ZL15flash_attn_tileILi96ELi96ELi4ELi8ELb1EEvPKcS1_S1_S1_S1_PKiPfP15HIP_vector_typeIfLj2EEffffjfiS5_IjLj3EEiiiiiiiiiiiliiliiiiil
                                        ; -- End function
	.set _ZL15flash_attn_tileILi96ELi96ELi4ELi8ELb1EEvPKcS1_S1_S1_S1_PKiPfP15HIP_vector_typeIfLj2EEffffjfiS5_IjLj3EEiiiiiiiiiiiliiliiiiil.num_vgpr, max(0, .L_ZL14no_device_codePKciS0_iS0_.num_vgpr)
	.set _ZL15flash_attn_tileILi96ELi96ELi4ELi8ELb1EEvPKcS1_S1_S1_S1_PKiPfP15HIP_vector_typeIfLj2EEffffjfiS5_IjLj3EEiiiiiiiiiiiliiliiiiil.num_agpr, max(0, .L_ZL14no_device_codePKciS0_iS0_.num_agpr)
	.set _ZL15flash_attn_tileILi96ELi96ELi4ELi8ELb1EEvPKcS1_S1_S1_S1_PKiPfP15HIP_vector_typeIfLj2EEffffjfiS5_IjLj3EEiiiiiiiiiiiliiliiiiil.numbered_sgpr, max(33, .L_ZL14no_device_codePKciS0_iS0_.numbered_sgpr)
	.set _ZL15flash_attn_tileILi96ELi96ELi4ELi8ELb1EEvPKcS1_S1_S1_S1_PKiPfP15HIP_vector_typeIfLj2EEffffjfiS5_IjLj3EEiiiiiiiiiiiliiliiiiil.num_named_barrier, max(0, .L_ZL14no_device_codePKciS0_iS0_.num_named_barrier)
	.set _ZL15flash_attn_tileILi96ELi96ELi4ELi8ELb1EEvPKcS1_S1_S1_S1_PKiPfP15HIP_vector_typeIfLj2EEffffjfiS5_IjLj3EEiiiiiiiiiiiliiliiiiil.private_seg_size, 0+max(.L_ZL14no_device_codePKciS0_iS0_.private_seg_size)
	.set _ZL15flash_attn_tileILi96ELi96ELi4ELi8ELb1EEvPKcS1_S1_S1_S1_PKiPfP15HIP_vector_typeIfLj2EEffffjfiS5_IjLj3EEiiiiiiiiiiiliiliiiiil.uses_vcc, or(1, .L_ZL14no_device_codePKciS0_iS0_.uses_vcc)
	.set _ZL15flash_attn_tileILi96ELi96ELi4ELi8ELb1EEvPKcS1_S1_S1_S1_PKiPfP15HIP_vector_typeIfLj2EEffffjfiS5_IjLj3EEiiiiiiiiiiiliiliiiiil.uses_flat_scratch, or(0, .L_ZL14no_device_codePKciS0_iS0_.uses_flat_scratch)
	.set _ZL15flash_attn_tileILi96ELi96ELi4ELi8ELb1EEvPKcS1_S1_S1_S1_PKiPfP15HIP_vector_typeIfLj2EEffffjfiS5_IjLj3EEiiiiiiiiiiiliiliiiiil.has_dyn_sized_stack, or(0, .L_ZL14no_device_codePKciS0_iS0_.has_dyn_sized_stack)
	.set _ZL15flash_attn_tileILi96ELi96ELi4ELi8ELb1EEvPKcS1_S1_S1_S1_PKiPfP15HIP_vector_typeIfLj2EEffffjfiS5_IjLj3EEiiiiiiiiiiiliiliiiiil.has_recursion, or(0, .L_ZL14no_device_codePKciS0_iS0_.has_recursion)
	.set _ZL15flash_attn_tileILi96ELi96ELi4ELi8ELb1EEvPKcS1_S1_S1_S1_PKiPfP15HIP_vector_typeIfLj2EEffffjfiS5_IjLj3EEiiiiiiiiiiiliiliiiiil.has_indirect_call, or(0, .L_ZL14no_device_codePKciS0_iS0_.has_indirect_call)
	.section	.AMDGPU.csdata,"",@progbits
; Kernel info:
; codeLenInByte = 40
; TotalNumSgprs: 36
; NumVgprs: 40
; ScratchSize: 16
; MemoryBound: 0
; FloatMode: 240
; IeeeMode: 1
; LDSByteSize: 0 bytes/workgroup (compile time only)
; SGPRBlocks: 0
; VGPRBlocks: 4
; NumSGPRsForWavesPerEU: 36
; NumVGPRsForWavesPerEU: 40
; Occupancy: 16
; WaveLimiterHint : 1
; COMPUTE_PGM_RSRC2:SCRATCH_EN: 1
; COMPUTE_PGM_RSRC2:USER_SGPR: 2
; COMPUTE_PGM_RSRC2:TRAP_HANDLER: 0
; COMPUTE_PGM_RSRC2:TGID_X_EN: 1
; COMPUTE_PGM_RSRC2:TGID_Y_EN: 0
; COMPUTE_PGM_RSRC2:TGID_Z_EN: 0
; COMPUTE_PGM_RSRC2:TIDIG_COMP_CNT: 0
	.section	.text._ZL15flash_attn_tileILi96ELi96ELi2ELi8ELb1EEvPKcS1_S1_S1_S1_PKiPfP15HIP_vector_typeIfLj2EEffffjfiS5_IjLj3EEiiiiiiiiiiiliiliiiiil,"axG",@progbits,_ZL15flash_attn_tileILi96ELi96ELi2ELi8ELb1EEvPKcS1_S1_S1_S1_PKiPfP15HIP_vector_typeIfLj2EEffffjfiS5_IjLj3EEiiiiiiiiiiiliiliiiiil,comdat
	.globl	_ZL15flash_attn_tileILi96ELi96ELi2ELi8ELb1EEvPKcS1_S1_S1_S1_PKiPfP15HIP_vector_typeIfLj2EEffffjfiS5_IjLj3EEiiiiiiiiiiiliiliiiiil ; -- Begin function _ZL15flash_attn_tileILi96ELi96ELi2ELi8ELb1EEvPKcS1_S1_S1_S1_PKiPfP15HIP_vector_typeIfLj2EEffffjfiS5_IjLj3EEiiiiiiiiiiiliiliiiiil
	.p2align	8
	.type	_ZL15flash_attn_tileILi96ELi96ELi2ELi8ELb1EEvPKcS1_S1_S1_S1_PKiPfP15HIP_vector_typeIfLj2EEffffjfiS5_IjLj3EEiiiiiiiiiiiliiliiiiil,@function
_ZL15flash_attn_tileILi96ELi96ELi2ELi8ELb1EEvPKcS1_S1_S1_S1_PKiPfP15HIP_vector_typeIfLj2EEffffjfiS5_IjLj3EEiiiiiiiiiiiliiliiiiil: ; @_ZL15flash_attn_tileILi96ELi96ELi2ELi8ELb1EEvPKcS1_S1_S1_S1_PKiPfP15HIP_vector_typeIfLj2EEffffjfiS5_IjLj3EEiiiiiiiiiiiliiliiiiil
; %bb.0:
	s_getpc_b64 s[2:3]
	s_sext_i32_i16 s3, s3
	s_add_co_u32 s2, s2, _ZL14no_device_codePKciS0_iS0_@rel32@lo+8
	s_add_co_ci_u32 s3, s3, _ZL14no_device_codePKciS0_iS0_@rel32@hi+16
	s_add_nc_u64 s[8:9], s[0:1], 0xd0
	s_mov_b32 s32, 0
	s_swappc_b64 s[30:31], s[2:3]
	.section	.rodata,"a",@progbits
	.p2align	6, 0x0
	.amdhsa_kernel _ZL15flash_attn_tileILi96ELi96ELi2ELi8ELb1EEvPKcS1_S1_S1_S1_PKiPfP15HIP_vector_typeIfLj2EEffffjfiS5_IjLj3EEiiiiiiiiiiiliiliiiiil
		.amdhsa_group_segment_fixed_size 0
		.amdhsa_private_segment_fixed_size 16
		.amdhsa_kernarg_size 464
		.amdhsa_user_sgpr_count 2
		.amdhsa_user_sgpr_dispatch_ptr 0
		.amdhsa_user_sgpr_queue_ptr 0
		.amdhsa_user_sgpr_kernarg_segment_ptr 1
		.amdhsa_user_sgpr_dispatch_id 0
		.amdhsa_user_sgpr_private_segment_size 0
		.amdhsa_wavefront_size32 1
		.amdhsa_uses_dynamic_stack 0
		.amdhsa_enable_private_segment 1
		.amdhsa_system_sgpr_workgroup_id_x 1
		.amdhsa_system_sgpr_workgroup_id_y 0
		.amdhsa_system_sgpr_workgroup_id_z 0
		.amdhsa_system_sgpr_workgroup_info 0
		.amdhsa_system_vgpr_workitem_id 0
		.amdhsa_next_free_vgpr 40
		.amdhsa_next_free_sgpr 34
		.amdhsa_reserve_vcc 1
		.amdhsa_float_round_mode_32 0
		.amdhsa_float_round_mode_16_64 0
		.amdhsa_float_denorm_mode_32 3
		.amdhsa_float_denorm_mode_16_64 3
		.amdhsa_fp16_overflow 0
		.amdhsa_workgroup_processor_mode 1
		.amdhsa_memory_ordered 1
		.amdhsa_forward_progress 1
		.amdhsa_inst_pref_size 1
		.amdhsa_round_robin_scheduling 0
		.amdhsa_exception_fp_ieee_invalid_op 0
		.amdhsa_exception_fp_denorm_src 0
		.amdhsa_exception_fp_ieee_div_zero 0
		.amdhsa_exception_fp_ieee_overflow 0
		.amdhsa_exception_fp_ieee_underflow 0
		.amdhsa_exception_fp_ieee_inexact 0
		.amdhsa_exception_int_div_zero 0
	.end_amdhsa_kernel
	.section	.text._ZL15flash_attn_tileILi96ELi96ELi2ELi8ELb1EEvPKcS1_S1_S1_S1_PKiPfP15HIP_vector_typeIfLj2EEffffjfiS5_IjLj3EEiiiiiiiiiiiliiliiiiil,"axG",@progbits,_ZL15flash_attn_tileILi96ELi96ELi2ELi8ELb1EEvPKcS1_S1_S1_S1_PKiPfP15HIP_vector_typeIfLj2EEffffjfiS5_IjLj3EEiiiiiiiiiiiliiliiiiil,comdat
.Lfunc_end76:
	.size	_ZL15flash_attn_tileILi96ELi96ELi2ELi8ELb1EEvPKcS1_S1_S1_S1_PKiPfP15HIP_vector_typeIfLj2EEffffjfiS5_IjLj3EEiiiiiiiiiiiliiliiiiil, .Lfunc_end76-_ZL15flash_attn_tileILi96ELi96ELi2ELi8ELb1EEvPKcS1_S1_S1_S1_PKiPfP15HIP_vector_typeIfLj2EEffffjfiS5_IjLj3EEiiiiiiiiiiiliiliiiiil
                                        ; -- End function
	.set _ZL15flash_attn_tileILi96ELi96ELi2ELi8ELb1EEvPKcS1_S1_S1_S1_PKiPfP15HIP_vector_typeIfLj2EEffffjfiS5_IjLj3EEiiiiiiiiiiiliiliiiiil.num_vgpr, max(0, .L_ZL14no_device_codePKciS0_iS0_.num_vgpr)
	.set _ZL15flash_attn_tileILi96ELi96ELi2ELi8ELb1EEvPKcS1_S1_S1_S1_PKiPfP15HIP_vector_typeIfLj2EEffffjfiS5_IjLj3EEiiiiiiiiiiiliiliiiiil.num_agpr, max(0, .L_ZL14no_device_codePKciS0_iS0_.num_agpr)
	.set _ZL15flash_attn_tileILi96ELi96ELi2ELi8ELb1EEvPKcS1_S1_S1_S1_PKiPfP15HIP_vector_typeIfLj2EEffffjfiS5_IjLj3EEiiiiiiiiiiiliiliiiiil.numbered_sgpr, max(33, .L_ZL14no_device_codePKciS0_iS0_.numbered_sgpr)
	.set _ZL15flash_attn_tileILi96ELi96ELi2ELi8ELb1EEvPKcS1_S1_S1_S1_PKiPfP15HIP_vector_typeIfLj2EEffffjfiS5_IjLj3EEiiiiiiiiiiiliiliiiiil.num_named_barrier, max(0, .L_ZL14no_device_codePKciS0_iS0_.num_named_barrier)
	.set _ZL15flash_attn_tileILi96ELi96ELi2ELi8ELb1EEvPKcS1_S1_S1_S1_PKiPfP15HIP_vector_typeIfLj2EEffffjfiS5_IjLj3EEiiiiiiiiiiiliiliiiiil.private_seg_size, 0+max(.L_ZL14no_device_codePKciS0_iS0_.private_seg_size)
	.set _ZL15flash_attn_tileILi96ELi96ELi2ELi8ELb1EEvPKcS1_S1_S1_S1_PKiPfP15HIP_vector_typeIfLj2EEffffjfiS5_IjLj3EEiiiiiiiiiiiliiliiiiil.uses_vcc, or(1, .L_ZL14no_device_codePKciS0_iS0_.uses_vcc)
	.set _ZL15flash_attn_tileILi96ELi96ELi2ELi8ELb1EEvPKcS1_S1_S1_S1_PKiPfP15HIP_vector_typeIfLj2EEffffjfiS5_IjLj3EEiiiiiiiiiiiliiliiiiil.uses_flat_scratch, or(0, .L_ZL14no_device_codePKciS0_iS0_.uses_flat_scratch)
	.set _ZL15flash_attn_tileILi96ELi96ELi2ELi8ELb1EEvPKcS1_S1_S1_S1_PKiPfP15HIP_vector_typeIfLj2EEffffjfiS5_IjLj3EEiiiiiiiiiiiliiliiiiil.has_dyn_sized_stack, or(0, .L_ZL14no_device_codePKciS0_iS0_.has_dyn_sized_stack)
	.set _ZL15flash_attn_tileILi96ELi96ELi2ELi8ELb1EEvPKcS1_S1_S1_S1_PKiPfP15HIP_vector_typeIfLj2EEffffjfiS5_IjLj3EEiiiiiiiiiiiliiliiiiil.has_recursion, or(0, .L_ZL14no_device_codePKciS0_iS0_.has_recursion)
	.set _ZL15flash_attn_tileILi96ELi96ELi2ELi8ELb1EEvPKcS1_S1_S1_S1_PKiPfP15HIP_vector_typeIfLj2EEffffjfiS5_IjLj3EEiiiiiiiiiiiliiliiiiil.has_indirect_call, or(0, .L_ZL14no_device_codePKciS0_iS0_.has_indirect_call)
	.section	.AMDGPU.csdata,"",@progbits
; Kernel info:
; codeLenInByte = 40
; TotalNumSgprs: 36
; NumVgprs: 40
; ScratchSize: 16
; MemoryBound: 0
; FloatMode: 240
; IeeeMode: 1
; LDSByteSize: 0 bytes/workgroup (compile time only)
; SGPRBlocks: 0
; VGPRBlocks: 4
; NumSGPRsForWavesPerEU: 36
; NumVGPRsForWavesPerEU: 40
; Occupancy: 16
; WaveLimiterHint : 1
; COMPUTE_PGM_RSRC2:SCRATCH_EN: 1
; COMPUTE_PGM_RSRC2:USER_SGPR: 2
; COMPUTE_PGM_RSRC2:TRAP_HANDLER: 0
; COMPUTE_PGM_RSRC2:TGID_X_EN: 1
; COMPUTE_PGM_RSRC2:TGID_Y_EN: 0
; COMPUTE_PGM_RSRC2:TGID_Z_EN: 0
; COMPUTE_PGM_RSRC2:TIDIG_COMP_CNT: 0
	.section	.text._ZL15flash_attn_tileILi96ELi96ELi1ELi8ELb1EEvPKcS1_S1_S1_S1_PKiPfP15HIP_vector_typeIfLj2EEffffjfiS5_IjLj3EEiiiiiiiiiiiliiliiiiil,"axG",@progbits,_ZL15flash_attn_tileILi96ELi96ELi1ELi8ELb1EEvPKcS1_S1_S1_S1_PKiPfP15HIP_vector_typeIfLj2EEffffjfiS5_IjLj3EEiiiiiiiiiiiliiliiiiil,comdat
	.globl	_ZL15flash_attn_tileILi96ELi96ELi1ELi8ELb1EEvPKcS1_S1_S1_S1_PKiPfP15HIP_vector_typeIfLj2EEffffjfiS5_IjLj3EEiiiiiiiiiiiliiliiiiil ; -- Begin function _ZL15flash_attn_tileILi96ELi96ELi1ELi8ELb1EEvPKcS1_S1_S1_S1_PKiPfP15HIP_vector_typeIfLj2EEffffjfiS5_IjLj3EEiiiiiiiiiiiliiliiiiil
	.p2align	8
	.type	_ZL15flash_attn_tileILi96ELi96ELi1ELi8ELb1EEvPKcS1_S1_S1_S1_PKiPfP15HIP_vector_typeIfLj2EEffffjfiS5_IjLj3EEiiiiiiiiiiiliiliiiiil,@function
_ZL15flash_attn_tileILi96ELi96ELi1ELi8ELb1EEvPKcS1_S1_S1_S1_PKiPfP15HIP_vector_typeIfLj2EEffffjfiS5_IjLj3EEiiiiiiiiiiiliiliiiiil: ; @_ZL15flash_attn_tileILi96ELi96ELi1ELi8ELb1EEvPKcS1_S1_S1_S1_PKiPfP15HIP_vector_typeIfLj2EEffffjfiS5_IjLj3EEiiiiiiiiiiiliiliiiiil
; %bb.0:
	s_getpc_b64 s[2:3]
	s_sext_i32_i16 s3, s3
	s_add_co_u32 s2, s2, _ZL14no_device_codePKciS0_iS0_@rel32@lo+8
	s_add_co_ci_u32 s3, s3, _ZL14no_device_codePKciS0_iS0_@rel32@hi+16
	s_add_nc_u64 s[8:9], s[0:1], 0xd0
	s_mov_b32 s32, 0
	s_swappc_b64 s[30:31], s[2:3]
	.section	.rodata,"a",@progbits
	.p2align	6, 0x0
	.amdhsa_kernel _ZL15flash_attn_tileILi96ELi96ELi1ELi8ELb1EEvPKcS1_S1_S1_S1_PKiPfP15HIP_vector_typeIfLj2EEffffjfiS5_IjLj3EEiiiiiiiiiiiliiliiiiil
		.amdhsa_group_segment_fixed_size 0
		.amdhsa_private_segment_fixed_size 16
		.amdhsa_kernarg_size 464
		.amdhsa_user_sgpr_count 2
		.amdhsa_user_sgpr_dispatch_ptr 0
		.amdhsa_user_sgpr_queue_ptr 0
		.amdhsa_user_sgpr_kernarg_segment_ptr 1
		.amdhsa_user_sgpr_dispatch_id 0
		.amdhsa_user_sgpr_private_segment_size 0
		.amdhsa_wavefront_size32 1
		.amdhsa_uses_dynamic_stack 0
		.amdhsa_enable_private_segment 1
		.amdhsa_system_sgpr_workgroup_id_x 1
		.amdhsa_system_sgpr_workgroup_id_y 0
		.amdhsa_system_sgpr_workgroup_id_z 0
		.amdhsa_system_sgpr_workgroup_info 0
		.amdhsa_system_vgpr_workitem_id 0
		.amdhsa_next_free_vgpr 40
		.amdhsa_next_free_sgpr 34
		.amdhsa_reserve_vcc 1
		.amdhsa_float_round_mode_32 0
		.amdhsa_float_round_mode_16_64 0
		.amdhsa_float_denorm_mode_32 3
		.amdhsa_float_denorm_mode_16_64 3
		.amdhsa_fp16_overflow 0
		.amdhsa_workgroup_processor_mode 1
		.amdhsa_memory_ordered 1
		.amdhsa_forward_progress 1
		.amdhsa_inst_pref_size 1
		.amdhsa_round_robin_scheduling 0
		.amdhsa_exception_fp_ieee_invalid_op 0
		.amdhsa_exception_fp_denorm_src 0
		.amdhsa_exception_fp_ieee_div_zero 0
		.amdhsa_exception_fp_ieee_overflow 0
		.amdhsa_exception_fp_ieee_underflow 0
		.amdhsa_exception_fp_ieee_inexact 0
		.amdhsa_exception_int_div_zero 0
	.end_amdhsa_kernel
	.section	.text._ZL15flash_attn_tileILi96ELi96ELi1ELi8ELb1EEvPKcS1_S1_S1_S1_PKiPfP15HIP_vector_typeIfLj2EEffffjfiS5_IjLj3EEiiiiiiiiiiiliiliiiiil,"axG",@progbits,_ZL15flash_attn_tileILi96ELi96ELi1ELi8ELb1EEvPKcS1_S1_S1_S1_PKiPfP15HIP_vector_typeIfLj2EEffffjfiS5_IjLj3EEiiiiiiiiiiiliiliiiiil,comdat
.Lfunc_end77:
	.size	_ZL15flash_attn_tileILi96ELi96ELi1ELi8ELb1EEvPKcS1_S1_S1_S1_PKiPfP15HIP_vector_typeIfLj2EEffffjfiS5_IjLj3EEiiiiiiiiiiiliiliiiiil, .Lfunc_end77-_ZL15flash_attn_tileILi96ELi96ELi1ELi8ELb1EEvPKcS1_S1_S1_S1_PKiPfP15HIP_vector_typeIfLj2EEffffjfiS5_IjLj3EEiiiiiiiiiiiliiliiiiil
                                        ; -- End function
	.set _ZL15flash_attn_tileILi96ELi96ELi1ELi8ELb1EEvPKcS1_S1_S1_S1_PKiPfP15HIP_vector_typeIfLj2EEffffjfiS5_IjLj3EEiiiiiiiiiiiliiliiiiil.num_vgpr, max(0, .L_ZL14no_device_codePKciS0_iS0_.num_vgpr)
	.set _ZL15flash_attn_tileILi96ELi96ELi1ELi8ELb1EEvPKcS1_S1_S1_S1_PKiPfP15HIP_vector_typeIfLj2EEffffjfiS5_IjLj3EEiiiiiiiiiiiliiliiiiil.num_agpr, max(0, .L_ZL14no_device_codePKciS0_iS0_.num_agpr)
	.set _ZL15flash_attn_tileILi96ELi96ELi1ELi8ELb1EEvPKcS1_S1_S1_S1_PKiPfP15HIP_vector_typeIfLj2EEffffjfiS5_IjLj3EEiiiiiiiiiiiliiliiiiil.numbered_sgpr, max(33, .L_ZL14no_device_codePKciS0_iS0_.numbered_sgpr)
	.set _ZL15flash_attn_tileILi96ELi96ELi1ELi8ELb1EEvPKcS1_S1_S1_S1_PKiPfP15HIP_vector_typeIfLj2EEffffjfiS5_IjLj3EEiiiiiiiiiiiliiliiiiil.num_named_barrier, max(0, .L_ZL14no_device_codePKciS0_iS0_.num_named_barrier)
	.set _ZL15flash_attn_tileILi96ELi96ELi1ELi8ELb1EEvPKcS1_S1_S1_S1_PKiPfP15HIP_vector_typeIfLj2EEffffjfiS5_IjLj3EEiiiiiiiiiiiliiliiiiil.private_seg_size, 0+max(.L_ZL14no_device_codePKciS0_iS0_.private_seg_size)
	.set _ZL15flash_attn_tileILi96ELi96ELi1ELi8ELb1EEvPKcS1_S1_S1_S1_PKiPfP15HIP_vector_typeIfLj2EEffffjfiS5_IjLj3EEiiiiiiiiiiiliiliiiiil.uses_vcc, or(1, .L_ZL14no_device_codePKciS0_iS0_.uses_vcc)
	.set _ZL15flash_attn_tileILi96ELi96ELi1ELi8ELb1EEvPKcS1_S1_S1_S1_PKiPfP15HIP_vector_typeIfLj2EEffffjfiS5_IjLj3EEiiiiiiiiiiiliiliiiiil.uses_flat_scratch, or(0, .L_ZL14no_device_codePKciS0_iS0_.uses_flat_scratch)
	.set _ZL15flash_attn_tileILi96ELi96ELi1ELi8ELb1EEvPKcS1_S1_S1_S1_PKiPfP15HIP_vector_typeIfLj2EEffffjfiS5_IjLj3EEiiiiiiiiiiiliiliiiiil.has_dyn_sized_stack, or(0, .L_ZL14no_device_codePKciS0_iS0_.has_dyn_sized_stack)
	.set _ZL15flash_attn_tileILi96ELi96ELi1ELi8ELb1EEvPKcS1_S1_S1_S1_PKiPfP15HIP_vector_typeIfLj2EEffffjfiS5_IjLj3EEiiiiiiiiiiiliiliiiiil.has_recursion, or(0, .L_ZL14no_device_codePKciS0_iS0_.has_recursion)
	.set _ZL15flash_attn_tileILi96ELi96ELi1ELi8ELb1EEvPKcS1_S1_S1_S1_PKiPfP15HIP_vector_typeIfLj2EEffffjfiS5_IjLj3EEiiiiiiiiiiiliiliiiiil.has_indirect_call, or(0, .L_ZL14no_device_codePKciS0_iS0_.has_indirect_call)
	.section	.AMDGPU.csdata,"",@progbits
; Kernel info:
; codeLenInByte = 40
; TotalNumSgprs: 36
; NumVgprs: 40
; ScratchSize: 16
; MemoryBound: 0
; FloatMode: 240
; IeeeMode: 1
; LDSByteSize: 0 bytes/workgroup (compile time only)
; SGPRBlocks: 0
; VGPRBlocks: 4
; NumSGPRsForWavesPerEU: 36
; NumVGPRsForWavesPerEU: 40
; Occupancy: 16
; WaveLimiterHint : 1
; COMPUTE_PGM_RSRC2:SCRATCH_EN: 1
; COMPUTE_PGM_RSRC2:USER_SGPR: 2
; COMPUTE_PGM_RSRC2:TRAP_HANDLER: 0
; COMPUTE_PGM_RSRC2:TGID_X_EN: 1
; COMPUTE_PGM_RSRC2:TGID_Y_EN: 0
; COMPUTE_PGM_RSRC2:TGID_Z_EN: 0
; COMPUTE_PGM_RSRC2:TIDIG_COMP_CNT: 0
	.section	.text._ZL15flash_attn_tileILi96ELi96ELi16ELi4ELb1EEvPKcS1_S1_S1_S1_PKiPfP15HIP_vector_typeIfLj2EEffffjfiS5_IjLj3EEiiiiiiiiiiiliiliiiiil,"axG",@progbits,_ZL15flash_attn_tileILi96ELi96ELi16ELi4ELb1EEvPKcS1_S1_S1_S1_PKiPfP15HIP_vector_typeIfLj2EEffffjfiS5_IjLj3EEiiiiiiiiiiiliiliiiiil,comdat
	.globl	_ZL15flash_attn_tileILi96ELi96ELi16ELi4ELb1EEvPKcS1_S1_S1_S1_PKiPfP15HIP_vector_typeIfLj2EEffffjfiS5_IjLj3EEiiiiiiiiiiiliiliiiiil ; -- Begin function _ZL15flash_attn_tileILi96ELi96ELi16ELi4ELb1EEvPKcS1_S1_S1_S1_PKiPfP15HIP_vector_typeIfLj2EEffffjfiS5_IjLj3EEiiiiiiiiiiiliiliiiiil
	.p2align	8
	.type	_ZL15flash_attn_tileILi96ELi96ELi16ELi4ELb1EEvPKcS1_S1_S1_S1_PKiPfP15HIP_vector_typeIfLj2EEffffjfiS5_IjLj3EEiiiiiiiiiiiliiliiiiil,@function
_ZL15flash_attn_tileILi96ELi96ELi16ELi4ELb1EEvPKcS1_S1_S1_S1_PKiPfP15HIP_vector_typeIfLj2EEffffjfiS5_IjLj3EEiiiiiiiiiiiliiliiiiil: ; @_ZL15flash_attn_tileILi96ELi96ELi16ELi4ELb1EEvPKcS1_S1_S1_S1_PKiPfP15HIP_vector_typeIfLj2EEffffjfiS5_IjLj3EEiiiiiiiiiiiliiliiiiil
; %bb.0:
	s_getpc_b64 s[2:3]
	s_sext_i32_i16 s3, s3
	s_add_co_u32 s2, s2, _ZL14no_device_codePKciS0_iS0_@rel32@lo+8
	s_add_co_ci_u32 s3, s3, _ZL14no_device_codePKciS0_iS0_@rel32@hi+16
	s_add_nc_u64 s[8:9], s[0:1], 0xd0
	s_mov_b32 s32, 0
	s_swappc_b64 s[30:31], s[2:3]
	.section	.rodata,"a",@progbits
	.p2align	6, 0x0
	.amdhsa_kernel _ZL15flash_attn_tileILi96ELi96ELi16ELi4ELb1EEvPKcS1_S1_S1_S1_PKiPfP15HIP_vector_typeIfLj2EEffffjfiS5_IjLj3EEiiiiiiiiiiiliiliiiiil
		.amdhsa_group_segment_fixed_size 0
		.amdhsa_private_segment_fixed_size 16
		.amdhsa_kernarg_size 464
		.amdhsa_user_sgpr_count 2
		.amdhsa_user_sgpr_dispatch_ptr 0
		.amdhsa_user_sgpr_queue_ptr 0
		.amdhsa_user_sgpr_kernarg_segment_ptr 1
		.amdhsa_user_sgpr_dispatch_id 0
		.amdhsa_user_sgpr_private_segment_size 0
		.amdhsa_wavefront_size32 1
		.amdhsa_uses_dynamic_stack 0
		.amdhsa_enable_private_segment 1
		.amdhsa_system_sgpr_workgroup_id_x 1
		.amdhsa_system_sgpr_workgroup_id_y 0
		.amdhsa_system_sgpr_workgroup_id_z 0
		.amdhsa_system_sgpr_workgroup_info 0
		.amdhsa_system_vgpr_workitem_id 0
		.amdhsa_next_free_vgpr 40
		.amdhsa_next_free_sgpr 34
		.amdhsa_reserve_vcc 1
		.amdhsa_float_round_mode_32 0
		.amdhsa_float_round_mode_16_64 0
		.amdhsa_float_denorm_mode_32 3
		.amdhsa_float_denorm_mode_16_64 3
		.amdhsa_fp16_overflow 0
		.amdhsa_workgroup_processor_mode 1
		.amdhsa_memory_ordered 1
		.amdhsa_forward_progress 1
		.amdhsa_inst_pref_size 1
		.amdhsa_round_robin_scheduling 0
		.amdhsa_exception_fp_ieee_invalid_op 0
		.amdhsa_exception_fp_denorm_src 0
		.amdhsa_exception_fp_ieee_div_zero 0
		.amdhsa_exception_fp_ieee_overflow 0
		.amdhsa_exception_fp_ieee_underflow 0
		.amdhsa_exception_fp_ieee_inexact 0
		.amdhsa_exception_int_div_zero 0
	.end_amdhsa_kernel
	.section	.text._ZL15flash_attn_tileILi96ELi96ELi16ELi4ELb1EEvPKcS1_S1_S1_S1_PKiPfP15HIP_vector_typeIfLj2EEffffjfiS5_IjLj3EEiiiiiiiiiiiliiliiiiil,"axG",@progbits,_ZL15flash_attn_tileILi96ELi96ELi16ELi4ELb1EEvPKcS1_S1_S1_S1_PKiPfP15HIP_vector_typeIfLj2EEffffjfiS5_IjLj3EEiiiiiiiiiiiliiliiiiil,comdat
.Lfunc_end78:
	.size	_ZL15flash_attn_tileILi96ELi96ELi16ELi4ELb1EEvPKcS1_S1_S1_S1_PKiPfP15HIP_vector_typeIfLj2EEffffjfiS5_IjLj3EEiiiiiiiiiiiliiliiiiil, .Lfunc_end78-_ZL15flash_attn_tileILi96ELi96ELi16ELi4ELb1EEvPKcS1_S1_S1_S1_PKiPfP15HIP_vector_typeIfLj2EEffffjfiS5_IjLj3EEiiiiiiiiiiiliiliiiiil
                                        ; -- End function
	.set _ZL15flash_attn_tileILi96ELi96ELi16ELi4ELb1EEvPKcS1_S1_S1_S1_PKiPfP15HIP_vector_typeIfLj2EEffffjfiS5_IjLj3EEiiiiiiiiiiiliiliiiiil.num_vgpr, max(0, .L_ZL14no_device_codePKciS0_iS0_.num_vgpr)
	.set _ZL15flash_attn_tileILi96ELi96ELi16ELi4ELb1EEvPKcS1_S1_S1_S1_PKiPfP15HIP_vector_typeIfLj2EEffffjfiS5_IjLj3EEiiiiiiiiiiiliiliiiiil.num_agpr, max(0, .L_ZL14no_device_codePKciS0_iS0_.num_agpr)
	.set _ZL15flash_attn_tileILi96ELi96ELi16ELi4ELb1EEvPKcS1_S1_S1_S1_PKiPfP15HIP_vector_typeIfLj2EEffffjfiS5_IjLj3EEiiiiiiiiiiiliiliiiiil.numbered_sgpr, max(33, .L_ZL14no_device_codePKciS0_iS0_.numbered_sgpr)
	.set _ZL15flash_attn_tileILi96ELi96ELi16ELi4ELb1EEvPKcS1_S1_S1_S1_PKiPfP15HIP_vector_typeIfLj2EEffffjfiS5_IjLj3EEiiiiiiiiiiiliiliiiiil.num_named_barrier, max(0, .L_ZL14no_device_codePKciS0_iS0_.num_named_barrier)
	.set _ZL15flash_attn_tileILi96ELi96ELi16ELi4ELb1EEvPKcS1_S1_S1_S1_PKiPfP15HIP_vector_typeIfLj2EEffffjfiS5_IjLj3EEiiiiiiiiiiiliiliiiiil.private_seg_size, 0+max(.L_ZL14no_device_codePKciS0_iS0_.private_seg_size)
	.set _ZL15flash_attn_tileILi96ELi96ELi16ELi4ELb1EEvPKcS1_S1_S1_S1_PKiPfP15HIP_vector_typeIfLj2EEffffjfiS5_IjLj3EEiiiiiiiiiiiliiliiiiil.uses_vcc, or(1, .L_ZL14no_device_codePKciS0_iS0_.uses_vcc)
	.set _ZL15flash_attn_tileILi96ELi96ELi16ELi4ELb1EEvPKcS1_S1_S1_S1_PKiPfP15HIP_vector_typeIfLj2EEffffjfiS5_IjLj3EEiiiiiiiiiiiliiliiiiil.uses_flat_scratch, or(0, .L_ZL14no_device_codePKciS0_iS0_.uses_flat_scratch)
	.set _ZL15flash_attn_tileILi96ELi96ELi16ELi4ELb1EEvPKcS1_S1_S1_S1_PKiPfP15HIP_vector_typeIfLj2EEffffjfiS5_IjLj3EEiiiiiiiiiiiliiliiiiil.has_dyn_sized_stack, or(0, .L_ZL14no_device_codePKciS0_iS0_.has_dyn_sized_stack)
	.set _ZL15flash_attn_tileILi96ELi96ELi16ELi4ELb1EEvPKcS1_S1_S1_S1_PKiPfP15HIP_vector_typeIfLj2EEffffjfiS5_IjLj3EEiiiiiiiiiiiliiliiiiil.has_recursion, or(0, .L_ZL14no_device_codePKciS0_iS0_.has_recursion)
	.set _ZL15flash_attn_tileILi96ELi96ELi16ELi4ELb1EEvPKcS1_S1_S1_S1_PKiPfP15HIP_vector_typeIfLj2EEffffjfiS5_IjLj3EEiiiiiiiiiiiliiliiiiil.has_indirect_call, or(0, .L_ZL14no_device_codePKciS0_iS0_.has_indirect_call)
	.section	.AMDGPU.csdata,"",@progbits
; Kernel info:
; codeLenInByte = 40
; TotalNumSgprs: 36
; NumVgprs: 40
; ScratchSize: 16
; MemoryBound: 0
; FloatMode: 240
; IeeeMode: 1
; LDSByteSize: 0 bytes/workgroup (compile time only)
; SGPRBlocks: 0
; VGPRBlocks: 4
; NumSGPRsForWavesPerEU: 36
; NumVGPRsForWavesPerEU: 40
; Occupancy: 16
; WaveLimiterHint : 1
; COMPUTE_PGM_RSRC2:SCRATCH_EN: 1
; COMPUTE_PGM_RSRC2:USER_SGPR: 2
; COMPUTE_PGM_RSRC2:TRAP_HANDLER: 0
; COMPUTE_PGM_RSRC2:TGID_X_EN: 1
; COMPUTE_PGM_RSRC2:TGID_Y_EN: 0
; COMPUTE_PGM_RSRC2:TGID_Z_EN: 0
; COMPUTE_PGM_RSRC2:TIDIG_COMP_CNT: 0
	.section	.text._ZL15flash_attn_tileILi96ELi96ELi8ELi4ELb1EEvPKcS1_S1_S1_S1_PKiPfP15HIP_vector_typeIfLj2EEffffjfiS5_IjLj3EEiiiiiiiiiiiliiliiiiil,"axG",@progbits,_ZL15flash_attn_tileILi96ELi96ELi8ELi4ELb1EEvPKcS1_S1_S1_S1_PKiPfP15HIP_vector_typeIfLj2EEffffjfiS5_IjLj3EEiiiiiiiiiiiliiliiiiil,comdat
	.globl	_ZL15flash_attn_tileILi96ELi96ELi8ELi4ELb1EEvPKcS1_S1_S1_S1_PKiPfP15HIP_vector_typeIfLj2EEffffjfiS5_IjLj3EEiiiiiiiiiiiliiliiiiil ; -- Begin function _ZL15flash_attn_tileILi96ELi96ELi8ELi4ELb1EEvPKcS1_S1_S1_S1_PKiPfP15HIP_vector_typeIfLj2EEffffjfiS5_IjLj3EEiiiiiiiiiiiliiliiiiil
	.p2align	8
	.type	_ZL15flash_attn_tileILi96ELi96ELi8ELi4ELb1EEvPKcS1_S1_S1_S1_PKiPfP15HIP_vector_typeIfLj2EEffffjfiS5_IjLj3EEiiiiiiiiiiiliiliiiiil,@function
_ZL15flash_attn_tileILi96ELi96ELi8ELi4ELb1EEvPKcS1_S1_S1_S1_PKiPfP15HIP_vector_typeIfLj2EEffffjfiS5_IjLj3EEiiiiiiiiiiiliiliiiiil: ; @_ZL15flash_attn_tileILi96ELi96ELi8ELi4ELb1EEvPKcS1_S1_S1_S1_PKiPfP15HIP_vector_typeIfLj2EEffffjfiS5_IjLj3EEiiiiiiiiiiiliiliiiiil
; %bb.0:
	s_getpc_b64 s[2:3]
	s_sext_i32_i16 s3, s3
	s_add_co_u32 s2, s2, _ZL14no_device_codePKciS0_iS0_@rel32@lo+8
	s_add_co_ci_u32 s3, s3, _ZL14no_device_codePKciS0_iS0_@rel32@hi+16
	s_add_nc_u64 s[8:9], s[0:1], 0xd0
	s_mov_b32 s32, 0
	s_swappc_b64 s[30:31], s[2:3]
	.section	.rodata,"a",@progbits
	.p2align	6, 0x0
	.amdhsa_kernel _ZL15flash_attn_tileILi96ELi96ELi8ELi4ELb1EEvPKcS1_S1_S1_S1_PKiPfP15HIP_vector_typeIfLj2EEffffjfiS5_IjLj3EEiiiiiiiiiiiliiliiiiil
		.amdhsa_group_segment_fixed_size 0
		.amdhsa_private_segment_fixed_size 16
		.amdhsa_kernarg_size 464
		.amdhsa_user_sgpr_count 2
		.amdhsa_user_sgpr_dispatch_ptr 0
		.amdhsa_user_sgpr_queue_ptr 0
		.amdhsa_user_sgpr_kernarg_segment_ptr 1
		.amdhsa_user_sgpr_dispatch_id 0
		.amdhsa_user_sgpr_private_segment_size 0
		.amdhsa_wavefront_size32 1
		.amdhsa_uses_dynamic_stack 0
		.amdhsa_enable_private_segment 1
		.amdhsa_system_sgpr_workgroup_id_x 1
		.amdhsa_system_sgpr_workgroup_id_y 0
		.amdhsa_system_sgpr_workgroup_id_z 0
		.amdhsa_system_sgpr_workgroup_info 0
		.amdhsa_system_vgpr_workitem_id 0
		.amdhsa_next_free_vgpr 40
		.amdhsa_next_free_sgpr 34
		.amdhsa_reserve_vcc 1
		.amdhsa_float_round_mode_32 0
		.amdhsa_float_round_mode_16_64 0
		.amdhsa_float_denorm_mode_32 3
		.amdhsa_float_denorm_mode_16_64 3
		.amdhsa_fp16_overflow 0
		.amdhsa_workgroup_processor_mode 1
		.amdhsa_memory_ordered 1
		.amdhsa_forward_progress 1
		.amdhsa_inst_pref_size 1
		.amdhsa_round_robin_scheduling 0
		.amdhsa_exception_fp_ieee_invalid_op 0
		.amdhsa_exception_fp_denorm_src 0
		.amdhsa_exception_fp_ieee_div_zero 0
		.amdhsa_exception_fp_ieee_overflow 0
		.amdhsa_exception_fp_ieee_underflow 0
		.amdhsa_exception_fp_ieee_inexact 0
		.amdhsa_exception_int_div_zero 0
	.end_amdhsa_kernel
	.section	.text._ZL15flash_attn_tileILi96ELi96ELi8ELi4ELb1EEvPKcS1_S1_S1_S1_PKiPfP15HIP_vector_typeIfLj2EEffffjfiS5_IjLj3EEiiiiiiiiiiiliiliiiiil,"axG",@progbits,_ZL15flash_attn_tileILi96ELi96ELi8ELi4ELb1EEvPKcS1_S1_S1_S1_PKiPfP15HIP_vector_typeIfLj2EEffffjfiS5_IjLj3EEiiiiiiiiiiiliiliiiiil,comdat
.Lfunc_end79:
	.size	_ZL15flash_attn_tileILi96ELi96ELi8ELi4ELb1EEvPKcS1_S1_S1_S1_PKiPfP15HIP_vector_typeIfLj2EEffffjfiS5_IjLj3EEiiiiiiiiiiiliiliiiiil, .Lfunc_end79-_ZL15flash_attn_tileILi96ELi96ELi8ELi4ELb1EEvPKcS1_S1_S1_S1_PKiPfP15HIP_vector_typeIfLj2EEffffjfiS5_IjLj3EEiiiiiiiiiiiliiliiiiil
                                        ; -- End function
	.set _ZL15flash_attn_tileILi96ELi96ELi8ELi4ELb1EEvPKcS1_S1_S1_S1_PKiPfP15HIP_vector_typeIfLj2EEffffjfiS5_IjLj3EEiiiiiiiiiiiliiliiiiil.num_vgpr, max(0, .L_ZL14no_device_codePKciS0_iS0_.num_vgpr)
	.set _ZL15flash_attn_tileILi96ELi96ELi8ELi4ELb1EEvPKcS1_S1_S1_S1_PKiPfP15HIP_vector_typeIfLj2EEffffjfiS5_IjLj3EEiiiiiiiiiiiliiliiiiil.num_agpr, max(0, .L_ZL14no_device_codePKciS0_iS0_.num_agpr)
	.set _ZL15flash_attn_tileILi96ELi96ELi8ELi4ELb1EEvPKcS1_S1_S1_S1_PKiPfP15HIP_vector_typeIfLj2EEffffjfiS5_IjLj3EEiiiiiiiiiiiliiliiiiil.numbered_sgpr, max(33, .L_ZL14no_device_codePKciS0_iS0_.numbered_sgpr)
	.set _ZL15flash_attn_tileILi96ELi96ELi8ELi4ELb1EEvPKcS1_S1_S1_S1_PKiPfP15HIP_vector_typeIfLj2EEffffjfiS5_IjLj3EEiiiiiiiiiiiliiliiiiil.num_named_barrier, max(0, .L_ZL14no_device_codePKciS0_iS0_.num_named_barrier)
	.set _ZL15flash_attn_tileILi96ELi96ELi8ELi4ELb1EEvPKcS1_S1_S1_S1_PKiPfP15HIP_vector_typeIfLj2EEffffjfiS5_IjLj3EEiiiiiiiiiiiliiliiiiil.private_seg_size, 0+max(.L_ZL14no_device_codePKciS0_iS0_.private_seg_size)
	.set _ZL15flash_attn_tileILi96ELi96ELi8ELi4ELb1EEvPKcS1_S1_S1_S1_PKiPfP15HIP_vector_typeIfLj2EEffffjfiS5_IjLj3EEiiiiiiiiiiiliiliiiiil.uses_vcc, or(1, .L_ZL14no_device_codePKciS0_iS0_.uses_vcc)
	.set _ZL15flash_attn_tileILi96ELi96ELi8ELi4ELb1EEvPKcS1_S1_S1_S1_PKiPfP15HIP_vector_typeIfLj2EEffffjfiS5_IjLj3EEiiiiiiiiiiiliiliiiiil.uses_flat_scratch, or(0, .L_ZL14no_device_codePKciS0_iS0_.uses_flat_scratch)
	.set _ZL15flash_attn_tileILi96ELi96ELi8ELi4ELb1EEvPKcS1_S1_S1_S1_PKiPfP15HIP_vector_typeIfLj2EEffffjfiS5_IjLj3EEiiiiiiiiiiiliiliiiiil.has_dyn_sized_stack, or(0, .L_ZL14no_device_codePKciS0_iS0_.has_dyn_sized_stack)
	.set _ZL15flash_attn_tileILi96ELi96ELi8ELi4ELb1EEvPKcS1_S1_S1_S1_PKiPfP15HIP_vector_typeIfLj2EEffffjfiS5_IjLj3EEiiiiiiiiiiiliiliiiiil.has_recursion, or(0, .L_ZL14no_device_codePKciS0_iS0_.has_recursion)
	.set _ZL15flash_attn_tileILi96ELi96ELi8ELi4ELb1EEvPKcS1_S1_S1_S1_PKiPfP15HIP_vector_typeIfLj2EEffffjfiS5_IjLj3EEiiiiiiiiiiiliiliiiiil.has_indirect_call, or(0, .L_ZL14no_device_codePKciS0_iS0_.has_indirect_call)
	.section	.AMDGPU.csdata,"",@progbits
; Kernel info:
; codeLenInByte = 40
; TotalNumSgprs: 36
; NumVgprs: 40
; ScratchSize: 16
; MemoryBound: 0
; FloatMode: 240
; IeeeMode: 1
; LDSByteSize: 0 bytes/workgroup (compile time only)
; SGPRBlocks: 0
; VGPRBlocks: 4
; NumSGPRsForWavesPerEU: 36
; NumVGPRsForWavesPerEU: 40
; Occupancy: 16
; WaveLimiterHint : 1
; COMPUTE_PGM_RSRC2:SCRATCH_EN: 1
; COMPUTE_PGM_RSRC2:USER_SGPR: 2
; COMPUTE_PGM_RSRC2:TRAP_HANDLER: 0
; COMPUTE_PGM_RSRC2:TGID_X_EN: 1
; COMPUTE_PGM_RSRC2:TGID_Y_EN: 0
; COMPUTE_PGM_RSRC2:TGID_Z_EN: 0
; COMPUTE_PGM_RSRC2:TIDIG_COMP_CNT: 0
	.section	.text._ZL15flash_attn_tileILi96ELi96ELi4ELi4ELb1EEvPKcS1_S1_S1_S1_PKiPfP15HIP_vector_typeIfLj2EEffffjfiS5_IjLj3EEiiiiiiiiiiiliiliiiiil,"axG",@progbits,_ZL15flash_attn_tileILi96ELi96ELi4ELi4ELb1EEvPKcS1_S1_S1_S1_PKiPfP15HIP_vector_typeIfLj2EEffffjfiS5_IjLj3EEiiiiiiiiiiiliiliiiiil,comdat
	.globl	_ZL15flash_attn_tileILi96ELi96ELi4ELi4ELb1EEvPKcS1_S1_S1_S1_PKiPfP15HIP_vector_typeIfLj2EEffffjfiS5_IjLj3EEiiiiiiiiiiiliiliiiiil ; -- Begin function _ZL15flash_attn_tileILi96ELi96ELi4ELi4ELb1EEvPKcS1_S1_S1_S1_PKiPfP15HIP_vector_typeIfLj2EEffffjfiS5_IjLj3EEiiiiiiiiiiiliiliiiiil
	.p2align	8
	.type	_ZL15flash_attn_tileILi96ELi96ELi4ELi4ELb1EEvPKcS1_S1_S1_S1_PKiPfP15HIP_vector_typeIfLj2EEffffjfiS5_IjLj3EEiiiiiiiiiiiliiliiiiil,@function
_ZL15flash_attn_tileILi96ELi96ELi4ELi4ELb1EEvPKcS1_S1_S1_S1_PKiPfP15HIP_vector_typeIfLj2EEffffjfiS5_IjLj3EEiiiiiiiiiiiliiliiiiil: ; @_ZL15flash_attn_tileILi96ELi96ELi4ELi4ELb1EEvPKcS1_S1_S1_S1_PKiPfP15HIP_vector_typeIfLj2EEffffjfiS5_IjLj3EEiiiiiiiiiiiliiliiiiil
; %bb.0:
	s_getpc_b64 s[2:3]
	s_sext_i32_i16 s3, s3
	s_add_co_u32 s2, s2, _ZL14no_device_codePKciS0_iS0_@rel32@lo+8
	s_add_co_ci_u32 s3, s3, _ZL14no_device_codePKciS0_iS0_@rel32@hi+16
	s_add_nc_u64 s[8:9], s[0:1], 0xd0
	s_mov_b32 s32, 0
	s_swappc_b64 s[30:31], s[2:3]
	.section	.rodata,"a",@progbits
	.p2align	6, 0x0
	.amdhsa_kernel _ZL15flash_attn_tileILi96ELi96ELi4ELi4ELb1EEvPKcS1_S1_S1_S1_PKiPfP15HIP_vector_typeIfLj2EEffffjfiS5_IjLj3EEiiiiiiiiiiiliiliiiiil
		.amdhsa_group_segment_fixed_size 0
		.amdhsa_private_segment_fixed_size 16
		.amdhsa_kernarg_size 464
		.amdhsa_user_sgpr_count 2
		.amdhsa_user_sgpr_dispatch_ptr 0
		.amdhsa_user_sgpr_queue_ptr 0
		.amdhsa_user_sgpr_kernarg_segment_ptr 1
		.amdhsa_user_sgpr_dispatch_id 0
		.amdhsa_user_sgpr_private_segment_size 0
		.amdhsa_wavefront_size32 1
		.amdhsa_uses_dynamic_stack 0
		.amdhsa_enable_private_segment 1
		.amdhsa_system_sgpr_workgroup_id_x 1
		.amdhsa_system_sgpr_workgroup_id_y 0
		.amdhsa_system_sgpr_workgroup_id_z 0
		.amdhsa_system_sgpr_workgroup_info 0
		.amdhsa_system_vgpr_workitem_id 0
		.amdhsa_next_free_vgpr 40
		.amdhsa_next_free_sgpr 34
		.amdhsa_reserve_vcc 1
		.amdhsa_float_round_mode_32 0
		.amdhsa_float_round_mode_16_64 0
		.amdhsa_float_denorm_mode_32 3
		.amdhsa_float_denorm_mode_16_64 3
		.amdhsa_fp16_overflow 0
		.amdhsa_workgroup_processor_mode 1
		.amdhsa_memory_ordered 1
		.amdhsa_forward_progress 1
		.amdhsa_inst_pref_size 1
		.amdhsa_round_robin_scheduling 0
		.amdhsa_exception_fp_ieee_invalid_op 0
		.amdhsa_exception_fp_denorm_src 0
		.amdhsa_exception_fp_ieee_div_zero 0
		.amdhsa_exception_fp_ieee_overflow 0
		.amdhsa_exception_fp_ieee_underflow 0
		.amdhsa_exception_fp_ieee_inexact 0
		.amdhsa_exception_int_div_zero 0
	.end_amdhsa_kernel
	.section	.text._ZL15flash_attn_tileILi96ELi96ELi4ELi4ELb1EEvPKcS1_S1_S1_S1_PKiPfP15HIP_vector_typeIfLj2EEffffjfiS5_IjLj3EEiiiiiiiiiiiliiliiiiil,"axG",@progbits,_ZL15flash_attn_tileILi96ELi96ELi4ELi4ELb1EEvPKcS1_S1_S1_S1_PKiPfP15HIP_vector_typeIfLj2EEffffjfiS5_IjLj3EEiiiiiiiiiiiliiliiiiil,comdat
.Lfunc_end80:
	.size	_ZL15flash_attn_tileILi96ELi96ELi4ELi4ELb1EEvPKcS1_S1_S1_S1_PKiPfP15HIP_vector_typeIfLj2EEffffjfiS5_IjLj3EEiiiiiiiiiiiliiliiiiil, .Lfunc_end80-_ZL15flash_attn_tileILi96ELi96ELi4ELi4ELb1EEvPKcS1_S1_S1_S1_PKiPfP15HIP_vector_typeIfLj2EEffffjfiS5_IjLj3EEiiiiiiiiiiiliiliiiiil
                                        ; -- End function
	.set _ZL15flash_attn_tileILi96ELi96ELi4ELi4ELb1EEvPKcS1_S1_S1_S1_PKiPfP15HIP_vector_typeIfLj2EEffffjfiS5_IjLj3EEiiiiiiiiiiiliiliiiiil.num_vgpr, max(0, .L_ZL14no_device_codePKciS0_iS0_.num_vgpr)
	.set _ZL15flash_attn_tileILi96ELi96ELi4ELi4ELb1EEvPKcS1_S1_S1_S1_PKiPfP15HIP_vector_typeIfLj2EEffffjfiS5_IjLj3EEiiiiiiiiiiiliiliiiiil.num_agpr, max(0, .L_ZL14no_device_codePKciS0_iS0_.num_agpr)
	.set _ZL15flash_attn_tileILi96ELi96ELi4ELi4ELb1EEvPKcS1_S1_S1_S1_PKiPfP15HIP_vector_typeIfLj2EEffffjfiS5_IjLj3EEiiiiiiiiiiiliiliiiiil.numbered_sgpr, max(33, .L_ZL14no_device_codePKciS0_iS0_.numbered_sgpr)
	.set _ZL15flash_attn_tileILi96ELi96ELi4ELi4ELb1EEvPKcS1_S1_S1_S1_PKiPfP15HIP_vector_typeIfLj2EEffffjfiS5_IjLj3EEiiiiiiiiiiiliiliiiiil.num_named_barrier, max(0, .L_ZL14no_device_codePKciS0_iS0_.num_named_barrier)
	.set _ZL15flash_attn_tileILi96ELi96ELi4ELi4ELb1EEvPKcS1_S1_S1_S1_PKiPfP15HIP_vector_typeIfLj2EEffffjfiS5_IjLj3EEiiiiiiiiiiiliiliiiiil.private_seg_size, 0+max(.L_ZL14no_device_codePKciS0_iS0_.private_seg_size)
	.set _ZL15flash_attn_tileILi96ELi96ELi4ELi4ELb1EEvPKcS1_S1_S1_S1_PKiPfP15HIP_vector_typeIfLj2EEffffjfiS5_IjLj3EEiiiiiiiiiiiliiliiiiil.uses_vcc, or(1, .L_ZL14no_device_codePKciS0_iS0_.uses_vcc)
	.set _ZL15flash_attn_tileILi96ELi96ELi4ELi4ELb1EEvPKcS1_S1_S1_S1_PKiPfP15HIP_vector_typeIfLj2EEffffjfiS5_IjLj3EEiiiiiiiiiiiliiliiiiil.uses_flat_scratch, or(0, .L_ZL14no_device_codePKciS0_iS0_.uses_flat_scratch)
	.set _ZL15flash_attn_tileILi96ELi96ELi4ELi4ELb1EEvPKcS1_S1_S1_S1_PKiPfP15HIP_vector_typeIfLj2EEffffjfiS5_IjLj3EEiiiiiiiiiiiliiliiiiil.has_dyn_sized_stack, or(0, .L_ZL14no_device_codePKciS0_iS0_.has_dyn_sized_stack)
	.set _ZL15flash_attn_tileILi96ELi96ELi4ELi4ELb1EEvPKcS1_S1_S1_S1_PKiPfP15HIP_vector_typeIfLj2EEffffjfiS5_IjLj3EEiiiiiiiiiiiliiliiiiil.has_recursion, or(0, .L_ZL14no_device_codePKciS0_iS0_.has_recursion)
	.set _ZL15flash_attn_tileILi96ELi96ELi4ELi4ELb1EEvPKcS1_S1_S1_S1_PKiPfP15HIP_vector_typeIfLj2EEffffjfiS5_IjLj3EEiiiiiiiiiiiliiliiiiil.has_indirect_call, or(0, .L_ZL14no_device_codePKciS0_iS0_.has_indirect_call)
	.section	.AMDGPU.csdata,"",@progbits
; Kernel info:
; codeLenInByte = 40
; TotalNumSgprs: 36
; NumVgprs: 40
; ScratchSize: 16
; MemoryBound: 0
; FloatMode: 240
; IeeeMode: 1
; LDSByteSize: 0 bytes/workgroup (compile time only)
; SGPRBlocks: 0
; VGPRBlocks: 4
; NumSGPRsForWavesPerEU: 36
; NumVGPRsForWavesPerEU: 40
; Occupancy: 16
; WaveLimiterHint : 1
; COMPUTE_PGM_RSRC2:SCRATCH_EN: 1
; COMPUTE_PGM_RSRC2:USER_SGPR: 2
; COMPUTE_PGM_RSRC2:TRAP_HANDLER: 0
; COMPUTE_PGM_RSRC2:TGID_X_EN: 1
; COMPUTE_PGM_RSRC2:TGID_Y_EN: 0
; COMPUTE_PGM_RSRC2:TGID_Z_EN: 0
; COMPUTE_PGM_RSRC2:TIDIG_COMP_CNT: 0
	.section	.text._ZL15flash_attn_tileILi96ELi96ELi2ELi4ELb1EEvPKcS1_S1_S1_S1_PKiPfP15HIP_vector_typeIfLj2EEffffjfiS5_IjLj3EEiiiiiiiiiiiliiliiiiil,"axG",@progbits,_ZL15flash_attn_tileILi96ELi96ELi2ELi4ELb1EEvPKcS1_S1_S1_S1_PKiPfP15HIP_vector_typeIfLj2EEffffjfiS5_IjLj3EEiiiiiiiiiiiliiliiiiil,comdat
	.globl	_ZL15flash_attn_tileILi96ELi96ELi2ELi4ELb1EEvPKcS1_S1_S1_S1_PKiPfP15HIP_vector_typeIfLj2EEffffjfiS5_IjLj3EEiiiiiiiiiiiliiliiiiil ; -- Begin function _ZL15flash_attn_tileILi96ELi96ELi2ELi4ELb1EEvPKcS1_S1_S1_S1_PKiPfP15HIP_vector_typeIfLj2EEffffjfiS5_IjLj3EEiiiiiiiiiiiliiliiiiil
	.p2align	8
	.type	_ZL15flash_attn_tileILi96ELi96ELi2ELi4ELb1EEvPKcS1_S1_S1_S1_PKiPfP15HIP_vector_typeIfLj2EEffffjfiS5_IjLj3EEiiiiiiiiiiiliiliiiiil,@function
_ZL15flash_attn_tileILi96ELi96ELi2ELi4ELb1EEvPKcS1_S1_S1_S1_PKiPfP15HIP_vector_typeIfLj2EEffffjfiS5_IjLj3EEiiiiiiiiiiiliiliiiiil: ; @_ZL15flash_attn_tileILi96ELi96ELi2ELi4ELb1EEvPKcS1_S1_S1_S1_PKiPfP15HIP_vector_typeIfLj2EEffffjfiS5_IjLj3EEiiiiiiiiiiiliiliiiiil
; %bb.0:
	s_getpc_b64 s[2:3]
	s_sext_i32_i16 s3, s3
	s_add_co_u32 s2, s2, _ZL14no_device_codePKciS0_iS0_@rel32@lo+8
	s_add_co_ci_u32 s3, s3, _ZL14no_device_codePKciS0_iS0_@rel32@hi+16
	s_add_nc_u64 s[8:9], s[0:1], 0xd0
	s_mov_b32 s32, 0
	s_swappc_b64 s[30:31], s[2:3]
	.section	.rodata,"a",@progbits
	.p2align	6, 0x0
	.amdhsa_kernel _ZL15flash_attn_tileILi96ELi96ELi2ELi4ELb1EEvPKcS1_S1_S1_S1_PKiPfP15HIP_vector_typeIfLj2EEffffjfiS5_IjLj3EEiiiiiiiiiiiliiliiiiil
		.amdhsa_group_segment_fixed_size 0
		.amdhsa_private_segment_fixed_size 16
		.amdhsa_kernarg_size 464
		.amdhsa_user_sgpr_count 2
		.amdhsa_user_sgpr_dispatch_ptr 0
		.amdhsa_user_sgpr_queue_ptr 0
		.amdhsa_user_sgpr_kernarg_segment_ptr 1
		.amdhsa_user_sgpr_dispatch_id 0
		.amdhsa_user_sgpr_private_segment_size 0
		.amdhsa_wavefront_size32 1
		.amdhsa_uses_dynamic_stack 0
		.amdhsa_enable_private_segment 1
		.amdhsa_system_sgpr_workgroup_id_x 1
		.amdhsa_system_sgpr_workgroup_id_y 0
		.amdhsa_system_sgpr_workgroup_id_z 0
		.amdhsa_system_sgpr_workgroup_info 0
		.amdhsa_system_vgpr_workitem_id 0
		.amdhsa_next_free_vgpr 40
		.amdhsa_next_free_sgpr 34
		.amdhsa_reserve_vcc 1
		.amdhsa_float_round_mode_32 0
		.amdhsa_float_round_mode_16_64 0
		.amdhsa_float_denorm_mode_32 3
		.amdhsa_float_denorm_mode_16_64 3
		.amdhsa_fp16_overflow 0
		.amdhsa_workgroup_processor_mode 1
		.amdhsa_memory_ordered 1
		.amdhsa_forward_progress 1
		.amdhsa_inst_pref_size 1
		.amdhsa_round_robin_scheduling 0
		.amdhsa_exception_fp_ieee_invalid_op 0
		.amdhsa_exception_fp_denorm_src 0
		.amdhsa_exception_fp_ieee_div_zero 0
		.amdhsa_exception_fp_ieee_overflow 0
		.amdhsa_exception_fp_ieee_underflow 0
		.amdhsa_exception_fp_ieee_inexact 0
		.amdhsa_exception_int_div_zero 0
	.end_amdhsa_kernel
	.section	.text._ZL15flash_attn_tileILi96ELi96ELi2ELi4ELb1EEvPKcS1_S1_S1_S1_PKiPfP15HIP_vector_typeIfLj2EEffffjfiS5_IjLj3EEiiiiiiiiiiiliiliiiiil,"axG",@progbits,_ZL15flash_attn_tileILi96ELi96ELi2ELi4ELb1EEvPKcS1_S1_S1_S1_PKiPfP15HIP_vector_typeIfLj2EEffffjfiS5_IjLj3EEiiiiiiiiiiiliiliiiiil,comdat
.Lfunc_end81:
	.size	_ZL15flash_attn_tileILi96ELi96ELi2ELi4ELb1EEvPKcS1_S1_S1_S1_PKiPfP15HIP_vector_typeIfLj2EEffffjfiS5_IjLj3EEiiiiiiiiiiiliiliiiiil, .Lfunc_end81-_ZL15flash_attn_tileILi96ELi96ELi2ELi4ELb1EEvPKcS1_S1_S1_S1_PKiPfP15HIP_vector_typeIfLj2EEffffjfiS5_IjLj3EEiiiiiiiiiiiliiliiiiil
                                        ; -- End function
	.set _ZL15flash_attn_tileILi96ELi96ELi2ELi4ELb1EEvPKcS1_S1_S1_S1_PKiPfP15HIP_vector_typeIfLj2EEffffjfiS5_IjLj3EEiiiiiiiiiiiliiliiiiil.num_vgpr, max(0, .L_ZL14no_device_codePKciS0_iS0_.num_vgpr)
	.set _ZL15flash_attn_tileILi96ELi96ELi2ELi4ELb1EEvPKcS1_S1_S1_S1_PKiPfP15HIP_vector_typeIfLj2EEffffjfiS5_IjLj3EEiiiiiiiiiiiliiliiiiil.num_agpr, max(0, .L_ZL14no_device_codePKciS0_iS0_.num_agpr)
	.set _ZL15flash_attn_tileILi96ELi96ELi2ELi4ELb1EEvPKcS1_S1_S1_S1_PKiPfP15HIP_vector_typeIfLj2EEffffjfiS5_IjLj3EEiiiiiiiiiiiliiliiiiil.numbered_sgpr, max(33, .L_ZL14no_device_codePKciS0_iS0_.numbered_sgpr)
	.set _ZL15flash_attn_tileILi96ELi96ELi2ELi4ELb1EEvPKcS1_S1_S1_S1_PKiPfP15HIP_vector_typeIfLj2EEffffjfiS5_IjLj3EEiiiiiiiiiiiliiliiiiil.num_named_barrier, max(0, .L_ZL14no_device_codePKciS0_iS0_.num_named_barrier)
	.set _ZL15flash_attn_tileILi96ELi96ELi2ELi4ELb1EEvPKcS1_S1_S1_S1_PKiPfP15HIP_vector_typeIfLj2EEffffjfiS5_IjLj3EEiiiiiiiiiiiliiliiiiil.private_seg_size, 0+max(.L_ZL14no_device_codePKciS0_iS0_.private_seg_size)
	.set _ZL15flash_attn_tileILi96ELi96ELi2ELi4ELb1EEvPKcS1_S1_S1_S1_PKiPfP15HIP_vector_typeIfLj2EEffffjfiS5_IjLj3EEiiiiiiiiiiiliiliiiiil.uses_vcc, or(1, .L_ZL14no_device_codePKciS0_iS0_.uses_vcc)
	.set _ZL15flash_attn_tileILi96ELi96ELi2ELi4ELb1EEvPKcS1_S1_S1_S1_PKiPfP15HIP_vector_typeIfLj2EEffffjfiS5_IjLj3EEiiiiiiiiiiiliiliiiiil.uses_flat_scratch, or(0, .L_ZL14no_device_codePKciS0_iS0_.uses_flat_scratch)
	.set _ZL15flash_attn_tileILi96ELi96ELi2ELi4ELb1EEvPKcS1_S1_S1_S1_PKiPfP15HIP_vector_typeIfLj2EEffffjfiS5_IjLj3EEiiiiiiiiiiiliiliiiiil.has_dyn_sized_stack, or(0, .L_ZL14no_device_codePKciS0_iS0_.has_dyn_sized_stack)
	.set _ZL15flash_attn_tileILi96ELi96ELi2ELi4ELb1EEvPKcS1_S1_S1_S1_PKiPfP15HIP_vector_typeIfLj2EEffffjfiS5_IjLj3EEiiiiiiiiiiiliiliiiiil.has_recursion, or(0, .L_ZL14no_device_codePKciS0_iS0_.has_recursion)
	.set _ZL15flash_attn_tileILi96ELi96ELi2ELi4ELb1EEvPKcS1_S1_S1_S1_PKiPfP15HIP_vector_typeIfLj2EEffffjfiS5_IjLj3EEiiiiiiiiiiiliiliiiiil.has_indirect_call, or(0, .L_ZL14no_device_codePKciS0_iS0_.has_indirect_call)
	.section	.AMDGPU.csdata,"",@progbits
; Kernel info:
; codeLenInByte = 40
; TotalNumSgprs: 36
; NumVgprs: 40
; ScratchSize: 16
; MemoryBound: 0
; FloatMode: 240
; IeeeMode: 1
; LDSByteSize: 0 bytes/workgroup (compile time only)
; SGPRBlocks: 0
; VGPRBlocks: 4
; NumSGPRsForWavesPerEU: 36
; NumVGPRsForWavesPerEU: 40
; Occupancy: 16
; WaveLimiterHint : 1
; COMPUTE_PGM_RSRC2:SCRATCH_EN: 1
; COMPUTE_PGM_RSRC2:USER_SGPR: 2
; COMPUTE_PGM_RSRC2:TRAP_HANDLER: 0
; COMPUTE_PGM_RSRC2:TGID_X_EN: 1
; COMPUTE_PGM_RSRC2:TGID_Y_EN: 0
; COMPUTE_PGM_RSRC2:TGID_Z_EN: 0
; COMPUTE_PGM_RSRC2:TIDIG_COMP_CNT: 0
	.section	.text._ZL15flash_attn_tileILi96ELi96ELi1ELi4ELb1EEvPKcS1_S1_S1_S1_PKiPfP15HIP_vector_typeIfLj2EEffffjfiS5_IjLj3EEiiiiiiiiiiiliiliiiiil,"axG",@progbits,_ZL15flash_attn_tileILi96ELi96ELi1ELi4ELb1EEvPKcS1_S1_S1_S1_PKiPfP15HIP_vector_typeIfLj2EEffffjfiS5_IjLj3EEiiiiiiiiiiiliiliiiiil,comdat
	.globl	_ZL15flash_attn_tileILi96ELi96ELi1ELi4ELb1EEvPKcS1_S1_S1_S1_PKiPfP15HIP_vector_typeIfLj2EEffffjfiS5_IjLj3EEiiiiiiiiiiiliiliiiiil ; -- Begin function _ZL15flash_attn_tileILi96ELi96ELi1ELi4ELb1EEvPKcS1_S1_S1_S1_PKiPfP15HIP_vector_typeIfLj2EEffffjfiS5_IjLj3EEiiiiiiiiiiiliiliiiiil
	.p2align	8
	.type	_ZL15flash_attn_tileILi96ELi96ELi1ELi4ELb1EEvPKcS1_S1_S1_S1_PKiPfP15HIP_vector_typeIfLj2EEffffjfiS5_IjLj3EEiiiiiiiiiiiliiliiiiil,@function
_ZL15flash_attn_tileILi96ELi96ELi1ELi4ELb1EEvPKcS1_S1_S1_S1_PKiPfP15HIP_vector_typeIfLj2EEffffjfiS5_IjLj3EEiiiiiiiiiiiliiliiiiil: ; @_ZL15flash_attn_tileILi96ELi96ELi1ELi4ELb1EEvPKcS1_S1_S1_S1_PKiPfP15HIP_vector_typeIfLj2EEffffjfiS5_IjLj3EEiiiiiiiiiiiliiliiiiil
; %bb.0:
	s_getpc_b64 s[2:3]
	s_sext_i32_i16 s3, s3
	s_add_co_u32 s2, s2, _ZL14no_device_codePKciS0_iS0_@rel32@lo+8
	s_add_co_ci_u32 s3, s3, _ZL14no_device_codePKciS0_iS0_@rel32@hi+16
	s_add_nc_u64 s[8:9], s[0:1], 0xd0
	s_mov_b32 s32, 0
	s_swappc_b64 s[30:31], s[2:3]
	.section	.rodata,"a",@progbits
	.p2align	6, 0x0
	.amdhsa_kernel _ZL15flash_attn_tileILi96ELi96ELi1ELi4ELb1EEvPKcS1_S1_S1_S1_PKiPfP15HIP_vector_typeIfLj2EEffffjfiS5_IjLj3EEiiiiiiiiiiiliiliiiiil
		.amdhsa_group_segment_fixed_size 0
		.amdhsa_private_segment_fixed_size 16
		.amdhsa_kernarg_size 464
		.amdhsa_user_sgpr_count 2
		.amdhsa_user_sgpr_dispatch_ptr 0
		.amdhsa_user_sgpr_queue_ptr 0
		.amdhsa_user_sgpr_kernarg_segment_ptr 1
		.amdhsa_user_sgpr_dispatch_id 0
		.amdhsa_user_sgpr_private_segment_size 0
		.amdhsa_wavefront_size32 1
		.amdhsa_uses_dynamic_stack 0
		.amdhsa_enable_private_segment 1
		.amdhsa_system_sgpr_workgroup_id_x 1
		.amdhsa_system_sgpr_workgroup_id_y 0
		.amdhsa_system_sgpr_workgroup_id_z 0
		.amdhsa_system_sgpr_workgroup_info 0
		.amdhsa_system_vgpr_workitem_id 0
		.amdhsa_next_free_vgpr 40
		.amdhsa_next_free_sgpr 34
		.amdhsa_reserve_vcc 1
		.amdhsa_float_round_mode_32 0
		.amdhsa_float_round_mode_16_64 0
		.amdhsa_float_denorm_mode_32 3
		.amdhsa_float_denorm_mode_16_64 3
		.amdhsa_fp16_overflow 0
		.amdhsa_workgroup_processor_mode 1
		.amdhsa_memory_ordered 1
		.amdhsa_forward_progress 1
		.amdhsa_inst_pref_size 1
		.amdhsa_round_robin_scheduling 0
		.amdhsa_exception_fp_ieee_invalid_op 0
		.amdhsa_exception_fp_denorm_src 0
		.amdhsa_exception_fp_ieee_div_zero 0
		.amdhsa_exception_fp_ieee_overflow 0
		.amdhsa_exception_fp_ieee_underflow 0
		.amdhsa_exception_fp_ieee_inexact 0
		.amdhsa_exception_int_div_zero 0
	.end_amdhsa_kernel
	.section	.text._ZL15flash_attn_tileILi96ELi96ELi1ELi4ELb1EEvPKcS1_S1_S1_S1_PKiPfP15HIP_vector_typeIfLj2EEffffjfiS5_IjLj3EEiiiiiiiiiiiliiliiiiil,"axG",@progbits,_ZL15flash_attn_tileILi96ELi96ELi1ELi4ELb1EEvPKcS1_S1_S1_S1_PKiPfP15HIP_vector_typeIfLj2EEffffjfiS5_IjLj3EEiiiiiiiiiiiliiliiiiil,comdat
.Lfunc_end82:
	.size	_ZL15flash_attn_tileILi96ELi96ELi1ELi4ELb1EEvPKcS1_S1_S1_S1_PKiPfP15HIP_vector_typeIfLj2EEffffjfiS5_IjLj3EEiiiiiiiiiiiliiliiiiil, .Lfunc_end82-_ZL15flash_attn_tileILi96ELi96ELi1ELi4ELb1EEvPKcS1_S1_S1_S1_PKiPfP15HIP_vector_typeIfLj2EEffffjfiS5_IjLj3EEiiiiiiiiiiiliiliiiiil
                                        ; -- End function
	.set _ZL15flash_attn_tileILi96ELi96ELi1ELi4ELb1EEvPKcS1_S1_S1_S1_PKiPfP15HIP_vector_typeIfLj2EEffffjfiS5_IjLj3EEiiiiiiiiiiiliiliiiiil.num_vgpr, max(0, .L_ZL14no_device_codePKciS0_iS0_.num_vgpr)
	.set _ZL15flash_attn_tileILi96ELi96ELi1ELi4ELb1EEvPKcS1_S1_S1_S1_PKiPfP15HIP_vector_typeIfLj2EEffffjfiS5_IjLj3EEiiiiiiiiiiiliiliiiiil.num_agpr, max(0, .L_ZL14no_device_codePKciS0_iS0_.num_agpr)
	.set _ZL15flash_attn_tileILi96ELi96ELi1ELi4ELb1EEvPKcS1_S1_S1_S1_PKiPfP15HIP_vector_typeIfLj2EEffffjfiS5_IjLj3EEiiiiiiiiiiiliiliiiiil.numbered_sgpr, max(33, .L_ZL14no_device_codePKciS0_iS0_.numbered_sgpr)
	.set _ZL15flash_attn_tileILi96ELi96ELi1ELi4ELb1EEvPKcS1_S1_S1_S1_PKiPfP15HIP_vector_typeIfLj2EEffffjfiS5_IjLj3EEiiiiiiiiiiiliiliiiiil.num_named_barrier, max(0, .L_ZL14no_device_codePKciS0_iS0_.num_named_barrier)
	.set _ZL15flash_attn_tileILi96ELi96ELi1ELi4ELb1EEvPKcS1_S1_S1_S1_PKiPfP15HIP_vector_typeIfLj2EEffffjfiS5_IjLj3EEiiiiiiiiiiiliiliiiiil.private_seg_size, 0+max(.L_ZL14no_device_codePKciS0_iS0_.private_seg_size)
	.set _ZL15flash_attn_tileILi96ELi96ELi1ELi4ELb1EEvPKcS1_S1_S1_S1_PKiPfP15HIP_vector_typeIfLj2EEffffjfiS5_IjLj3EEiiiiiiiiiiiliiliiiiil.uses_vcc, or(1, .L_ZL14no_device_codePKciS0_iS0_.uses_vcc)
	.set _ZL15flash_attn_tileILi96ELi96ELi1ELi4ELb1EEvPKcS1_S1_S1_S1_PKiPfP15HIP_vector_typeIfLj2EEffffjfiS5_IjLj3EEiiiiiiiiiiiliiliiiiil.uses_flat_scratch, or(0, .L_ZL14no_device_codePKciS0_iS0_.uses_flat_scratch)
	.set _ZL15flash_attn_tileILi96ELi96ELi1ELi4ELb1EEvPKcS1_S1_S1_S1_PKiPfP15HIP_vector_typeIfLj2EEffffjfiS5_IjLj3EEiiiiiiiiiiiliiliiiiil.has_dyn_sized_stack, or(0, .L_ZL14no_device_codePKciS0_iS0_.has_dyn_sized_stack)
	.set _ZL15flash_attn_tileILi96ELi96ELi1ELi4ELb1EEvPKcS1_S1_S1_S1_PKiPfP15HIP_vector_typeIfLj2EEffffjfiS5_IjLj3EEiiiiiiiiiiiliiliiiiil.has_recursion, or(0, .L_ZL14no_device_codePKciS0_iS0_.has_recursion)
	.set _ZL15flash_attn_tileILi96ELi96ELi1ELi4ELb1EEvPKcS1_S1_S1_S1_PKiPfP15HIP_vector_typeIfLj2EEffffjfiS5_IjLj3EEiiiiiiiiiiiliiliiiiil.has_indirect_call, or(0, .L_ZL14no_device_codePKciS0_iS0_.has_indirect_call)
	.section	.AMDGPU.csdata,"",@progbits
; Kernel info:
; codeLenInByte = 40
; TotalNumSgprs: 36
; NumVgprs: 40
; ScratchSize: 16
; MemoryBound: 0
; FloatMode: 240
; IeeeMode: 1
; LDSByteSize: 0 bytes/workgroup (compile time only)
; SGPRBlocks: 0
; VGPRBlocks: 4
; NumSGPRsForWavesPerEU: 36
; NumVGPRsForWavesPerEU: 40
; Occupancy: 16
; WaveLimiterHint : 1
; COMPUTE_PGM_RSRC2:SCRATCH_EN: 1
; COMPUTE_PGM_RSRC2:USER_SGPR: 2
; COMPUTE_PGM_RSRC2:TRAP_HANDLER: 0
; COMPUTE_PGM_RSRC2:TGID_X_EN: 1
; COMPUTE_PGM_RSRC2:TGID_Y_EN: 0
; COMPUTE_PGM_RSRC2:TGID_Z_EN: 0
; COMPUTE_PGM_RSRC2:TIDIG_COMP_CNT: 0
	.section	.text._ZL15flash_attn_tileILi96ELi96ELi32ELi2ELb1EEvPKcS1_S1_S1_S1_PKiPfP15HIP_vector_typeIfLj2EEffffjfiS5_IjLj3EEiiiiiiiiiiiliiliiiiil,"axG",@progbits,_ZL15flash_attn_tileILi96ELi96ELi32ELi2ELb1EEvPKcS1_S1_S1_S1_PKiPfP15HIP_vector_typeIfLj2EEffffjfiS5_IjLj3EEiiiiiiiiiiiliiliiiiil,comdat
	.globl	_ZL15flash_attn_tileILi96ELi96ELi32ELi2ELb1EEvPKcS1_S1_S1_S1_PKiPfP15HIP_vector_typeIfLj2EEffffjfiS5_IjLj3EEiiiiiiiiiiiliiliiiiil ; -- Begin function _ZL15flash_attn_tileILi96ELi96ELi32ELi2ELb1EEvPKcS1_S1_S1_S1_PKiPfP15HIP_vector_typeIfLj2EEffffjfiS5_IjLj3EEiiiiiiiiiiiliiliiiiil
	.p2align	8
	.type	_ZL15flash_attn_tileILi96ELi96ELi32ELi2ELb1EEvPKcS1_S1_S1_S1_PKiPfP15HIP_vector_typeIfLj2EEffffjfiS5_IjLj3EEiiiiiiiiiiiliiliiiiil,@function
_ZL15flash_attn_tileILi96ELi96ELi32ELi2ELb1EEvPKcS1_S1_S1_S1_PKiPfP15HIP_vector_typeIfLj2EEffffjfiS5_IjLj3EEiiiiiiiiiiiliiliiiiil: ; @_ZL15flash_attn_tileILi96ELi96ELi32ELi2ELb1EEvPKcS1_S1_S1_S1_PKiPfP15HIP_vector_typeIfLj2EEffffjfiS5_IjLj3EEiiiiiiiiiiiliiliiiiil
; %bb.0:
	s_getpc_b64 s[2:3]
	s_sext_i32_i16 s3, s3
	s_add_co_u32 s2, s2, _ZL14no_device_codePKciS0_iS0_@rel32@lo+8
	s_add_co_ci_u32 s3, s3, _ZL14no_device_codePKciS0_iS0_@rel32@hi+16
	s_add_nc_u64 s[8:9], s[0:1], 0xd0
	s_mov_b32 s32, 0
	s_swappc_b64 s[30:31], s[2:3]
	.section	.rodata,"a",@progbits
	.p2align	6, 0x0
	.amdhsa_kernel _ZL15flash_attn_tileILi96ELi96ELi32ELi2ELb1EEvPKcS1_S1_S1_S1_PKiPfP15HIP_vector_typeIfLj2EEffffjfiS5_IjLj3EEiiiiiiiiiiiliiliiiiil
		.amdhsa_group_segment_fixed_size 0
		.amdhsa_private_segment_fixed_size 16
		.amdhsa_kernarg_size 464
		.amdhsa_user_sgpr_count 2
		.amdhsa_user_sgpr_dispatch_ptr 0
		.amdhsa_user_sgpr_queue_ptr 0
		.amdhsa_user_sgpr_kernarg_segment_ptr 1
		.amdhsa_user_sgpr_dispatch_id 0
		.amdhsa_user_sgpr_private_segment_size 0
		.amdhsa_wavefront_size32 1
		.amdhsa_uses_dynamic_stack 0
		.amdhsa_enable_private_segment 1
		.amdhsa_system_sgpr_workgroup_id_x 1
		.amdhsa_system_sgpr_workgroup_id_y 0
		.amdhsa_system_sgpr_workgroup_id_z 0
		.amdhsa_system_sgpr_workgroup_info 0
		.amdhsa_system_vgpr_workitem_id 0
		.amdhsa_next_free_vgpr 40
		.amdhsa_next_free_sgpr 34
		.amdhsa_reserve_vcc 1
		.amdhsa_float_round_mode_32 0
		.amdhsa_float_round_mode_16_64 0
		.amdhsa_float_denorm_mode_32 3
		.amdhsa_float_denorm_mode_16_64 3
		.amdhsa_fp16_overflow 0
		.amdhsa_workgroup_processor_mode 1
		.amdhsa_memory_ordered 1
		.amdhsa_forward_progress 1
		.amdhsa_inst_pref_size 1
		.amdhsa_round_robin_scheduling 0
		.amdhsa_exception_fp_ieee_invalid_op 0
		.amdhsa_exception_fp_denorm_src 0
		.amdhsa_exception_fp_ieee_div_zero 0
		.amdhsa_exception_fp_ieee_overflow 0
		.amdhsa_exception_fp_ieee_underflow 0
		.amdhsa_exception_fp_ieee_inexact 0
		.amdhsa_exception_int_div_zero 0
	.end_amdhsa_kernel
	.section	.text._ZL15flash_attn_tileILi96ELi96ELi32ELi2ELb1EEvPKcS1_S1_S1_S1_PKiPfP15HIP_vector_typeIfLj2EEffffjfiS5_IjLj3EEiiiiiiiiiiiliiliiiiil,"axG",@progbits,_ZL15flash_attn_tileILi96ELi96ELi32ELi2ELb1EEvPKcS1_S1_S1_S1_PKiPfP15HIP_vector_typeIfLj2EEffffjfiS5_IjLj3EEiiiiiiiiiiiliiliiiiil,comdat
.Lfunc_end83:
	.size	_ZL15flash_attn_tileILi96ELi96ELi32ELi2ELb1EEvPKcS1_S1_S1_S1_PKiPfP15HIP_vector_typeIfLj2EEffffjfiS5_IjLj3EEiiiiiiiiiiiliiliiiiil, .Lfunc_end83-_ZL15flash_attn_tileILi96ELi96ELi32ELi2ELb1EEvPKcS1_S1_S1_S1_PKiPfP15HIP_vector_typeIfLj2EEffffjfiS5_IjLj3EEiiiiiiiiiiiliiliiiiil
                                        ; -- End function
	.set _ZL15flash_attn_tileILi96ELi96ELi32ELi2ELb1EEvPKcS1_S1_S1_S1_PKiPfP15HIP_vector_typeIfLj2EEffffjfiS5_IjLj3EEiiiiiiiiiiiliiliiiiil.num_vgpr, max(0, .L_ZL14no_device_codePKciS0_iS0_.num_vgpr)
	.set _ZL15flash_attn_tileILi96ELi96ELi32ELi2ELb1EEvPKcS1_S1_S1_S1_PKiPfP15HIP_vector_typeIfLj2EEffffjfiS5_IjLj3EEiiiiiiiiiiiliiliiiiil.num_agpr, max(0, .L_ZL14no_device_codePKciS0_iS0_.num_agpr)
	.set _ZL15flash_attn_tileILi96ELi96ELi32ELi2ELb1EEvPKcS1_S1_S1_S1_PKiPfP15HIP_vector_typeIfLj2EEffffjfiS5_IjLj3EEiiiiiiiiiiiliiliiiiil.numbered_sgpr, max(33, .L_ZL14no_device_codePKciS0_iS0_.numbered_sgpr)
	.set _ZL15flash_attn_tileILi96ELi96ELi32ELi2ELb1EEvPKcS1_S1_S1_S1_PKiPfP15HIP_vector_typeIfLj2EEffffjfiS5_IjLj3EEiiiiiiiiiiiliiliiiiil.num_named_barrier, max(0, .L_ZL14no_device_codePKciS0_iS0_.num_named_barrier)
	.set _ZL15flash_attn_tileILi96ELi96ELi32ELi2ELb1EEvPKcS1_S1_S1_S1_PKiPfP15HIP_vector_typeIfLj2EEffffjfiS5_IjLj3EEiiiiiiiiiiiliiliiiiil.private_seg_size, 0+max(.L_ZL14no_device_codePKciS0_iS0_.private_seg_size)
	.set _ZL15flash_attn_tileILi96ELi96ELi32ELi2ELb1EEvPKcS1_S1_S1_S1_PKiPfP15HIP_vector_typeIfLj2EEffffjfiS5_IjLj3EEiiiiiiiiiiiliiliiiiil.uses_vcc, or(1, .L_ZL14no_device_codePKciS0_iS0_.uses_vcc)
	.set _ZL15flash_attn_tileILi96ELi96ELi32ELi2ELb1EEvPKcS1_S1_S1_S1_PKiPfP15HIP_vector_typeIfLj2EEffffjfiS5_IjLj3EEiiiiiiiiiiiliiliiiiil.uses_flat_scratch, or(0, .L_ZL14no_device_codePKciS0_iS0_.uses_flat_scratch)
	.set _ZL15flash_attn_tileILi96ELi96ELi32ELi2ELb1EEvPKcS1_S1_S1_S1_PKiPfP15HIP_vector_typeIfLj2EEffffjfiS5_IjLj3EEiiiiiiiiiiiliiliiiiil.has_dyn_sized_stack, or(0, .L_ZL14no_device_codePKciS0_iS0_.has_dyn_sized_stack)
	.set _ZL15flash_attn_tileILi96ELi96ELi32ELi2ELb1EEvPKcS1_S1_S1_S1_PKiPfP15HIP_vector_typeIfLj2EEffffjfiS5_IjLj3EEiiiiiiiiiiiliiliiiiil.has_recursion, or(0, .L_ZL14no_device_codePKciS0_iS0_.has_recursion)
	.set _ZL15flash_attn_tileILi96ELi96ELi32ELi2ELb1EEvPKcS1_S1_S1_S1_PKiPfP15HIP_vector_typeIfLj2EEffffjfiS5_IjLj3EEiiiiiiiiiiiliiliiiiil.has_indirect_call, or(0, .L_ZL14no_device_codePKciS0_iS0_.has_indirect_call)
	.section	.AMDGPU.csdata,"",@progbits
; Kernel info:
; codeLenInByte = 40
; TotalNumSgprs: 36
; NumVgprs: 40
; ScratchSize: 16
; MemoryBound: 0
; FloatMode: 240
; IeeeMode: 1
; LDSByteSize: 0 bytes/workgroup (compile time only)
; SGPRBlocks: 0
; VGPRBlocks: 4
; NumSGPRsForWavesPerEU: 36
; NumVGPRsForWavesPerEU: 40
; Occupancy: 16
; WaveLimiterHint : 1
; COMPUTE_PGM_RSRC2:SCRATCH_EN: 1
; COMPUTE_PGM_RSRC2:USER_SGPR: 2
; COMPUTE_PGM_RSRC2:TRAP_HANDLER: 0
; COMPUTE_PGM_RSRC2:TGID_X_EN: 1
; COMPUTE_PGM_RSRC2:TGID_Y_EN: 0
; COMPUTE_PGM_RSRC2:TGID_Z_EN: 0
; COMPUTE_PGM_RSRC2:TIDIG_COMP_CNT: 0
	.section	.text._ZL15flash_attn_tileILi96ELi96ELi16ELi2ELb1EEvPKcS1_S1_S1_S1_PKiPfP15HIP_vector_typeIfLj2EEffffjfiS5_IjLj3EEiiiiiiiiiiiliiliiiiil,"axG",@progbits,_ZL15flash_attn_tileILi96ELi96ELi16ELi2ELb1EEvPKcS1_S1_S1_S1_PKiPfP15HIP_vector_typeIfLj2EEffffjfiS5_IjLj3EEiiiiiiiiiiiliiliiiiil,comdat
	.globl	_ZL15flash_attn_tileILi96ELi96ELi16ELi2ELb1EEvPKcS1_S1_S1_S1_PKiPfP15HIP_vector_typeIfLj2EEffffjfiS5_IjLj3EEiiiiiiiiiiiliiliiiiil ; -- Begin function _ZL15flash_attn_tileILi96ELi96ELi16ELi2ELb1EEvPKcS1_S1_S1_S1_PKiPfP15HIP_vector_typeIfLj2EEffffjfiS5_IjLj3EEiiiiiiiiiiiliiliiiiil
	.p2align	8
	.type	_ZL15flash_attn_tileILi96ELi96ELi16ELi2ELb1EEvPKcS1_S1_S1_S1_PKiPfP15HIP_vector_typeIfLj2EEffffjfiS5_IjLj3EEiiiiiiiiiiiliiliiiiil,@function
_ZL15flash_attn_tileILi96ELi96ELi16ELi2ELb1EEvPKcS1_S1_S1_S1_PKiPfP15HIP_vector_typeIfLj2EEffffjfiS5_IjLj3EEiiiiiiiiiiiliiliiiiil: ; @_ZL15flash_attn_tileILi96ELi96ELi16ELi2ELb1EEvPKcS1_S1_S1_S1_PKiPfP15HIP_vector_typeIfLj2EEffffjfiS5_IjLj3EEiiiiiiiiiiiliiliiiiil
; %bb.0:
	s_getpc_b64 s[2:3]
	s_sext_i32_i16 s3, s3
	s_add_co_u32 s2, s2, _ZL14no_device_codePKciS0_iS0_@rel32@lo+8
	s_add_co_ci_u32 s3, s3, _ZL14no_device_codePKciS0_iS0_@rel32@hi+16
	s_add_nc_u64 s[8:9], s[0:1], 0xd0
	s_mov_b32 s32, 0
	s_swappc_b64 s[30:31], s[2:3]
	.section	.rodata,"a",@progbits
	.p2align	6, 0x0
	.amdhsa_kernel _ZL15flash_attn_tileILi96ELi96ELi16ELi2ELb1EEvPKcS1_S1_S1_S1_PKiPfP15HIP_vector_typeIfLj2EEffffjfiS5_IjLj3EEiiiiiiiiiiiliiliiiiil
		.amdhsa_group_segment_fixed_size 0
		.amdhsa_private_segment_fixed_size 16
		.amdhsa_kernarg_size 464
		.amdhsa_user_sgpr_count 2
		.amdhsa_user_sgpr_dispatch_ptr 0
		.amdhsa_user_sgpr_queue_ptr 0
		.amdhsa_user_sgpr_kernarg_segment_ptr 1
		.amdhsa_user_sgpr_dispatch_id 0
		.amdhsa_user_sgpr_private_segment_size 0
		.amdhsa_wavefront_size32 1
		.amdhsa_uses_dynamic_stack 0
		.amdhsa_enable_private_segment 1
		.amdhsa_system_sgpr_workgroup_id_x 1
		.amdhsa_system_sgpr_workgroup_id_y 0
		.amdhsa_system_sgpr_workgroup_id_z 0
		.amdhsa_system_sgpr_workgroup_info 0
		.amdhsa_system_vgpr_workitem_id 0
		.amdhsa_next_free_vgpr 40
		.amdhsa_next_free_sgpr 34
		.amdhsa_reserve_vcc 1
		.amdhsa_float_round_mode_32 0
		.amdhsa_float_round_mode_16_64 0
		.amdhsa_float_denorm_mode_32 3
		.amdhsa_float_denorm_mode_16_64 3
		.amdhsa_fp16_overflow 0
		.amdhsa_workgroup_processor_mode 1
		.amdhsa_memory_ordered 1
		.amdhsa_forward_progress 1
		.amdhsa_inst_pref_size 1
		.amdhsa_round_robin_scheduling 0
		.amdhsa_exception_fp_ieee_invalid_op 0
		.amdhsa_exception_fp_denorm_src 0
		.amdhsa_exception_fp_ieee_div_zero 0
		.amdhsa_exception_fp_ieee_overflow 0
		.amdhsa_exception_fp_ieee_underflow 0
		.amdhsa_exception_fp_ieee_inexact 0
		.amdhsa_exception_int_div_zero 0
	.end_amdhsa_kernel
	.section	.text._ZL15flash_attn_tileILi96ELi96ELi16ELi2ELb1EEvPKcS1_S1_S1_S1_PKiPfP15HIP_vector_typeIfLj2EEffffjfiS5_IjLj3EEiiiiiiiiiiiliiliiiiil,"axG",@progbits,_ZL15flash_attn_tileILi96ELi96ELi16ELi2ELb1EEvPKcS1_S1_S1_S1_PKiPfP15HIP_vector_typeIfLj2EEffffjfiS5_IjLj3EEiiiiiiiiiiiliiliiiiil,comdat
.Lfunc_end84:
	.size	_ZL15flash_attn_tileILi96ELi96ELi16ELi2ELb1EEvPKcS1_S1_S1_S1_PKiPfP15HIP_vector_typeIfLj2EEffffjfiS5_IjLj3EEiiiiiiiiiiiliiliiiiil, .Lfunc_end84-_ZL15flash_attn_tileILi96ELi96ELi16ELi2ELb1EEvPKcS1_S1_S1_S1_PKiPfP15HIP_vector_typeIfLj2EEffffjfiS5_IjLj3EEiiiiiiiiiiiliiliiiiil
                                        ; -- End function
	.set _ZL15flash_attn_tileILi96ELi96ELi16ELi2ELb1EEvPKcS1_S1_S1_S1_PKiPfP15HIP_vector_typeIfLj2EEffffjfiS5_IjLj3EEiiiiiiiiiiiliiliiiiil.num_vgpr, max(0, .L_ZL14no_device_codePKciS0_iS0_.num_vgpr)
	.set _ZL15flash_attn_tileILi96ELi96ELi16ELi2ELb1EEvPKcS1_S1_S1_S1_PKiPfP15HIP_vector_typeIfLj2EEffffjfiS5_IjLj3EEiiiiiiiiiiiliiliiiiil.num_agpr, max(0, .L_ZL14no_device_codePKciS0_iS0_.num_agpr)
	.set _ZL15flash_attn_tileILi96ELi96ELi16ELi2ELb1EEvPKcS1_S1_S1_S1_PKiPfP15HIP_vector_typeIfLj2EEffffjfiS5_IjLj3EEiiiiiiiiiiiliiliiiiil.numbered_sgpr, max(33, .L_ZL14no_device_codePKciS0_iS0_.numbered_sgpr)
	.set _ZL15flash_attn_tileILi96ELi96ELi16ELi2ELb1EEvPKcS1_S1_S1_S1_PKiPfP15HIP_vector_typeIfLj2EEffffjfiS5_IjLj3EEiiiiiiiiiiiliiliiiiil.num_named_barrier, max(0, .L_ZL14no_device_codePKciS0_iS0_.num_named_barrier)
	.set _ZL15flash_attn_tileILi96ELi96ELi16ELi2ELb1EEvPKcS1_S1_S1_S1_PKiPfP15HIP_vector_typeIfLj2EEffffjfiS5_IjLj3EEiiiiiiiiiiiliiliiiiil.private_seg_size, 0+max(.L_ZL14no_device_codePKciS0_iS0_.private_seg_size)
	.set _ZL15flash_attn_tileILi96ELi96ELi16ELi2ELb1EEvPKcS1_S1_S1_S1_PKiPfP15HIP_vector_typeIfLj2EEffffjfiS5_IjLj3EEiiiiiiiiiiiliiliiiiil.uses_vcc, or(1, .L_ZL14no_device_codePKciS0_iS0_.uses_vcc)
	.set _ZL15flash_attn_tileILi96ELi96ELi16ELi2ELb1EEvPKcS1_S1_S1_S1_PKiPfP15HIP_vector_typeIfLj2EEffffjfiS5_IjLj3EEiiiiiiiiiiiliiliiiiil.uses_flat_scratch, or(0, .L_ZL14no_device_codePKciS0_iS0_.uses_flat_scratch)
	.set _ZL15flash_attn_tileILi96ELi96ELi16ELi2ELb1EEvPKcS1_S1_S1_S1_PKiPfP15HIP_vector_typeIfLj2EEffffjfiS5_IjLj3EEiiiiiiiiiiiliiliiiiil.has_dyn_sized_stack, or(0, .L_ZL14no_device_codePKciS0_iS0_.has_dyn_sized_stack)
	.set _ZL15flash_attn_tileILi96ELi96ELi16ELi2ELb1EEvPKcS1_S1_S1_S1_PKiPfP15HIP_vector_typeIfLj2EEffffjfiS5_IjLj3EEiiiiiiiiiiiliiliiiiil.has_recursion, or(0, .L_ZL14no_device_codePKciS0_iS0_.has_recursion)
	.set _ZL15flash_attn_tileILi96ELi96ELi16ELi2ELb1EEvPKcS1_S1_S1_S1_PKiPfP15HIP_vector_typeIfLj2EEffffjfiS5_IjLj3EEiiiiiiiiiiiliiliiiiil.has_indirect_call, or(0, .L_ZL14no_device_codePKciS0_iS0_.has_indirect_call)
	.section	.AMDGPU.csdata,"",@progbits
; Kernel info:
; codeLenInByte = 40
; TotalNumSgprs: 36
; NumVgprs: 40
; ScratchSize: 16
; MemoryBound: 0
; FloatMode: 240
; IeeeMode: 1
; LDSByteSize: 0 bytes/workgroup (compile time only)
; SGPRBlocks: 0
; VGPRBlocks: 4
; NumSGPRsForWavesPerEU: 36
; NumVGPRsForWavesPerEU: 40
; Occupancy: 16
; WaveLimiterHint : 1
; COMPUTE_PGM_RSRC2:SCRATCH_EN: 1
; COMPUTE_PGM_RSRC2:USER_SGPR: 2
; COMPUTE_PGM_RSRC2:TRAP_HANDLER: 0
; COMPUTE_PGM_RSRC2:TGID_X_EN: 1
; COMPUTE_PGM_RSRC2:TGID_Y_EN: 0
; COMPUTE_PGM_RSRC2:TGID_Z_EN: 0
; COMPUTE_PGM_RSRC2:TIDIG_COMP_CNT: 0
	.section	.text._ZL15flash_attn_tileILi96ELi96ELi8ELi2ELb1EEvPKcS1_S1_S1_S1_PKiPfP15HIP_vector_typeIfLj2EEffffjfiS5_IjLj3EEiiiiiiiiiiiliiliiiiil,"axG",@progbits,_ZL15flash_attn_tileILi96ELi96ELi8ELi2ELb1EEvPKcS1_S1_S1_S1_PKiPfP15HIP_vector_typeIfLj2EEffffjfiS5_IjLj3EEiiiiiiiiiiiliiliiiiil,comdat
	.globl	_ZL15flash_attn_tileILi96ELi96ELi8ELi2ELb1EEvPKcS1_S1_S1_S1_PKiPfP15HIP_vector_typeIfLj2EEffffjfiS5_IjLj3EEiiiiiiiiiiiliiliiiiil ; -- Begin function _ZL15flash_attn_tileILi96ELi96ELi8ELi2ELb1EEvPKcS1_S1_S1_S1_PKiPfP15HIP_vector_typeIfLj2EEffffjfiS5_IjLj3EEiiiiiiiiiiiliiliiiiil
	.p2align	8
	.type	_ZL15flash_attn_tileILi96ELi96ELi8ELi2ELb1EEvPKcS1_S1_S1_S1_PKiPfP15HIP_vector_typeIfLj2EEffffjfiS5_IjLj3EEiiiiiiiiiiiliiliiiiil,@function
_ZL15flash_attn_tileILi96ELi96ELi8ELi2ELb1EEvPKcS1_S1_S1_S1_PKiPfP15HIP_vector_typeIfLj2EEffffjfiS5_IjLj3EEiiiiiiiiiiiliiliiiiil: ; @_ZL15flash_attn_tileILi96ELi96ELi8ELi2ELb1EEvPKcS1_S1_S1_S1_PKiPfP15HIP_vector_typeIfLj2EEffffjfiS5_IjLj3EEiiiiiiiiiiiliiliiiiil
; %bb.0:
	s_getpc_b64 s[2:3]
	s_sext_i32_i16 s3, s3
	s_add_co_u32 s2, s2, _ZL14no_device_codePKciS0_iS0_@rel32@lo+8
	s_add_co_ci_u32 s3, s3, _ZL14no_device_codePKciS0_iS0_@rel32@hi+16
	s_add_nc_u64 s[8:9], s[0:1], 0xd0
	s_mov_b32 s32, 0
	s_swappc_b64 s[30:31], s[2:3]
	.section	.rodata,"a",@progbits
	.p2align	6, 0x0
	.amdhsa_kernel _ZL15flash_attn_tileILi96ELi96ELi8ELi2ELb1EEvPKcS1_S1_S1_S1_PKiPfP15HIP_vector_typeIfLj2EEffffjfiS5_IjLj3EEiiiiiiiiiiiliiliiiiil
		.amdhsa_group_segment_fixed_size 0
		.amdhsa_private_segment_fixed_size 16
		.amdhsa_kernarg_size 464
		.amdhsa_user_sgpr_count 2
		.amdhsa_user_sgpr_dispatch_ptr 0
		.amdhsa_user_sgpr_queue_ptr 0
		.amdhsa_user_sgpr_kernarg_segment_ptr 1
		.amdhsa_user_sgpr_dispatch_id 0
		.amdhsa_user_sgpr_private_segment_size 0
		.amdhsa_wavefront_size32 1
		.amdhsa_uses_dynamic_stack 0
		.amdhsa_enable_private_segment 1
		.amdhsa_system_sgpr_workgroup_id_x 1
		.amdhsa_system_sgpr_workgroup_id_y 0
		.amdhsa_system_sgpr_workgroup_id_z 0
		.amdhsa_system_sgpr_workgroup_info 0
		.amdhsa_system_vgpr_workitem_id 0
		.amdhsa_next_free_vgpr 40
		.amdhsa_next_free_sgpr 34
		.amdhsa_reserve_vcc 1
		.amdhsa_float_round_mode_32 0
		.amdhsa_float_round_mode_16_64 0
		.amdhsa_float_denorm_mode_32 3
		.amdhsa_float_denorm_mode_16_64 3
		.amdhsa_fp16_overflow 0
		.amdhsa_workgroup_processor_mode 1
		.amdhsa_memory_ordered 1
		.amdhsa_forward_progress 1
		.amdhsa_inst_pref_size 1
		.amdhsa_round_robin_scheduling 0
		.amdhsa_exception_fp_ieee_invalid_op 0
		.amdhsa_exception_fp_denorm_src 0
		.amdhsa_exception_fp_ieee_div_zero 0
		.amdhsa_exception_fp_ieee_overflow 0
		.amdhsa_exception_fp_ieee_underflow 0
		.amdhsa_exception_fp_ieee_inexact 0
		.amdhsa_exception_int_div_zero 0
	.end_amdhsa_kernel
	.section	.text._ZL15flash_attn_tileILi96ELi96ELi8ELi2ELb1EEvPKcS1_S1_S1_S1_PKiPfP15HIP_vector_typeIfLj2EEffffjfiS5_IjLj3EEiiiiiiiiiiiliiliiiiil,"axG",@progbits,_ZL15flash_attn_tileILi96ELi96ELi8ELi2ELb1EEvPKcS1_S1_S1_S1_PKiPfP15HIP_vector_typeIfLj2EEffffjfiS5_IjLj3EEiiiiiiiiiiiliiliiiiil,comdat
.Lfunc_end85:
	.size	_ZL15flash_attn_tileILi96ELi96ELi8ELi2ELb1EEvPKcS1_S1_S1_S1_PKiPfP15HIP_vector_typeIfLj2EEffffjfiS5_IjLj3EEiiiiiiiiiiiliiliiiiil, .Lfunc_end85-_ZL15flash_attn_tileILi96ELi96ELi8ELi2ELb1EEvPKcS1_S1_S1_S1_PKiPfP15HIP_vector_typeIfLj2EEffffjfiS5_IjLj3EEiiiiiiiiiiiliiliiiiil
                                        ; -- End function
	.set _ZL15flash_attn_tileILi96ELi96ELi8ELi2ELb1EEvPKcS1_S1_S1_S1_PKiPfP15HIP_vector_typeIfLj2EEffffjfiS5_IjLj3EEiiiiiiiiiiiliiliiiiil.num_vgpr, max(0, .L_ZL14no_device_codePKciS0_iS0_.num_vgpr)
	.set _ZL15flash_attn_tileILi96ELi96ELi8ELi2ELb1EEvPKcS1_S1_S1_S1_PKiPfP15HIP_vector_typeIfLj2EEffffjfiS5_IjLj3EEiiiiiiiiiiiliiliiiiil.num_agpr, max(0, .L_ZL14no_device_codePKciS0_iS0_.num_agpr)
	.set _ZL15flash_attn_tileILi96ELi96ELi8ELi2ELb1EEvPKcS1_S1_S1_S1_PKiPfP15HIP_vector_typeIfLj2EEffffjfiS5_IjLj3EEiiiiiiiiiiiliiliiiiil.numbered_sgpr, max(33, .L_ZL14no_device_codePKciS0_iS0_.numbered_sgpr)
	.set _ZL15flash_attn_tileILi96ELi96ELi8ELi2ELb1EEvPKcS1_S1_S1_S1_PKiPfP15HIP_vector_typeIfLj2EEffffjfiS5_IjLj3EEiiiiiiiiiiiliiliiiiil.num_named_barrier, max(0, .L_ZL14no_device_codePKciS0_iS0_.num_named_barrier)
	.set _ZL15flash_attn_tileILi96ELi96ELi8ELi2ELb1EEvPKcS1_S1_S1_S1_PKiPfP15HIP_vector_typeIfLj2EEffffjfiS5_IjLj3EEiiiiiiiiiiiliiliiiiil.private_seg_size, 0+max(.L_ZL14no_device_codePKciS0_iS0_.private_seg_size)
	.set _ZL15flash_attn_tileILi96ELi96ELi8ELi2ELb1EEvPKcS1_S1_S1_S1_PKiPfP15HIP_vector_typeIfLj2EEffffjfiS5_IjLj3EEiiiiiiiiiiiliiliiiiil.uses_vcc, or(1, .L_ZL14no_device_codePKciS0_iS0_.uses_vcc)
	.set _ZL15flash_attn_tileILi96ELi96ELi8ELi2ELb1EEvPKcS1_S1_S1_S1_PKiPfP15HIP_vector_typeIfLj2EEffffjfiS5_IjLj3EEiiiiiiiiiiiliiliiiiil.uses_flat_scratch, or(0, .L_ZL14no_device_codePKciS0_iS0_.uses_flat_scratch)
	.set _ZL15flash_attn_tileILi96ELi96ELi8ELi2ELb1EEvPKcS1_S1_S1_S1_PKiPfP15HIP_vector_typeIfLj2EEffffjfiS5_IjLj3EEiiiiiiiiiiiliiliiiiil.has_dyn_sized_stack, or(0, .L_ZL14no_device_codePKciS0_iS0_.has_dyn_sized_stack)
	.set _ZL15flash_attn_tileILi96ELi96ELi8ELi2ELb1EEvPKcS1_S1_S1_S1_PKiPfP15HIP_vector_typeIfLj2EEffffjfiS5_IjLj3EEiiiiiiiiiiiliiliiiiil.has_recursion, or(0, .L_ZL14no_device_codePKciS0_iS0_.has_recursion)
	.set _ZL15flash_attn_tileILi96ELi96ELi8ELi2ELb1EEvPKcS1_S1_S1_S1_PKiPfP15HIP_vector_typeIfLj2EEffffjfiS5_IjLj3EEiiiiiiiiiiiliiliiiiil.has_indirect_call, or(0, .L_ZL14no_device_codePKciS0_iS0_.has_indirect_call)
	.section	.AMDGPU.csdata,"",@progbits
; Kernel info:
; codeLenInByte = 40
; TotalNumSgprs: 36
; NumVgprs: 40
; ScratchSize: 16
; MemoryBound: 0
; FloatMode: 240
; IeeeMode: 1
; LDSByteSize: 0 bytes/workgroup (compile time only)
; SGPRBlocks: 0
; VGPRBlocks: 4
; NumSGPRsForWavesPerEU: 36
; NumVGPRsForWavesPerEU: 40
; Occupancy: 16
; WaveLimiterHint : 1
; COMPUTE_PGM_RSRC2:SCRATCH_EN: 1
; COMPUTE_PGM_RSRC2:USER_SGPR: 2
; COMPUTE_PGM_RSRC2:TRAP_HANDLER: 0
; COMPUTE_PGM_RSRC2:TGID_X_EN: 1
; COMPUTE_PGM_RSRC2:TGID_Y_EN: 0
; COMPUTE_PGM_RSRC2:TGID_Z_EN: 0
; COMPUTE_PGM_RSRC2:TIDIG_COMP_CNT: 0
	.section	.text._ZL15flash_attn_tileILi96ELi96ELi4ELi2ELb1EEvPKcS1_S1_S1_S1_PKiPfP15HIP_vector_typeIfLj2EEffffjfiS5_IjLj3EEiiiiiiiiiiiliiliiiiil,"axG",@progbits,_ZL15flash_attn_tileILi96ELi96ELi4ELi2ELb1EEvPKcS1_S1_S1_S1_PKiPfP15HIP_vector_typeIfLj2EEffffjfiS5_IjLj3EEiiiiiiiiiiiliiliiiiil,comdat
	.globl	_ZL15flash_attn_tileILi96ELi96ELi4ELi2ELb1EEvPKcS1_S1_S1_S1_PKiPfP15HIP_vector_typeIfLj2EEffffjfiS5_IjLj3EEiiiiiiiiiiiliiliiiiil ; -- Begin function _ZL15flash_attn_tileILi96ELi96ELi4ELi2ELb1EEvPKcS1_S1_S1_S1_PKiPfP15HIP_vector_typeIfLj2EEffffjfiS5_IjLj3EEiiiiiiiiiiiliiliiiiil
	.p2align	8
	.type	_ZL15flash_attn_tileILi96ELi96ELi4ELi2ELb1EEvPKcS1_S1_S1_S1_PKiPfP15HIP_vector_typeIfLj2EEffffjfiS5_IjLj3EEiiiiiiiiiiiliiliiiiil,@function
_ZL15flash_attn_tileILi96ELi96ELi4ELi2ELb1EEvPKcS1_S1_S1_S1_PKiPfP15HIP_vector_typeIfLj2EEffffjfiS5_IjLj3EEiiiiiiiiiiiliiliiiiil: ; @_ZL15flash_attn_tileILi96ELi96ELi4ELi2ELb1EEvPKcS1_S1_S1_S1_PKiPfP15HIP_vector_typeIfLj2EEffffjfiS5_IjLj3EEiiiiiiiiiiiliiliiiiil
; %bb.0:
	s_getpc_b64 s[2:3]
	s_sext_i32_i16 s3, s3
	s_add_co_u32 s2, s2, _ZL14no_device_codePKciS0_iS0_@rel32@lo+8
	s_add_co_ci_u32 s3, s3, _ZL14no_device_codePKciS0_iS0_@rel32@hi+16
	s_add_nc_u64 s[8:9], s[0:1], 0xd0
	s_mov_b32 s32, 0
	s_swappc_b64 s[30:31], s[2:3]
	.section	.rodata,"a",@progbits
	.p2align	6, 0x0
	.amdhsa_kernel _ZL15flash_attn_tileILi96ELi96ELi4ELi2ELb1EEvPKcS1_S1_S1_S1_PKiPfP15HIP_vector_typeIfLj2EEffffjfiS5_IjLj3EEiiiiiiiiiiiliiliiiiil
		.amdhsa_group_segment_fixed_size 0
		.amdhsa_private_segment_fixed_size 16
		.amdhsa_kernarg_size 464
		.amdhsa_user_sgpr_count 2
		.amdhsa_user_sgpr_dispatch_ptr 0
		.amdhsa_user_sgpr_queue_ptr 0
		.amdhsa_user_sgpr_kernarg_segment_ptr 1
		.amdhsa_user_sgpr_dispatch_id 0
		.amdhsa_user_sgpr_private_segment_size 0
		.amdhsa_wavefront_size32 1
		.amdhsa_uses_dynamic_stack 0
		.amdhsa_enable_private_segment 1
		.amdhsa_system_sgpr_workgroup_id_x 1
		.amdhsa_system_sgpr_workgroup_id_y 0
		.amdhsa_system_sgpr_workgroup_id_z 0
		.amdhsa_system_sgpr_workgroup_info 0
		.amdhsa_system_vgpr_workitem_id 0
		.amdhsa_next_free_vgpr 40
		.amdhsa_next_free_sgpr 34
		.amdhsa_reserve_vcc 1
		.amdhsa_float_round_mode_32 0
		.amdhsa_float_round_mode_16_64 0
		.amdhsa_float_denorm_mode_32 3
		.amdhsa_float_denorm_mode_16_64 3
		.amdhsa_fp16_overflow 0
		.amdhsa_workgroup_processor_mode 1
		.amdhsa_memory_ordered 1
		.amdhsa_forward_progress 1
		.amdhsa_inst_pref_size 1
		.amdhsa_round_robin_scheduling 0
		.amdhsa_exception_fp_ieee_invalid_op 0
		.amdhsa_exception_fp_denorm_src 0
		.amdhsa_exception_fp_ieee_div_zero 0
		.amdhsa_exception_fp_ieee_overflow 0
		.amdhsa_exception_fp_ieee_underflow 0
		.amdhsa_exception_fp_ieee_inexact 0
		.amdhsa_exception_int_div_zero 0
	.end_amdhsa_kernel
	.section	.text._ZL15flash_attn_tileILi96ELi96ELi4ELi2ELb1EEvPKcS1_S1_S1_S1_PKiPfP15HIP_vector_typeIfLj2EEffffjfiS5_IjLj3EEiiiiiiiiiiiliiliiiiil,"axG",@progbits,_ZL15flash_attn_tileILi96ELi96ELi4ELi2ELb1EEvPKcS1_S1_S1_S1_PKiPfP15HIP_vector_typeIfLj2EEffffjfiS5_IjLj3EEiiiiiiiiiiiliiliiiiil,comdat
.Lfunc_end86:
	.size	_ZL15flash_attn_tileILi96ELi96ELi4ELi2ELb1EEvPKcS1_S1_S1_S1_PKiPfP15HIP_vector_typeIfLj2EEffffjfiS5_IjLj3EEiiiiiiiiiiiliiliiiiil, .Lfunc_end86-_ZL15flash_attn_tileILi96ELi96ELi4ELi2ELb1EEvPKcS1_S1_S1_S1_PKiPfP15HIP_vector_typeIfLj2EEffffjfiS5_IjLj3EEiiiiiiiiiiiliiliiiiil
                                        ; -- End function
	.set _ZL15flash_attn_tileILi96ELi96ELi4ELi2ELb1EEvPKcS1_S1_S1_S1_PKiPfP15HIP_vector_typeIfLj2EEffffjfiS5_IjLj3EEiiiiiiiiiiiliiliiiiil.num_vgpr, max(0, .L_ZL14no_device_codePKciS0_iS0_.num_vgpr)
	.set _ZL15flash_attn_tileILi96ELi96ELi4ELi2ELb1EEvPKcS1_S1_S1_S1_PKiPfP15HIP_vector_typeIfLj2EEffffjfiS5_IjLj3EEiiiiiiiiiiiliiliiiiil.num_agpr, max(0, .L_ZL14no_device_codePKciS0_iS0_.num_agpr)
	.set _ZL15flash_attn_tileILi96ELi96ELi4ELi2ELb1EEvPKcS1_S1_S1_S1_PKiPfP15HIP_vector_typeIfLj2EEffffjfiS5_IjLj3EEiiiiiiiiiiiliiliiiiil.numbered_sgpr, max(33, .L_ZL14no_device_codePKciS0_iS0_.numbered_sgpr)
	.set _ZL15flash_attn_tileILi96ELi96ELi4ELi2ELb1EEvPKcS1_S1_S1_S1_PKiPfP15HIP_vector_typeIfLj2EEffffjfiS5_IjLj3EEiiiiiiiiiiiliiliiiiil.num_named_barrier, max(0, .L_ZL14no_device_codePKciS0_iS0_.num_named_barrier)
	.set _ZL15flash_attn_tileILi96ELi96ELi4ELi2ELb1EEvPKcS1_S1_S1_S1_PKiPfP15HIP_vector_typeIfLj2EEffffjfiS5_IjLj3EEiiiiiiiiiiiliiliiiiil.private_seg_size, 0+max(.L_ZL14no_device_codePKciS0_iS0_.private_seg_size)
	.set _ZL15flash_attn_tileILi96ELi96ELi4ELi2ELb1EEvPKcS1_S1_S1_S1_PKiPfP15HIP_vector_typeIfLj2EEffffjfiS5_IjLj3EEiiiiiiiiiiiliiliiiiil.uses_vcc, or(1, .L_ZL14no_device_codePKciS0_iS0_.uses_vcc)
	.set _ZL15flash_attn_tileILi96ELi96ELi4ELi2ELb1EEvPKcS1_S1_S1_S1_PKiPfP15HIP_vector_typeIfLj2EEffffjfiS5_IjLj3EEiiiiiiiiiiiliiliiiiil.uses_flat_scratch, or(0, .L_ZL14no_device_codePKciS0_iS0_.uses_flat_scratch)
	.set _ZL15flash_attn_tileILi96ELi96ELi4ELi2ELb1EEvPKcS1_S1_S1_S1_PKiPfP15HIP_vector_typeIfLj2EEffffjfiS5_IjLj3EEiiiiiiiiiiiliiliiiiil.has_dyn_sized_stack, or(0, .L_ZL14no_device_codePKciS0_iS0_.has_dyn_sized_stack)
	.set _ZL15flash_attn_tileILi96ELi96ELi4ELi2ELb1EEvPKcS1_S1_S1_S1_PKiPfP15HIP_vector_typeIfLj2EEffffjfiS5_IjLj3EEiiiiiiiiiiiliiliiiiil.has_recursion, or(0, .L_ZL14no_device_codePKciS0_iS0_.has_recursion)
	.set _ZL15flash_attn_tileILi96ELi96ELi4ELi2ELb1EEvPKcS1_S1_S1_S1_PKiPfP15HIP_vector_typeIfLj2EEffffjfiS5_IjLj3EEiiiiiiiiiiiliiliiiiil.has_indirect_call, or(0, .L_ZL14no_device_codePKciS0_iS0_.has_indirect_call)
	.section	.AMDGPU.csdata,"",@progbits
; Kernel info:
; codeLenInByte = 40
; TotalNumSgprs: 36
; NumVgprs: 40
; ScratchSize: 16
; MemoryBound: 0
; FloatMode: 240
; IeeeMode: 1
; LDSByteSize: 0 bytes/workgroup (compile time only)
; SGPRBlocks: 0
; VGPRBlocks: 4
; NumSGPRsForWavesPerEU: 36
; NumVGPRsForWavesPerEU: 40
; Occupancy: 16
; WaveLimiterHint : 1
; COMPUTE_PGM_RSRC2:SCRATCH_EN: 1
; COMPUTE_PGM_RSRC2:USER_SGPR: 2
; COMPUTE_PGM_RSRC2:TRAP_HANDLER: 0
; COMPUTE_PGM_RSRC2:TGID_X_EN: 1
; COMPUTE_PGM_RSRC2:TGID_Y_EN: 0
; COMPUTE_PGM_RSRC2:TGID_Z_EN: 0
; COMPUTE_PGM_RSRC2:TIDIG_COMP_CNT: 0
	.section	.text._ZL15flash_attn_tileILi96ELi96ELi2ELi2ELb1EEvPKcS1_S1_S1_S1_PKiPfP15HIP_vector_typeIfLj2EEffffjfiS5_IjLj3EEiiiiiiiiiiiliiliiiiil,"axG",@progbits,_ZL15flash_attn_tileILi96ELi96ELi2ELi2ELb1EEvPKcS1_S1_S1_S1_PKiPfP15HIP_vector_typeIfLj2EEffffjfiS5_IjLj3EEiiiiiiiiiiiliiliiiiil,comdat
	.globl	_ZL15flash_attn_tileILi96ELi96ELi2ELi2ELb1EEvPKcS1_S1_S1_S1_PKiPfP15HIP_vector_typeIfLj2EEffffjfiS5_IjLj3EEiiiiiiiiiiiliiliiiiil ; -- Begin function _ZL15flash_attn_tileILi96ELi96ELi2ELi2ELb1EEvPKcS1_S1_S1_S1_PKiPfP15HIP_vector_typeIfLj2EEffffjfiS5_IjLj3EEiiiiiiiiiiiliiliiiiil
	.p2align	8
	.type	_ZL15flash_attn_tileILi96ELi96ELi2ELi2ELb1EEvPKcS1_S1_S1_S1_PKiPfP15HIP_vector_typeIfLj2EEffffjfiS5_IjLj3EEiiiiiiiiiiiliiliiiiil,@function
_ZL15flash_attn_tileILi96ELi96ELi2ELi2ELb1EEvPKcS1_S1_S1_S1_PKiPfP15HIP_vector_typeIfLj2EEffffjfiS5_IjLj3EEiiiiiiiiiiiliiliiiiil: ; @_ZL15flash_attn_tileILi96ELi96ELi2ELi2ELb1EEvPKcS1_S1_S1_S1_PKiPfP15HIP_vector_typeIfLj2EEffffjfiS5_IjLj3EEiiiiiiiiiiiliiliiiiil
; %bb.0:
	s_getpc_b64 s[2:3]
	s_sext_i32_i16 s3, s3
	s_add_co_u32 s2, s2, _ZL14no_device_codePKciS0_iS0_@rel32@lo+8
	s_add_co_ci_u32 s3, s3, _ZL14no_device_codePKciS0_iS0_@rel32@hi+16
	s_add_nc_u64 s[8:9], s[0:1], 0xd0
	s_mov_b32 s32, 0
	s_swappc_b64 s[30:31], s[2:3]
	.section	.rodata,"a",@progbits
	.p2align	6, 0x0
	.amdhsa_kernel _ZL15flash_attn_tileILi96ELi96ELi2ELi2ELb1EEvPKcS1_S1_S1_S1_PKiPfP15HIP_vector_typeIfLj2EEffffjfiS5_IjLj3EEiiiiiiiiiiiliiliiiiil
		.amdhsa_group_segment_fixed_size 0
		.amdhsa_private_segment_fixed_size 16
		.amdhsa_kernarg_size 464
		.amdhsa_user_sgpr_count 2
		.amdhsa_user_sgpr_dispatch_ptr 0
		.amdhsa_user_sgpr_queue_ptr 0
		.amdhsa_user_sgpr_kernarg_segment_ptr 1
		.amdhsa_user_sgpr_dispatch_id 0
		.amdhsa_user_sgpr_private_segment_size 0
		.amdhsa_wavefront_size32 1
		.amdhsa_uses_dynamic_stack 0
		.amdhsa_enable_private_segment 1
		.amdhsa_system_sgpr_workgroup_id_x 1
		.amdhsa_system_sgpr_workgroup_id_y 0
		.amdhsa_system_sgpr_workgroup_id_z 0
		.amdhsa_system_sgpr_workgroup_info 0
		.amdhsa_system_vgpr_workitem_id 0
		.amdhsa_next_free_vgpr 40
		.amdhsa_next_free_sgpr 34
		.amdhsa_reserve_vcc 1
		.amdhsa_float_round_mode_32 0
		.amdhsa_float_round_mode_16_64 0
		.amdhsa_float_denorm_mode_32 3
		.amdhsa_float_denorm_mode_16_64 3
		.amdhsa_fp16_overflow 0
		.amdhsa_workgroup_processor_mode 1
		.amdhsa_memory_ordered 1
		.amdhsa_forward_progress 1
		.amdhsa_inst_pref_size 1
		.amdhsa_round_robin_scheduling 0
		.amdhsa_exception_fp_ieee_invalid_op 0
		.amdhsa_exception_fp_denorm_src 0
		.amdhsa_exception_fp_ieee_div_zero 0
		.amdhsa_exception_fp_ieee_overflow 0
		.amdhsa_exception_fp_ieee_underflow 0
		.amdhsa_exception_fp_ieee_inexact 0
		.amdhsa_exception_int_div_zero 0
	.end_amdhsa_kernel
	.section	.text._ZL15flash_attn_tileILi96ELi96ELi2ELi2ELb1EEvPKcS1_S1_S1_S1_PKiPfP15HIP_vector_typeIfLj2EEffffjfiS5_IjLj3EEiiiiiiiiiiiliiliiiiil,"axG",@progbits,_ZL15flash_attn_tileILi96ELi96ELi2ELi2ELb1EEvPKcS1_S1_S1_S1_PKiPfP15HIP_vector_typeIfLj2EEffffjfiS5_IjLj3EEiiiiiiiiiiiliiliiiiil,comdat
.Lfunc_end87:
	.size	_ZL15flash_attn_tileILi96ELi96ELi2ELi2ELb1EEvPKcS1_S1_S1_S1_PKiPfP15HIP_vector_typeIfLj2EEffffjfiS5_IjLj3EEiiiiiiiiiiiliiliiiiil, .Lfunc_end87-_ZL15flash_attn_tileILi96ELi96ELi2ELi2ELb1EEvPKcS1_S1_S1_S1_PKiPfP15HIP_vector_typeIfLj2EEffffjfiS5_IjLj3EEiiiiiiiiiiiliiliiiiil
                                        ; -- End function
	.set _ZL15flash_attn_tileILi96ELi96ELi2ELi2ELb1EEvPKcS1_S1_S1_S1_PKiPfP15HIP_vector_typeIfLj2EEffffjfiS5_IjLj3EEiiiiiiiiiiiliiliiiiil.num_vgpr, max(0, .L_ZL14no_device_codePKciS0_iS0_.num_vgpr)
	.set _ZL15flash_attn_tileILi96ELi96ELi2ELi2ELb1EEvPKcS1_S1_S1_S1_PKiPfP15HIP_vector_typeIfLj2EEffffjfiS5_IjLj3EEiiiiiiiiiiiliiliiiiil.num_agpr, max(0, .L_ZL14no_device_codePKciS0_iS0_.num_agpr)
	.set _ZL15flash_attn_tileILi96ELi96ELi2ELi2ELb1EEvPKcS1_S1_S1_S1_PKiPfP15HIP_vector_typeIfLj2EEffffjfiS5_IjLj3EEiiiiiiiiiiiliiliiiiil.numbered_sgpr, max(33, .L_ZL14no_device_codePKciS0_iS0_.numbered_sgpr)
	.set _ZL15flash_attn_tileILi96ELi96ELi2ELi2ELb1EEvPKcS1_S1_S1_S1_PKiPfP15HIP_vector_typeIfLj2EEffffjfiS5_IjLj3EEiiiiiiiiiiiliiliiiiil.num_named_barrier, max(0, .L_ZL14no_device_codePKciS0_iS0_.num_named_barrier)
	.set _ZL15flash_attn_tileILi96ELi96ELi2ELi2ELb1EEvPKcS1_S1_S1_S1_PKiPfP15HIP_vector_typeIfLj2EEffffjfiS5_IjLj3EEiiiiiiiiiiiliiliiiiil.private_seg_size, 0+max(.L_ZL14no_device_codePKciS0_iS0_.private_seg_size)
	.set _ZL15flash_attn_tileILi96ELi96ELi2ELi2ELb1EEvPKcS1_S1_S1_S1_PKiPfP15HIP_vector_typeIfLj2EEffffjfiS5_IjLj3EEiiiiiiiiiiiliiliiiiil.uses_vcc, or(1, .L_ZL14no_device_codePKciS0_iS0_.uses_vcc)
	.set _ZL15flash_attn_tileILi96ELi96ELi2ELi2ELb1EEvPKcS1_S1_S1_S1_PKiPfP15HIP_vector_typeIfLj2EEffffjfiS5_IjLj3EEiiiiiiiiiiiliiliiiiil.uses_flat_scratch, or(0, .L_ZL14no_device_codePKciS0_iS0_.uses_flat_scratch)
	.set _ZL15flash_attn_tileILi96ELi96ELi2ELi2ELb1EEvPKcS1_S1_S1_S1_PKiPfP15HIP_vector_typeIfLj2EEffffjfiS5_IjLj3EEiiiiiiiiiiiliiliiiiil.has_dyn_sized_stack, or(0, .L_ZL14no_device_codePKciS0_iS0_.has_dyn_sized_stack)
	.set _ZL15flash_attn_tileILi96ELi96ELi2ELi2ELb1EEvPKcS1_S1_S1_S1_PKiPfP15HIP_vector_typeIfLj2EEffffjfiS5_IjLj3EEiiiiiiiiiiiliiliiiiil.has_recursion, or(0, .L_ZL14no_device_codePKciS0_iS0_.has_recursion)
	.set _ZL15flash_attn_tileILi96ELi96ELi2ELi2ELb1EEvPKcS1_S1_S1_S1_PKiPfP15HIP_vector_typeIfLj2EEffffjfiS5_IjLj3EEiiiiiiiiiiiliiliiiiil.has_indirect_call, or(0, .L_ZL14no_device_codePKciS0_iS0_.has_indirect_call)
	.section	.AMDGPU.csdata,"",@progbits
; Kernel info:
; codeLenInByte = 40
; TotalNumSgprs: 36
; NumVgprs: 40
; ScratchSize: 16
; MemoryBound: 0
; FloatMode: 240
; IeeeMode: 1
; LDSByteSize: 0 bytes/workgroup (compile time only)
; SGPRBlocks: 0
; VGPRBlocks: 4
; NumSGPRsForWavesPerEU: 36
; NumVGPRsForWavesPerEU: 40
; Occupancy: 16
; WaveLimiterHint : 1
; COMPUTE_PGM_RSRC2:SCRATCH_EN: 1
; COMPUTE_PGM_RSRC2:USER_SGPR: 2
; COMPUTE_PGM_RSRC2:TRAP_HANDLER: 0
; COMPUTE_PGM_RSRC2:TGID_X_EN: 1
; COMPUTE_PGM_RSRC2:TGID_Y_EN: 0
; COMPUTE_PGM_RSRC2:TGID_Z_EN: 0
; COMPUTE_PGM_RSRC2:TIDIG_COMP_CNT: 0
	.section	.text._ZL15flash_attn_tileILi96ELi96ELi1ELi2ELb1EEvPKcS1_S1_S1_S1_PKiPfP15HIP_vector_typeIfLj2EEffffjfiS5_IjLj3EEiiiiiiiiiiiliiliiiiil,"axG",@progbits,_ZL15flash_attn_tileILi96ELi96ELi1ELi2ELb1EEvPKcS1_S1_S1_S1_PKiPfP15HIP_vector_typeIfLj2EEffffjfiS5_IjLj3EEiiiiiiiiiiiliiliiiiil,comdat
	.globl	_ZL15flash_attn_tileILi96ELi96ELi1ELi2ELb1EEvPKcS1_S1_S1_S1_PKiPfP15HIP_vector_typeIfLj2EEffffjfiS5_IjLj3EEiiiiiiiiiiiliiliiiiil ; -- Begin function _ZL15flash_attn_tileILi96ELi96ELi1ELi2ELb1EEvPKcS1_S1_S1_S1_PKiPfP15HIP_vector_typeIfLj2EEffffjfiS5_IjLj3EEiiiiiiiiiiiliiliiiiil
	.p2align	8
	.type	_ZL15flash_attn_tileILi96ELi96ELi1ELi2ELb1EEvPKcS1_S1_S1_S1_PKiPfP15HIP_vector_typeIfLj2EEffffjfiS5_IjLj3EEiiiiiiiiiiiliiliiiiil,@function
_ZL15flash_attn_tileILi96ELi96ELi1ELi2ELb1EEvPKcS1_S1_S1_S1_PKiPfP15HIP_vector_typeIfLj2EEffffjfiS5_IjLj3EEiiiiiiiiiiiliiliiiiil: ; @_ZL15flash_attn_tileILi96ELi96ELi1ELi2ELb1EEvPKcS1_S1_S1_S1_PKiPfP15HIP_vector_typeIfLj2EEffffjfiS5_IjLj3EEiiiiiiiiiiiliiliiiiil
; %bb.0:
	s_getpc_b64 s[2:3]
	s_sext_i32_i16 s3, s3
	s_add_co_u32 s2, s2, _ZL14no_device_codePKciS0_iS0_@rel32@lo+8
	s_add_co_ci_u32 s3, s3, _ZL14no_device_codePKciS0_iS0_@rel32@hi+16
	s_add_nc_u64 s[8:9], s[0:1], 0xd0
	s_mov_b32 s32, 0
	s_swappc_b64 s[30:31], s[2:3]
	.section	.rodata,"a",@progbits
	.p2align	6, 0x0
	.amdhsa_kernel _ZL15flash_attn_tileILi96ELi96ELi1ELi2ELb1EEvPKcS1_S1_S1_S1_PKiPfP15HIP_vector_typeIfLj2EEffffjfiS5_IjLj3EEiiiiiiiiiiiliiliiiiil
		.amdhsa_group_segment_fixed_size 0
		.amdhsa_private_segment_fixed_size 16
		.amdhsa_kernarg_size 464
		.amdhsa_user_sgpr_count 2
		.amdhsa_user_sgpr_dispatch_ptr 0
		.amdhsa_user_sgpr_queue_ptr 0
		.amdhsa_user_sgpr_kernarg_segment_ptr 1
		.amdhsa_user_sgpr_dispatch_id 0
		.amdhsa_user_sgpr_private_segment_size 0
		.amdhsa_wavefront_size32 1
		.amdhsa_uses_dynamic_stack 0
		.amdhsa_enable_private_segment 1
		.amdhsa_system_sgpr_workgroup_id_x 1
		.amdhsa_system_sgpr_workgroup_id_y 0
		.amdhsa_system_sgpr_workgroup_id_z 0
		.amdhsa_system_sgpr_workgroup_info 0
		.amdhsa_system_vgpr_workitem_id 0
		.amdhsa_next_free_vgpr 40
		.amdhsa_next_free_sgpr 34
		.amdhsa_reserve_vcc 1
		.amdhsa_float_round_mode_32 0
		.amdhsa_float_round_mode_16_64 0
		.amdhsa_float_denorm_mode_32 3
		.amdhsa_float_denorm_mode_16_64 3
		.amdhsa_fp16_overflow 0
		.amdhsa_workgroup_processor_mode 1
		.amdhsa_memory_ordered 1
		.amdhsa_forward_progress 1
		.amdhsa_inst_pref_size 1
		.amdhsa_round_robin_scheduling 0
		.amdhsa_exception_fp_ieee_invalid_op 0
		.amdhsa_exception_fp_denorm_src 0
		.amdhsa_exception_fp_ieee_div_zero 0
		.amdhsa_exception_fp_ieee_overflow 0
		.amdhsa_exception_fp_ieee_underflow 0
		.amdhsa_exception_fp_ieee_inexact 0
		.amdhsa_exception_int_div_zero 0
	.end_amdhsa_kernel
	.section	.text._ZL15flash_attn_tileILi96ELi96ELi1ELi2ELb1EEvPKcS1_S1_S1_S1_PKiPfP15HIP_vector_typeIfLj2EEffffjfiS5_IjLj3EEiiiiiiiiiiiliiliiiiil,"axG",@progbits,_ZL15flash_attn_tileILi96ELi96ELi1ELi2ELb1EEvPKcS1_S1_S1_S1_PKiPfP15HIP_vector_typeIfLj2EEffffjfiS5_IjLj3EEiiiiiiiiiiiliiliiiiil,comdat
.Lfunc_end88:
	.size	_ZL15flash_attn_tileILi96ELi96ELi1ELi2ELb1EEvPKcS1_S1_S1_S1_PKiPfP15HIP_vector_typeIfLj2EEffffjfiS5_IjLj3EEiiiiiiiiiiiliiliiiiil, .Lfunc_end88-_ZL15flash_attn_tileILi96ELi96ELi1ELi2ELb1EEvPKcS1_S1_S1_S1_PKiPfP15HIP_vector_typeIfLj2EEffffjfiS5_IjLj3EEiiiiiiiiiiiliiliiiiil
                                        ; -- End function
	.set _ZL15flash_attn_tileILi96ELi96ELi1ELi2ELb1EEvPKcS1_S1_S1_S1_PKiPfP15HIP_vector_typeIfLj2EEffffjfiS5_IjLj3EEiiiiiiiiiiiliiliiiiil.num_vgpr, max(0, .L_ZL14no_device_codePKciS0_iS0_.num_vgpr)
	.set _ZL15flash_attn_tileILi96ELi96ELi1ELi2ELb1EEvPKcS1_S1_S1_S1_PKiPfP15HIP_vector_typeIfLj2EEffffjfiS5_IjLj3EEiiiiiiiiiiiliiliiiiil.num_agpr, max(0, .L_ZL14no_device_codePKciS0_iS0_.num_agpr)
	.set _ZL15flash_attn_tileILi96ELi96ELi1ELi2ELb1EEvPKcS1_S1_S1_S1_PKiPfP15HIP_vector_typeIfLj2EEffffjfiS5_IjLj3EEiiiiiiiiiiiliiliiiiil.numbered_sgpr, max(33, .L_ZL14no_device_codePKciS0_iS0_.numbered_sgpr)
	.set _ZL15flash_attn_tileILi96ELi96ELi1ELi2ELb1EEvPKcS1_S1_S1_S1_PKiPfP15HIP_vector_typeIfLj2EEffffjfiS5_IjLj3EEiiiiiiiiiiiliiliiiiil.num_named_barrier, max(0, .L_ZL14no_device_codePKciS0_iS0_.num_named_barrier)
	.set _ZL15flash_attn_tileILi96ELi96ELi1ELi2ELb1EEvPKcS1_S1_S1_S1_PKiPfP15HIP_vector_typeIfLj2EEffffjfiS5_IjLj3EEiiiiiiiiiiiliiliiiiil.private_seg_size, 0+max(.L_ZL14no_device_codePKciS0_iS0_.private_seg_size)
	.set _ZL15flash_attn_tileILi96ELi96ELi1ELi2ELb1EEvPKcS1_S1_S1_S1_PKiPfP15HIP_vector_typeIfLj2EEffffjfiS5_IjLj3EEiiiiiiiiiiiliiliiiiil.uses_vcc, or(1, .L_ZL14no_device_codePKciS0_iS0_.uses_vcc)
	.set _ZL15flash_attn_tileILi96ELi96ELi1ELi2ELb1EEvPKcS1_S1_S1_S1_PKiPfP15HIP_vector_typeIfLj2EEffffjfiS5_IjLj3EEiiiiiiiiiiiliiliiiiil.uses_flat_scratch, or(0, .L_ZL14no_device_codePKciS0_iS0_.uses_flat_scratch)
	.set _ZL15flash_attn_tileILi96ELi96ELi1ELi2ELb1EEvPKcS1_S1_S1_S1_PKiPfP15HIP_vector_typeIfLj2EEffffjfiS5_IjLj3EEiiiiiiiiiiiliiliiiiil.has_dyn_sized_stack, or(0, .L_ZL14no_device_codePKciS0_iS0_.has_dyn_sized_stack)
	.set _ZL15flash_attn_tileILi96ELi96ELi1ELi2ELb1EEvPKcS1_S1_S1_S1_PKiPfP15HIP_vector_typeIfLj2EEffffjfiS5_IjLj3EEiiiiiiiiiiiliiliiiiil.has_recursion, or(0, .L_ZL14no_device_codePKciS0_iS0_.has_recursion)
	.set _ZL15flash_attn_tileILi96ELi96ELi1ELi2ELb1EEvPKcS1_S1_S1_S1_PKiPfP15HIP_vector_typeIfLj2EEffffjfiS5_IjLj3EEiiiiiiiiiiiliiliiiiil.has_indirect_call, or(0, .L_ZL14no_device_codePKciS0_iS0_.has_indirect_call)
	.section	.AMDGPU.csdata,"",@progbits
; Kernel info:
; codeLenInByte = 40
; TotalNumSgprs: 36
; NumVgprs: 40
; ScratchSize: 16
; MemoryBound: 0
; FloatMode: 240
; IeeeMode: 1
; LDSByteSize: 0 bytes/workgroup (compile time only)
; SGPRBlocks: 0
; VGPRBlocks: 4
; NumSGPRsForWavesPerEU: 36
; NumVGPRsForWavesPerEU: 40
; Occupancy: 16
; WaveLimiterHint : 1
; COMPUTE_PGM_RSRC2:SCRATCH_EN: 1
; COMPUTE_PGM_RSRC2:USER_SGPR: 2
; COMPUTE_PGM_RSRC2:TRAP_HANDLER: 0
; COMPUTE_PGM_RSRC2:TGID_X_EN: 1
; COMPUTE_PGM_RSRC2:TGID_Y_EN: 0
; COMPUTE_PGM_RSRC2:TGID_Z_EN: 0
; COMPUTE_PGM_RSRC2:TIDIG_COMP_CNT: 0
	.section	.text._ZL15flash_attn_tileILi96ELi96ELi64ELi1ELb1EEvPKcS1_S1_S1_S1_PKiPfP15HIP_vector_typeIfLj2EEffffjfiS5_IjLj3EEiiiiiiiiiiiliiliiiiil,"axG",@progbits,_ZL15flash_attn_tileILi96ELi96ELi64ELi1ELb1EEvPKcS1_S1_S1_S1_PKiPfP15HIP_vector_typeIfLj2EEffffjfiS5_IjLj3EEiiiiiiiiiiiliiliiiiil,comdat
	.globl	_ZL15flash_attn_tileILi96ELi96ELi64ELi1ELb1EEvPKcS1_S1_S1_S1_PKiPfP15HIP_vector_typeIfLj2EEffffjfiS5_IjLj3EEiiiiiiiiiiiliiliiiiil ; -- Begin function _ZL15flash_attn_tileILi96ELi96ELi64ELi1ELb1EEvPKcS1_S1_S1_S1_PKiPfP15HIP_vector_typeIfLj2EEffffjfiS5_IjLj3EEiiiiiiiiiiiliiliiiiil
	.p2align	8
	.type	_ZL15flash_attn_tileILi96ELi96ELi64ELi1ELb1EEvPKcS1_S1_S1_S1_PKiPfP15HIP_vector_typeIfLj2EEffffjfiS5_IjLj3EEiiiiiiiiiiiliiliiiiil,@function
_ZL15flash_attn_tileILi96ELi96ELi64ELi1ELb1EEvPKcS1_S1_S1_S1_PKiPfP15HIP_vector_typeIfLj2EEffffjfiS5_IjLj3EEiiiiiiiiiiiliiliiiiil: ; @_ZL15flash_attn_tileILi96ELi96ELi64ELi1ELb1EEvPKcS1_S1_S1_S1_PKiPfP15HIP_vector_typeIfLj2EEffffjfiS5_IjLj3EEiiiiiiiiiiiliiliiiiil
; %bb.0:
	s_getpc_b64 s[2:3]
	s_sext_i32_i16 s3, s3
	s_add_co_u32 s2, s2, _ZL14no_device_codePKciS0_iS0_@rel32@lo+8
	s_add_co_ci_u32 s3, s3, _ZL14no_device_codePKciS0_iS0_@rel32@hi+16
	s_add_nc_u64 s[8:9], s[0:1], 0xd0
	s_mov_b32 s32, 0
	s_swappc_b64 s[30:31], s[2:3]
	.section	.rodata,"a",@progbits
	.p2align	6, 0x0
	.amdhsa_kernel _ZL15flash_attn_tileILi96ELi96ELi64ELi1ELb1EEvPKcS1_S1_S1_S1_PKiPfP15HIP_vector_typeIfLj2EEffffjfiS5_IjLj3EEiiiiiiiiiiiliiliiiiil
		.amdhsa_group_segment_fixed_size 0
		.amdhsa_private_segment_fixed_size 16
		.amdhsa_kernarg_size 464
		.amdhsa_user_sgpr_count 2
		.amdhsa_user_sgpr_dispatch_ptr 0
		.amdhsa_user_sgpr_queue_ptr 0
		.amdhsa_user_sgpr_kernarg_segment_ptr 1
		.amdhsa_user_sgpr_dispatch_id 0
		.amdhsa_user_sgpr_private_segment_size 0
		.amdhsa_wavefront_size32 1
		.amdhsa_uses_dynamic_stack 0
		.amdhsa_enable_private_segment 1
		.amdhsa_system_sgpr_workgroup_id_x 1
		.amdhsa_system_sgpr_workgroup_id_y 0
		.amdhsa_system_sgpr_workgroup_id_z 0
		.amdhsa_system_sgpr_workgroup_info 0
		.amdhsa_system_vgpr_workitem_id 0
		.amdhsa_next_free_vgpr 40
		.amdhsa_next_free_sgpr 34
		.amdhsa_reserve_vcc 1
		.amdhsa_float_round_mode_32 0
		.amdhsa_float_round_mode_16_64 0
		.amdhsa_float_denorm_mode_32 3
		.amdhsa_float_denorm_mode_16_64 3
		.amdhsa_fp16_overflow 0
		.amdhsa_workgroup_processor_mode 1
		.amdhsa_memory_ordered 1
		.amdhsa_forward_progress 1
		.amdhsa_inst_pref_size 1
		.amdhsa_round_robin_scheduling 0
		.amdhsa_exception_fp_ieee_invalid_op 0
		.amdhsa_exception_fp_denorm_src 0
		.amdhsa_exception_fp_ieee_div_zero 0
		.amdhsa_exception_fp_ieee_overflow 0
		.amdhsa_exception_fp_ieee_underflow 0
		.amdhsa_exception_fp_ieee_inexact 0
		.amdhsa_exception_int_div_zero 0
	.end_amdhsa_kernel
	.section	.text._ZL15flash_attn_tileILi96ELi96ELi64ELi1ELb1EEvPKcS1_S1_S1_S1_PKiPfP15HIP_vector_typeIfLj2EEffffjfiS5_IjLj3EEiiiiiiiiiiiliiliiiiil,"axG",@progbits,_ZL15flash_attn_tileILi96ELi96ELi64ELi1ELb1EEvPKcS1_S1_S1_S1_PKiPfP15HIP_vector_typeIfLj2EEffffjfiS5_IjLj3EEiiiiiiiiiiiliiliiiiil,comdat
.Lfunc_end89:
	.size	_ZL15flash_attn_tileILi96ELi96ELi64ELi1ELb1EEvPKcS1_S1_S1_S1_PKiPfP15HIP_vector_typeIfLj2EEffffjfiS5_IjLj3EEiiiiiiiiiiiliiliiiiil, .Lfunc_end89-_ZL15flash_attn_tileILi96ELi96ELi64ELi1ELb1EEvPKcS1_S1_S1_S1_PKiPfP15HIP_vector_typeIfLj2EEffffjfiS5_IjLj3EEiiiiiiiiiiiliiliiiiil
                                        ; -- End function
	.set _ZL15flash_attn_tileILi96ELi96ELi64ELi1ELb1EEvPKcS1_S1_S1_S1_PKiPfP15HIP_vector_typeIfLj2EEffffjfiS5_IjLj3EEiiiiiiiiiiiliiliiiiil.num_vgpr, max(0, .L_ZL14no_device_codePKciS0_iS0_.num_vgpr)
	.set _ZL15flash_attn_tileILi96ELi96ELi64ELi1ELb1EEvPKcS1_S1_S1_S1_PKiPfP15HIP_vector_typeIfLj2EEffffjfiS5_IjLj3EEiiiiiiiiiiiliiliiiiil.num_agpr, max(0, .L_ZL14no_device_codePKciS0_iS0_.num_agpr)
	.set _ZL15flash_attn_tileILi96ELi96ELi64ELi1ELb1EEvPKcS1_S1_S1_S1_PKiPfP15HIP_vector_typeIfLj2EEffffjfiS5_IjLj3EEiiiiiiiiiiiliiliiiiil.numbered_sgpr, max(33, .L_ZL14no_device_codePKciS0_iS0_.numbered_sgpr)
	.set _ZL15flash_attn_tileILi96ELi96ELi64ELi1ELb1EEvPKcS1_S1_S1_S1_PKiPfP15HIP_vector_typeIfLj2EEffffjfiS5_IjLj3EEiiiiiiiiiiiliiliiiiil.num_named_barrier, max(0, .L_ZL14no_device_codePKciS0_iS0_.num_named_barrier)
	.set _ZL15flash_attn_tileILi96ELi96ELi64ELi1ELb1EEvPKcS1_S1_S1_S1_PKiPfP15HIP_vector_typeIfLj2EEffffjfiS5_IjLj3EEiiiiiiiiiiiliiliiiiil.private_seg_size, 0+max(.L_ZL14no_device_codePKciS0_iS0_.private_seg_size)
	.set _ZL15flash_attn_tileILi96ELi96ELi64ELi1ELb1EEvPKcS1_S1_S1_S1_PKiPfP15HIP_vector_typeIfLj2EEffffjfiS5_IjLj3EEiiiiiiiiiiiliiliiiiil.uses_vcc, or(1, .L_ZL14no_device_codePKciS0_iS0_.uses_vcc)
	.set _ZL15flash_attn_tileILi96ELi96ELi64ELi1ELb1EEvPKcS1_S1_S1_S1_PKiPfP15HIP_vector_typeIfLj2EEffffjfiS5_IjLj3EEiiiiiiiiiiiliiliiiiil.uses_flat_scratch, or(0, .L_ZL14no_device_codePKciS0_iS0_.uses_flat_scratch)
	.set _ZL15flash_attn_tileILi96ELi96ELi64ELi1ELb1EEvPKcS1_S1_S1_S1_PKiPfP15HIP_vector_typeIfLj2EEffffjfiS5_IjLj3EEiiiiiiiiiiiliiliiiiil.has_dyn_sized_stack, or(0, .L_ZL14no_device_codePKciS0_iS0_.has_dyn_sized_stack)
	.set _ZL15flash_attn_tileILi96ELi96ELi64ELi1ELb1EEvPKcS1_S1_S1_S1_PKiPfP15HIP_vector_typeIfLj2EEffffjfiS5_IjLj3EEiiiiiiiiiiiliiliiiiil.has_recursion, or(0, .L_ZL14no_device_codePKciS0_iS0_.has_recursion)
	.set _ZL15flash_attn_tileILi96ELi96ELi64ELi1ELb1EEvPKcS1_S1_S1_S1_PKiPfP15HIP_vector_typeIfLj2EEffffjfiS5_IjLj3EEiiiiiiiiiiiliiliiiiil.has_indirect_call, or(0, .L_ZL14no_device_codePKciS0_iS0_.has_indirect_call)
	.section	.AMDGPU.csdata,"",@progbits
; Kernel info:
; codeLenInByte = 40
; TotalNumSgprs: 36
; NumVgprs: 40
; ScratchSize: 16
; MemoryBound: 0
; FloatMode: 240
; IeeeMode: 1
; LDSByteSize: 0 bytes/workgroup (compile time only)
; SGPRBlocks: 0
; VGPRBlocks: 4
; NumSGPRsForWavesPerEU: 36
; NumVGPRsForWavesPerEU: 40
; Occupancy: 16
; WaveLimiterHint : 1
; COMPUTE_PGM_RSRC2:SCRATCH_EN: 1
; COMPUTE_PGM_RSRC2:USER_SGPR: 2
; COMPUTE_PGM_RSRC2:TRAP_HANDLER: 0
; COMPUTE_PGM_RSRC2:TGID_X_EN: 1
; COMPUTE_PGM_RSRC2:TGID_Y_EN: 0
; COMPUTE_PGM_RSRC2:TGID_Z_EN: 0
; COMPUTE_PGM_RSRC2:TIDIG_COMP_CNT: 0
	.section	.text._ZL15flash_attn_tileILi96ELi96ELi32ELi1ELb1EEvPKcS1_S1_S1_S1_PKiPfP15HIP_vector_typeIfLj2EEffffjfiS5_IjLj3EEiiiiiiiiiiiliiliiiiil,"axG",@progbits,_ZL15flash_attn_tileILi96ELi96ELi32ELi1ELb1EEvPKcS1_S1_S1_S1_PKiPfP15HIP_vector_typeIfLj2EEffffjfiS5_IjLj3EEiiiiiiiiiiiliiliiiiil,comdat
	.globl	_ZL15flash_attn_tileILi96ELi96ELi32ELi1ELb1EEvPKcS1_S1_S1_S1_PKiPfP15HIP_vector_typeIfLj2EEffffjfiS5_IjLj3EEiiiiiiiiiiiliiliiiiil ; -- Begin function _ZL15flash_attn_tileILi96ELi96ELi32ELi1ELb1EEvPKcS1_S1_S1_S1_PKiPfP15HIP_vector_typeIfLj2EEffffjfiS5_IjLj3EEiiiiiiiiiiiliiliiiiil
	.p2align	8
	.type	_ZL15flash_attn_tileILi96ELi96ELi32ELi1ELb1EEvPKcS1_S1_S1_S1_PKiPfP15HIP_vector_typeIfLj2EEffffjfiS5_IjLj3EEiiiiiiiiiiiliiliiiiil,@function
_ZL15flash_attn_tileILi96ELi96ELi32ELi1ELb1EEvPKcS1_S1_S1_S1_PKiPfP15HIP_vector_typeIfLj2EEffffjfiS5_IjLj3EEiiiiiiiiiiiliiliiiiil: ; @_ZL15flash_attn_tileILi96ELi96ELi32ELi1ELb1EEvPKcS1_S1_S1_S1_PKiPfP15HIP_vector_typeIfLj2EEffffjfiS5_IjLj3EEiiiiiiiiiiiliiliiiiil
; %bb.0:
	s_getpc_b64 s[2:3]
	s_sext_i32_i16 s3, s3
	s_add_co_u32 s2, s2, _ZL14no_device_codePKciS0_iS0_@rel32@lo+8
	s_add_co_ci_u32 s3, s3, _ZL14no_device_codePKciS0_iS0_@rel32@hi+16
	s_add_nc_u64 s[8:9], s[0:1], 0xd0
	s_mov_b32 s32, 0
	s_swappc_b64 s[30:31], s[2:3]
	.section	.rodata,"a",@progbits
	.p2align	6, 0x0
	.amdhsa_kernel _ZL15flash_attn_tileILi96ELi96ELi32ELi1ELb1EEvPKcS1_S1_S1_S1_PKiPfP15HIP_vector_typeIfLj2EEffffjfiS5_IjLj3EEiiiiiiiiiiiliiliiiiil
		.amdhsa_group_segment_fixed_size 0
		.amdhsa_private_segment_fixed_size 16
		.amdhsa_kernarg_size 464
		.amdhsa_user_sgpr_count 2
		.amdhsa_user_sgpr_dispatch_ptr 0
		.amdhsa_user_sgpr_queue_ptr 0
		.amdhsa_user_sgpr_kernarg_segment_ptr 1
		.amdhsa_user_sgpr_dispatch_id 0
		.amdhsa_user_sgpr_private_segment_size 0
		.amdhsa_wavefront_size32 1
		.amdhsa_uses_dynamic_stack 0
		.amdhsa_enable_private_segment 1
		.amdhsa_system_sgpr_workgroup_id_x 1
		.amdhsa_system_sgpr_workgroup_id_y 0
		.amdhsa_system_sgpr_workgroup_id_z 0
		.amdhsa_system_sgpr_workgroup_info 0
		.amdhsa_system_vgpr_workitem_id 0
		.amdhsa_next_free_vgpr 40
		.amdhsa_next_free_sgpr 34
		.amdhsa_reserve_vcc 1
		.amdhsa_float_round_mode_32 0
		.amdhsa_float_round_mode_16_64 0
		.amdhsa_float_denorm_mode_32 3
		.amdhsa_float_denorm_mode_16_64 3
		.amdhsa_fp16_overflow 0
		.amdhsa_workgroup_processor_mode 1
		.amdhsa_memory_ordered 1
		.amdhsa_forward_progress 1
		.amdhsa_inst_pref_size 1
		.amdhsa_round_robin_scheduling 0
		.amdhsa_exception_fp_ieee_invalid_op 0
		.amdhsa_exception_fp_denorm_src 0
		.amdhsa_exception_fp_ieee_div_zero 0
		.amdhsa_exception_fp_ieee_overflow 0
		.amdhsa_exception_fp_ieee_underflow 0
		.amdhsa_exception_fp_ieee_inexact 0
		.amdhsa_exception_int_div_zero 0
	.end_amdhsa_kernel
	.section	.text._ZL15flash_attn_tileILi96ELi96ELi32ELi1ELb1EEvPKcS1_S1_S1_S1_PKiPfP15HIP_vector_typeIfLj2EEffffjfiS5_IjLj3EEiiiiiiiiiiiliiliiiiil,"axG",@progbits,_ZL15flash_attn_tileILi96ELi96ELi32ELi1ELb1EEvPKcS1_S1_S1_S1_PKiPfP15HIP_vector_typeIfLj2EEffffjfiS5_IjLj3EEiiiiiiiiiiiliiliiiiil,comdat
.Lfunc_end90:
	.size	_ZL15flash_attn_tileILi96ELi96ELi32ELi1ELb1EEvPKcS1_S1_S1_S1_PKiPfP15HIP_vector_typeIfLj2EEffffjfiS5_IjLj3EEiiiiiiiiiiiliiliiiiil, .Lfunc_end90-_ZL15flash_attn_tileILi96ELi96ELi32ELi1ELb1EEvPKcS1_S1_S1_S1_PKiPfP15HIP_vector_typeIfLj2EEffffjfiS5_IjLj3EEiiiiiiiiiiiliiliiiiil
                                        ; -- End function
	.set _ZL15flash_attn_tileILi96ELi96ELi32ELi1ELb1EEvPKcS1_S1_S1_S1_PKiPfP15HIP_vector_typeIfLj2EEffffjfiS5_IjLj3EEiiiiiiiiiiiliiliiiiil.num_vgpr, max(0, .L_ZL14no_device_codePKciS0_iS0_.num_vgpr)
	.set _ZL15flash_attn_tileILi96ELi96ELi32ELi1ELb1EEvPKcS1_S1_S1_S1_PKiPfP15HIP_vector_typeIfLj2EEffffjfiS5_IjLj3EEiiiiiiiiiiiliiliiiiil.num_agpr, max(0, .L_ZL14no_device_codePKciS0_iS0_.num_agpr)
	.set _ZL15flash_attn_tileILi96ELi96ELi32ELi1ELb1EEvPKcS1_S1_S1_S1_PKiPfP15HIP_vector_typeIfLj2EEffffjfiS5_IjLj3EEiiiiiiiiiiiliiliiiiil.numbered_sgpr, max(33, .L_ZL14no_device_codePKciS0_iS0_.numbered_sgpr)
	.set _ZL15flash_attn_tileILi96ELi96ELi32ELi1ELb1EEvPKcS1_S1_S1_S1_PKiPfP15HIP_vector_typeIfLj2EEffffjfiS5_IjLj3EEiiiiiiiiiiiliiliiiiil.num_named_barrier, max(0, .L_ZL14no_device_codePKciS0_iS0_.num_named_barrier)
	.set _ZL15flash_attn_tileILi96ELi96ELi32ELi1ELb1EEvPKcS1_S1_S1_S1_PKiPfP15HIP_vector_typeIfLj2EEffffjfiS5_IjLj3EEiiiiiiiiiiiliiliiiiil.private_seg_size, 0+max(.L_ZL14no_device_codePKciS0_iS0_.private_seg_size)
	.set _ZL15flash_attn_tileILi96ELi96ELi32ELi1ELb1EEvPKcS1_S1_S1_S1_PKiPfP15HIP_vector_typeIfLj2EEffffjfiS5_IjLj3EEiiiiiiiiiiiliiliiiiil.uses_vcc, or(1, .L_ZL14no_device_codePKciS0_iS0_.uses_vcc)
	.set _ZL15flash_attn_tileILi96ELi96ELi32ELi1ELb1EEvPKcS1_S1_S1_S1_PKiPfP15HIP_vector_typeIfLj2EEffffjfiS5_IjLj3EEiiiiiiiiiiiliiliiiiil.uses_flat_scratch, or(0, .L_ZL14no_device_codePKciS0_iS0_.uses_flat_scratch)
	.set _ZL15flash_attn_tileILi96ELi96ELi32ELi1ELb1EEvPKcS1_S1_S1_S1_PKiPfP15HIP_vector_typeIfLj2EEffffjfiS5_IjLj3EEiiiiiiiiiiiliiliiiiil.has_dyn_sized_stack, or(0, .L_ZL14no_device_codePKciS0_iS0_.has_dyn_sized_stack)
	.set _ZL15flash_attn_tileILi96ELi96ELi32ELi1ELb1EEvPKcS1_S1_S1_S1_PKiPfP15HIP_vector_typeIfLj2EEffffjfiS5_IjLj3EEiiiiiiiiiiiliiliiiiil.has_recursion, or(0, .L_ZL14no_device_codePKciS0_iS0_.has_recursion)
	.set _ZL15flash_attn_tileILi96ELi96ELi32ELi1ELb1EEvPKcS1_S1_S1_S1_PKiPfP15HIP_vector_typeIfLj2EEffffjfiS5_IjLj3EEiiiiiiiiiiiliiliiiiil.has_indirect_call, or(0, .L_ZL14no_device_codePKciS0_iS0_.has_indirect_call)
	.section	.AMDGPU.csdata,"",@progbits
; Kernel info:
; codeLenInByte = 40
; TotalNumSgprs: 36
; NumVgprs: 40
; ScratchSize: 16
; MemoryBound: 0
; FloatMode: 240
; IeeeMode: 1
; LDSByteSize: 0 bytes/workgroup (compile time only)
; SGPRBlocks: 0
; VGPRBlocks: 4
; NumSGPRsForWavesPerEU: 36
; NumVGPRsForWavesPerEU: 40
; Occupancy: 16
; WaveLimiterHint : 1
; COMPUTE_PGM_RSRC2:SCRATCH_EN: 1
; COMPUTE_PGM_RSRC2:USER_SGPR: 2
; COMPUTE_PGM_RSRC2:TRAP_HANDLER: 0
; COMPUTE_PGM_RSRC2:TGID_X_EN: 1
; COMPUTE_PGM_RSRC2:TGID_Y_EN: 0
; COMPUTE_PGM_RSRC2:TGID_Z_EN: 0
; COMPUTE_PGM_RSRC2:TIDIG_COMP_CNT: 0
	.section	.text._ZL15flash_attn_tileILi96ELi96ELi16ELi1ELb1EEvPKcS1_S1_S1_S1_PKiPfP15HIP_vector_typeIfLj2EEffffjfiS5_IjLj3EEiiiiiiiiiiiliiliiiiil,"axG",@progbits,_ZL15flash_attn_tileILi96ELi96ELi16ELi1ELb1EEvPKcS1_S1_S1_S1_PKiPfP15HIP_vector_typeIfLj2EEffffjfiS5_IjLj3EEiiiiiiiiiiiliiliiiiil,comdat
	.globl	_ZL15flash_attn_tileILi96ELi96ELi16ELi1ELb1EEvPKcS1_S1_S1_S1_PKiPfP15HIP_vector_typeIfLj2EEffffjfiS5_IjLj3EEiiiiiiiiiiiliiliiiiil ; -- Begin function _ZL15flash_attn_tileILi96ELi96ELi16ELi1ELb1EEvPKcS1_S1_S1_S1_PKiPfP15HIP_vector_typeIfLj2EEffffjfiS5_IjLj3EEiiiiiiiiiiiliiliiiiil
	.p2align	8
	.type	_ZL15flash_attn_tileILi96ELi96ELi16ELi1ELb1EEvPKcS1_S1_S1_S1_PKiPfP15HIP_vector_typeIfLj2EEffffjfiS5_IjLj3EEiiiiiiiiiiiliiliiiiil,@function
_ZL15flash_attn_tileILi96ELi96ELi16ELi1ELb1EEvPKcS1_S1_S1_S1_PKiPfP15HIP_vector_typeIfLj2EEffffjfiS5_IjLj3EEiiiiiiiiiiiliiliiiiil: ; @_ZL15flash_attn_tileILi96ELi96ELi16ELi1ELb1EEvPKcS1_S1_S1_S1_PKiPfP15HIP_vector_typeIfLj2EEffffjfiS5_IjLj3EEiiiiiiiiiiiliiliiiiil
; %bb.0:
	s_getpc_b64 s[2:3]
	s_sext_i32_i16 s3, s3
	s_add_co_u32 s2, s2, _ZL14no_device_codePKciS0_iS0_@rel32@lo+8
	s_add_co_ci_u32 s3, s3, _ZL14no_device_codePKciS0_iS0_@rel32@hi+16
	s_add_nc_u64 s[8:9], s[0:1], 0xd0
	s_mov_b32 s32, 0
	s_swappc_b64 s[30:31], s[2:3]
	.section	.rodata,"a",@progbits
	.p2align	6, 0x0
	.amdhsa_kernel _ZL15flash_attn_tileILi96ELi96ELi16ELi1ELb1EEvPKcS1_S1_S1_S1_PKiPfP15HIP_vector_typeIfLj2EEffffjfiS5_IjLj3EEiiiiiiiiiiiliiliiiiil
		.amdhsa_group_segment_fixed_size 0
		.amdhsa_private_segment_fixed_size 16
		.amdhsa_kernarg_size 464
		.amdhsa_user_sgpr_count 2
		.amdhsa_user_sgpr_dispatch_ptr 0
		.amdhsa_user_sgpr_queue_ptr 0
		.amdhsa_user_sgpr_kernarg_segment_ptr 1
		.amdhsa_user_sgpr_dispatch_id 0
		.amdhsa_user_sgpr_private_segment_size 0
		.amdhsa_wavefront_size32 1
		.amdhsa_uses_dynamic_stack 0
		.amdhsa_enable_private_segment 1
		.amdhsa_system_sgpr_workgroup_id_x 1
		.amdhsa_system_sgpr_workgroup_id_y 0
		.amdhsa_system_sgpr_workgroup_id_z 0
		.amdhsa_system_sgpr_workgroup_info 0
		.amdhsa_system_vgpr_workitem_id 0
		.amdhsa_next_free_vgpr 40
		.amdhsa_next_free_sgpr 34
		.amdhsa_reserve_vcc 1
		.amdhsa_float_round_mode_32 0
		.amdhsa_float_round_mode_16_64 0
		.amdhsa_float_denorm_mode_32 3
		.amdhsa_float_denorm_mode_16_64 3
		.amdhsa_fp16_overflow 0
		.amdhsa_workgroup_processor_mode 1
		.amdhsa_memory_ordered 1
		.amdhsa_forward_progress 1
		.amdhsa_inst_pref_size 1
		.amdhsa_round_robin_scheduling 0
		.amdhsa_exception_fp_ieee_invalid_op 0
		.amdhsa_exception_fp_denorm_src 0
		.amdhsa_exception_fp_ieee_div_zero 0
		.amdhsa_exception_fp_ieee_overflow 0
		.amdhsa_exception_fp_ieee_underflow 0
		.amdhsa_exception_fp_ieee_inexact 0
		.amdhsa_exception_int_div_zero 0
	.end_amdhsa_kernel
	.section	.text._ZL15flash_attn_tileILi96ELi96ELi16ELi1ELb1EEvPKcS1_S1_S1_S1_PKiPfP15HIP_vector_typeIfLj2EEffffjfiS5_IjLj3EEiiiiiiiiiiiliiliiiiil,"axG",@progbits,_ZL15flash_attn_tileILi96ELi96ELi16ELi1ELb1EEvPKcS1_S1_S1_S1_PKiPfP15HIP_vector_typeIfLj2EEffffjfiS5_IjLj3EEiiiiiiiiiiiliiliiiiil,comdat
.Lfunc_end91:
	.size	_ZL15flash_attn_tileILi96ELi96ELi16ELi1ELb1EEvPKcS1_S1_S1_S1_PKiPfP15HIP_vector_typeIfLj2EEffffjfiS5_IjLj3EEiiiiiiiiiiiliiliiiiil, .Lfunc_end91-_ZL15flash_attn_tileILi96ELi96ELi16ELi1ELb1EEvPKcS1_S1_S1_S1_PKiPfP15HIP_vector_typeIfLj2EEffffjfiS5_IjLj3EEiiiiiiiiiiiliiliiiiil
                                        ; -- End function
	.set _ZL15flash_attn_tileILi96ELi96ELi16ELi1ELb1EEvPKcS1_S1_S1_S1_PKiPfP15HIP_vector_typeIfLj2EEffffjfiS5_IjLj3EEiiiiiiiiiiiliiliiiiil.num_vgpr, max(0, .L_ZL14no_device_codePKciS0_iS0_.num_vgpr)
	.set _ZL15flash_attn_tileILi96ELi96ELi16ELi1ELb1EEvPKcS1_S1_S1_S1_PKiPfP15HIP_vector_typeIfLj2EEffffjfiS5_IjLj3EEiiiiiiiiiiiliiliiiiil.num_agpr, max(0, .L_ZL14no_device_codePKciS0_iS0_.num_agpr)
	.set _ZL15flash_attn_tileILi96ELi96ELi16ELi1ELb1EEvPKcS1_S1_S1_S1_PKiPfP15HIP_vector_typeIfLj2EEffffjfiS5_IjLj3EEiiiiiiiiiiiliiliiiiil.numbered_sgpr, max(33, .L_ZL14no_device_codePKciS0_iS0_.numbered_sgpr)
	.set _ZL15flash_attn_tileILi96ELi96ELi16ELi1ELb1EEvPKcS1_S1_S1_S1_PKiPfP15HIP_vector_typeIfLj2EEffffjfiS5_IjLj3EEiiiiiiiiiiiliiliiiiil.num_named_barrier, max(0, .L_ZL14no_device_codePKciS0_iS0_.num_named_barrier)
	.set _ZL15flash_attn_tileILi96ELi96ELi16ELi1ELb1EEvPKcS1_S1_S1_S1_PKiPfP15HIP_vector_typeIfLj2EEffffjfiS5_IjLj3EEiiiiiiiiiiiliiliiiiil.private_seg_size, 0+max(.L_ZL14no_device_codePKciS0_iS0_.private_seg_size)
	.set _ZL15flash_attn_tileILi96ELi96ELi16ELi1ELb1EEvPKcS1_S1_S1_S1_PKiPfP15HIP_vector_typeIfLj2EEffffjfiS5_IjLj3EEiiiiiiiiiiiliiliiiiil.uses_vcc, or(1, .L_ZL14no_device_codePKciS0_iS0_.uses_vcc)
	.set _ZL15flash_attn_tileILi96ELi96ELi16ELi1ELb1EEvPKcS1_S1_S1_S1_PKiPfP15HIP_vector_typeIfLj2EEffffjfiS5_IjLj3EEiiiiiiiiiiiliiliiiiil.uses_flat_scratch, or(0, .L_ZL14no_device_codePKciS0_iS0_.uses_flat_scratch)
	.set _ZL15flash_attn_tileILi96ELi96ELi16ELi1ELb1EEvPKcS1_S1_S1_S1_PKiPfP15HIP_vector_typeIfLj2EEffffjfiS5_IjLj3EEiiiiiiiiiiiliiliiiiil.has_dyn_sized_stack, or(0, .L_ZL14no_device_codePKciS0_iS0_.has_dyn_sized_stack)
	.set _ZL15flash_attn_tileILi96ELi96ELi16ELi1ELb1EEvPKcS1_S1_S1_S1_PKiPfP15HIP_vector_typeIfLj2EEffffjfiS5_IjLj3EEiiiiiiiiiiiliiliiiiil.has_recursion, or(0, .L_ZL14no_device_codePKciS0_iS0_.has_recursion)
	.set _ZL15flash_attn_tileILi96ELi96ELi16ELi1ELb1EEvPKcS1_S1_S1_S1_PKiPfP15HIP_vector_typeIfLj2EEffffjfiS5_IjLj3EEiiiiiiiiiiiliiliiiiil.has_indirect_call, or(0, .L_ZL14no_device_codePKciS0_iS0_.has_indirect_call)
	.section	.AMDGPU.csdata,"",@progbits
; Kernel info:
; codeLenInByte = 40
; TotalNumSgprs: 36
; NumVgprs: 40
; ScratchSize: 16
; MemoryBound: 0
; FloatMode: 240
; IeeeMode: 1
; LDSByteSize: 0 bytes/workgroup (compile time only)
; SGPRBlocks: 0
; VGPRBlocks: 4
; NumSGPRsForWavesPerEU: 36
; NumVGPRsForWavesPerEU: 40
; Occupancy: 16
; WaveLimiterHint : 1
; COMPUTE_PGM_RSRC2:SCRATCH_EN: 1
; COMPUTE_PGM_RSRC2:USER_SGPR: 2
; COMPUTE_PGM_RSRC2:TRAP_HANDLER: 0
; COMPUTE_PGM_RSRC2:TGID_X_EN: 1
; COMPUTE_PGM_RSRC2:TGID_Y_EN: 0
; COMPUTE_PGM_RSRC2:TGID_Z_EN: 0
; COMPUTE_PGM_RSRC2:TIDIG_COMP_CNT: 0
	.section	.text._ZL15flash_attn_tileILi96ELi96ELi8ELi1ELb1EEvPKcS1_S1_S1_S1_PKiPfP15HIP_vector_typeIfLj2EEffffjfiS5_IjLj3EEiiiiiiiiiiiliiliiiiil,"axG",@progbits,_ZL15flash_attn_tileILi96ELi96ELi8ELi1ELb1EEvPKcS1_S1_S1_S1_PKiPfP15HIP_vector_typeIfLj2EEffffjfiS5_IjLj3EEiiiiiiiiiiiliiliiiiil,comdat
	.globl	_ZL15flash_attn_tileILi96ELi96ELi8ELi1ELb1EEvPKcS1_S1_S1_S1_PKiPfP15HIP_vector_typeIfLj2EEffffjfiS5_IjLj3EEiiiiiiiiiiiliiliiiiil ; -- Begin function _ZL15flash_attn_tileILi96ELi96ELi8ELi1ELb1EEvPKcS1_S1_S1_S1_PKiPfP15HIP_vector_typeIfLj2EEffffjfiS5_IjLj3EEiiiiiiiiiiiliiliiiiil
	.p2align	8
	.type	_ZL15flash_attn_tileILi96ELi96ELi8ELi1ELb1EEvPKcS1_S1_S1_S1_PKiPfP15HIP_vector_typeIfLj2EEffffjfiS5_IjLj3EEiiiiiiiiiiiliiliiiiil,@function
_ZL15flash_attn_tileILi96ELi96ELi8ELi1ELb1EEvPKcS1_S1_S1_S1_PKiPfP15HIP_vector_typeIfLj2EEffffjfiS5_IjLj3EEiiiiiiiiiiiliiliiiiil: ; @_ZL15flash_attn_tileILi96ELi96ELi8ELi1ELb1EEvPKcS1_S1_S1_S1_PKiPfP15HIP_vector_typeIfLj2EEffffjfiS5_IjLj3EEiiiiiiiiiiiliiliiiiil
; %bb.0:
	s_getpc_b64 s[2:3]
	s_sext_i32_i16 s3, s3
	s_add_co_u32 s2, s2, _ZL14no_device_codePKciS0_iS0_@rel32@lo+8
	s_add_co_ci_u32 s3, s3, _ZL14no_device_codePKciS0_iS0_@rel32@hi+16
	s_add_nc_u64 s[8:9], s[0:1], 0xd0
	s_mov_b32 s32, 0
	s_swappc_b64 s[30:31], s[2:3]
	.section	.rodata,"a",@progbits
	.p2align	6, 0x0
	.amdhsa_kernel _ZL15flash_attn_tileILi96ELi96ELi8ELi1ELb1EEvPKcS1_S1_S1_S1_PKiPfP15HIP_vector_typeIfLj2EEffffjfiS5_IjLj3EEiiiiiiiiiiiliiliiiiil
		.amdhsa_group_segment_fixed_size 0
		.amdhsa_private_segment_fixed_size 16
		.amdhsa_kernarg_size 464
		.amdhsa_user_sgpr_count 2
		.amdhsa_user_sgpr_dispatch_ptr 0
		.amdhsa_user_sgpr_queue_ptr 0
		.amdhsa_user_sgpr_kernarg_segment_ptr 1
		.amdhsa_user_sgpr_dispatch_id 0
		.amdhsa_user_sgpr_private_segment_size 0
		.amdhsa_wavefront_size32 1
		.amdhsa_uses_dynamic_stack 0
		.amdhsa_enable_private_segment 1
		.amdhsa_system_sgpr_workgroup_id_x 1
		.amdhsa_system_sgpr_workgroup_id_y 0
		.amdhsa_system_sgpr_workgroup_id_z 0
		.amdhsa_system_sgpr_workgroup_info 0
		.amdhsa_system_vgpr_workitem_id 0
		.amdhsa_next_free_vgpr 40
		.amdhsa_next_free_sgpr 34
		.amdhsa_reserve_vcc 1
		.amdhsa_float_round_mode_32 0
		.amdhsa_float_round_mode_16_64 0
		.amdhsa_float_denorm_mode_32 3
		.amdhsa_float_denorm_mode_16_64 3
		.amdhsa_fp16_overflow 0
		.amdhsa_workgroup_processor_mode 1
		.amdhsa_memory_ordered 1
		.amdhsa_forward_progress 1
		.amdhsa_inst_pref_size 1
		.amdhsa_round_robin_scheduling 0
		.amdhsa_exception_fp_ieee_invalid_op 0
		.amdhsa_exception_fp_denorm_src 0
		.amdhsa_exception_fp_ieee_div_zero 0
		.amdhsa_exception_fp_ieee_overflow 0
		.amdhsa_exception_fp_ieee_underflow 0
		.amdhsa_exception_fp_ieee_inexact 0
		.amdhsa_exception_int_div_zero 0
	.end_amdhsa_kernel
	.section	.text._ZL15flash_attn_tileILi96ELi96ELi8ELi1ELb1EEvPKcS1_S1_S1_S1_PKiPfP15HIP_vector_typeIfLj2EEffffjfiS5_IjLj3EEiiiiiiiiiiiliiliiiiil,"axG",@progbits,_ZL15flash_attn_tileILi96ELi96ELi8ELi1ELb1EEvPKcS1_S1_S1_S1_PKiPfP15HIP_vector_typeIfLj2EEffffjfiS5_IjLj3EEiiiiiiiiiiiliiliiiiil,comdat
.Lfunc_end92:
	.size	_ZL15flash_attn_tileILi96ELi96ELi8ELi1ELb1EEvPKcS1_S1_S1_S1_PKiPfP15HIP_vector_typeIfLj2EEffffjfiS5_IjLj3EEiiiiiiiiiiiliiliiiiil, .Lfunc_end92-_ZL15flash_attn_tileILi96ELi96ELi8ELi1ELb1EEvPKcS1_S1_S1_S1_PKiPfP15HIP_vector_typeIfLj2EEffffjfiS5_IjLj3EEiiiiiiiiiiiliiliiiiil
                                        ; -- End function
	.set _ZL15flash_attn_tileILi96ELi96ELi8ELi1ELb1EEvPKcS1_S1_S1_S1_PKiPfP15HIP_vector_typeIfLj2EEffffjfiS5_IjLj3EEiiiiiiiiiiiliiliiiiil.num_vgpr, max(0, .L_ZL14no_device_codePKciS0_iS0_.num_vgpr)
	.set _ZL15flash_attn_tileILi96ELi96ELi8ELi1ELb1EEvPKcS1_S1_S1_S1_PKiPfP15HIP_vector_typeIfLj2EEffffjfiS5_IjLj3EEiiiiiiiiiiiliiliiiiil.num_agpr, max(0, .L_ZL14no_device_codePKciS0_iS0_.num_agpr)
	.set _ZL15flash_attn_tileILi96ELi96ELi8ELi1ELb1EEvPKcS1_S1_S1_S1_PKiPfP15HIP_vector_typeIfLj2EEffffjfiS5_IjLj3EEiiiiiiiiiiiliiliiiiil.numbered_sgpr, max(33, .L_ZL14no_device_codePKciS0_iS0_.numbered_sgpr)
	.set _ZL15flash_attn_tileILi96ELi96ELi8ELi1ELb1EEvPKcS1_S1_S1_S1_PKiPfP15HIP_vector_typeIfLj2EEffffjfiS5_IjLj3EEiiiiiiiiiiiliiliiiiil.num_named_barrier, max(0, .L_ZL14no_device_codePKciS0_iS0_.num_named_barrier)
	.set _ZL15flash_attn_tileILi96ELi96ELi8ELi1ELb1EEvPKcS1_S1_S1_S1_PKiPfP15HIP_vector_typeIfLj2EEffffjfiS5_IjLj3EEiiiiiiiiiiiliiliiiiil.private_seg_size, 0+max(.L_ZL14no_device_codePKciS0_iS0_.private_seg_size)
	.set _ZL15flash_attn_tileILi96ELi96ELi8ELi1ELb1EEvPKcS1_S1_S1_S1_PKiPfP15HIP_vector_typeIfLj2EEffffjfiS5_IjLj3EEiiiiiiiiiiiliiliiiiil.uses_vcc, or(1, .L_ZL14no_device_codePKciS0_iS0_.uses_vcc)
	.set _ZL15flash_attn_tileILi96ELi96ELi8ELi1ELb1EEvPKcS1_S1_S1_S1_PKiPfP15HIP_vector_typeIfLj2EEffffjfiS5_IjLj3EEiiiiiiiiiiiliiliiiiil.uses_flat_scratch, or(0, .L_ZL14no_device_codePKciS0_iS0_.uses_flat_scratch)
	.set _ZL15flash_attn_tileILi96ELi96ELi8ELi1ELb1EEvPKcS1_S1_S1_S1_PKiPfP15HIP_vector_typeIfLj2EEffffjfiS5_IjLj3EEiiiiiiiiiiiliiliiiiil.has_dyn_sized_stack, or(0, .L_ZL14no_device_codePKciS0_iS0_.has_dyn_sized_stack)
	.set _ZL15flash_attn_tileILi96ELi96ELi8ELi1ELb1EEvPKcS1_S1_S1_S1_PKiPfP15HIP_vector_typeIfLj2EEffffjfiS5_IjLj3EEiiiiiiiiiiiliiliiiiil.has_recursion, or(0, .L_ZL14no_device_codePKciS0_iS0_.has_recursion)
	.set _ZL15flash_attn_tileILi96ELi96ELi8ELi1ELb1EEvPKcS1_S1_S1_S1_PKiPfP15HIP_vector_typeIfLj2EEffffjfiS5_IjLj3EEiiiiiiiiiiiliiliiiiil.has_indirect_call, or(0, .L_ZL14no_device_codePKciS0_iS0_.has_indirect_call)
	.section	.AMDGPU.csdata,"",@progbits
; Kernel info:
; codeLenInByte = 40
; TotalNumSgprs: 36
; NumVgprs: 40
; ScratchSize: 16
; MemoryBound: 0
; FloatMode: 240
; IeeeMode: 1
; LDSByteSize: 0 bytes/workgroup (compile time only)
; SGPRBlocks: 0
; VGPRBlocks: 4
; NumSGPRsForWavesPerEU: 36
; NumVGPRsForWavesPerEU: 40
; Occupancy: 16
; WaveLimiterHint : 1
; COMPUTE_PGM_RSRC2:SCRATCH_EN: 1
; COMPUTE_PGM_RSRC2:USER_SGPR: 2
; COMPUTE_PGM_RSRC2:TRAP_HANDLER: 0
; COMPUTE_PGM_RSRC2:TGID_X_EN: 1
; COMPUTE_PGM_RSRC2:TGID_Y_EN: 0
; COMPUTE_PGM_RSRC2:TGID_Z_EN: 0
; COMPUTE_PGM_RSRC2:TIDIG_COMP_CNT: 0
	.section	.text._ZL15flash_attn_tileILi96ELi96ELi4ELi1ELb1EEvPKcS1_S1_S1_S1_PKiPfP15HIP_vector_typeIfLj2EEffffjfiS5_IjLj3EEiiiiiiiiiiiliiliiiiil,"axG",@progbits,_ZL15flash_attn_tileILi96ELi96ELi4ELi1ELb1EEvPKcS1_S1_S1_S1_PKiPfP15HIP_vector_typeIfLj2EEffffjfiS5_IjLj3EEiiiiiiiiiiiliiliiiiil,comdat
	.globl	_ZL15flash_attn_tileILi96ELi96ELi4ELi1ELb1EEvPKcS1_S1_S1_S1_PKiPfP15HIP_vector_typeIfLj2EEffffjfiS5_IjLj3EEiiiiiiiiiiiliiliiiiil ; -- Begin function _ZL15flash_attn_tileILi96ELi96ELi4ELi1ELb1EEvPKcS1_S1_S1_S1_PKiPfP15HIP_vector_typeIfLj2EEffffjfiS5_IjLj3EEiiiiiiiiiiiliiliiiiil
	.p2align	8
	.type	_ZL15flash_attn_tileILi96ELi96ELi4ELi1ELb1EEvPKcS1_S1_S1_S1_PKiPfP15HIP_vector_typeIfLj2EEffffjfiS5_IjLj3EEiiiiiiiiiiiliiliiiiil,@function
_ZL15flash_attn_tileILi96ELi96ELi4ELi1ELb1EEvPKcS1_S1_S1_S1_PKiPfP15HIP_vector_typeIfLj2EEffffjfiS5_IjLj3EEiiiiiiiiiiiliiliiiiil: ; @_ZL15flash_attn_tileILi96ELi96ELi4ELi1ELb1EEvPKcS1_S1_S1_S1_PKiPfP15HIP_vector_typeIfLj2EEffffjfiS5_IjLj3EEiiiiiiiiiiiliiliiiiil
; %bb.0:
	s_getpc_b64 s[2:3]
	s_sext_i32_i16 s3, s3
	s_add_co_u32 s2, s2, _ZL14no_device_codePKciS0_iS0_@rel32@lo+8
	s_add_co_ci_u32 s3, s3, _ZL14no_device_codePKciS0_iS0_@rel32@hi+16
	s_add_nc_u64 s[8:9], s[0:1], 0xd0
	s_mov_b32 s32, 0
	s_swappc_b64 s[30:31], s[2:3]
	.section	.rodata,"a",@progbits
	.p2align	6, 0x0
	.amdhsa_kernel _ZL15flash_attn_tileILi96ELi96ELi4ELi1ELb1EEvPKcS1_S1_S1_S1_PKiPfP15HIP_vector_typeIfLj2EEffffjfiS5_IjLj3EEiiiiiiiiiiiliiliiiiil
		.amdhsa_group_segment_fixed_size 0
		.amdhsa_private_segment_fixed_size 16
		.amdhsa_kernarg_size 464
		.amdhsa_user_sgpr_count 2
		.amdhsa_user_sgpr_dispatch_ptr 0
		.amdhsa_user_sgpr_queue_ptr 0
		.amdhsa_user_sgpr_kernarg_segment_ptr 1
		.amdhsa_user_sgpr_dispatch_id 0
		.amdhsa_user_sgpr_private_segment_size 0
		.amdhsa_wavefront_size32 1
		.amdhsa_uses_dynamic_stack 0
		.amdhsa_enable_private_segment 1
		.amdhsa_system_sgpr_workgroup_id_x 1
		.amdhsa_system_sgpr_workgroup_id_y 0
		.amdhsa_system_sgpr_workgroup_id_z 0
		.amdhsa_system_sgpr_workgroup_info 0
		.amdhsa_system_vgpr_workitem_id 0
		.amdhsa_next_free_vgpr 40
		.amdhsa_next_free_sgpr 34
		.amdhsa_reserve_vcc 1
		.amdhsa_float_round_mode_32 0
		.amdhsa_float_round_mode_16_64 0
		.amdhsa_float_denorm_mode_32 3
		.amdhsa_float_denorm_mode_16_64 3
		.amdhsa_fp16_overflow 0
		.amdhsa_workgroup_processor_mode 1
		.amdhsa_memory_ordered 1
		.amdhsa_forward_progress 1
		.amdhsa_inst_pref_size 1
		.amdhsa_round_robin_scheduling 0
		.amdhsa_exception_fp_ieee_invalid_op 0
		.amdhsa_exception_fp_denorm_src 0
		.amdhsa_exception_fp_ieee_div_zero 0
		.amdhsa_exception_fp_ieee_overflow 0
		.amdhsa_exception_fp_ieee_underflow 0
		.amdhsa_exception_fp_ieee_inexact 0
		.amdhsa_exception_int_div_zero 0
	.end_amdhsa_kernel
	.section	.text._ZL15flash_attn_tileILi96ELi96ELi4ELi1ELb1EEvPKcS1_S1_S1_S1_PKiPfP15HIP_vector_typeIfLj2EEffffjfiS5_IjLj3EEiiiiiiiiiiiliiliiiiil,"axG",@progbits,_ZL15flash_attn_tileILi96ELi96ELi4ELi1ELb1EEvPKcS1_S1_S1_S1_PKiPfP15HIP_vector_typeIfLj2EEffffjfiS5_IjLj3EEiiiiiiiiiiiliiliiiiil,comdat
.Lfunc_end93:
	.size	_ZL15flash_attn_tileILi96ELi96ELi4ELi1ELb1EEvPKcS1_S1_S1_S1_PKiPfP15HIP_vector_typeIfLj2EEffffjfiS5_IjLj3EEiiiiiiiiiiiliiliiiiil, .Lfunc_end93-_ZL15flash_attn_tileILi96ELi96ELi4ELi1ELb1EEvPKcS1_S1_S1_S1_PKiPfP15HIP_vector_typeIfLj2EEffffjfiS5_IjLj3EEiiiiiiiiiiiliiliiiiil
                                        ; -- End function
	.set _ZL15flash_attn_tileILi96ELi96ELi4ELi1ELb1EEvPKcS1_S1_S1_S1_PKiPfP15HIP_vector_typeIfLj2EEffffjfiS5_IjLj3EEiiiiiiiiiiiliiliiiiil.num_vgpr, max(0, .L_ZL14no_device_codePKciS0_iS0_.num_vgpr)
	.set _ZL15flash_attn_tileILi96ELi96ELi4ELi1ELb1EEvPKcS1_S1_S1_S1_PKiPfP15HIP_vector_typeIfLj2EEffffjfiS5_IjLj3EEiiiiiiiiiiiliiliiiiil.num_agpr, max(0, .L_ZL14no_device_codePKciS0_iS0_.num_agpr)
	.set _ZL15flash_attn_tileILi96ELi96ELi4ELi1ELb1EEvPKcS1_S1_S1_S1_PKiPfP15HIP_vector_typeIfLj2EEffffjfiS5_IjLj3EEiiiiiiiiiiiliiliiiiil.numbered_sgpr, max(33, .L_ZL14no_device_codePKciS0_iS0_.numbered_sgpr)
	.set _ZL15flash_attn_tileILi96ELi96ELi4ELi1ELb1EEvPKcS1_S1_S1_S1_PKiPfP15HIP_vector_typeIfLj2EEffffjfiS5_IjLj3EEiiiiiiiiiiiliiliiiiil.num_named_barrier, max(0, .L_ZL14no_device_codePKciS0_iS0_.num_named_barrier)
	.set _ZL15flash_attn_tileILi96ELi96ELi4ELi1ELb1EEvPKcS1_S1_S1_S1_PKiPfP15HIP_vector_typeIfLj2EEffffjfiS5_IjLj3EEiiiiiiiiiiiliiliiiiil.private_seg_size, 0+max(.L_ZL14no_device_codePKciS0_iS0_.private_seg_size)
	.set _ZL15flash_attn_tileILi96ELi96ELi4ELi1ELb1EEvPKcS1_S1_S1_S1_PKiPfP15HIP_vector_typeIfLj2EEffffjfiS5_IjLj3EEiiiiiiiiiiiliiliiiiil.uses_vcc, or(1, .L_ZL14no_device_codePKciS0_iS0_.uses_vcc)
	.set _ZL15flash_attn_tileILi96ELi96ELi4ELi1ELb1EEvPKcS1_S1_S1_S1_PKiPfP15HIP_vector_typeIfLj2EEffffjfiS5_IjLj3EEiiiiiiiiiiiliiliiiiil.uses_flat_scratch, or(0, .L_ZL14no_device_codePKciS0_iS0_.uses_flat_scratch)
	.set _ZL15flash_attn_tileILi96ELi96ELi4ELi1ELb1EEvPKcS1_S1_S1_S1_PKiPfP15HIP_vector_typeIfLj2EEffffjfiS5_IjLj3EEiiiiiiiiiiiliiliiiiil.has_dyn_sized_stack, or(0, .L_ZL14no_device_codePKciS0_iS0_.has_dyn_sized_stack)
	.set _ZL15flash_attn_tileILi96ELi96ELi4ELi1ELb1EEvPKcS1_S1_S1_S1_PKiPfP15HIP_vector_typeIfLj2EEffffjfiS5_IjLj3EEiiiiiiiiiiiliiliiiiil.has_recursion, or(0, .L_ZL14no_device_codePKciS0_iS0_.has_recursion)
	.set _ZL15flash_attn_tileILi96ELi96ELi4ELi1ELb1EEvPKcS1_S1_S1_S1_PKiPfP15HIP_vector_typeIfLj2EEffffjfiS5_IjLj3EEiiiiiiiiiiiliiliiiiil.has_indirect_call, or(0, .L_ZL14no_device_codePKciS0_iS0_.has_indirect_call)
	.section	.AMDGPU.csdata,"",@progbits
; Kernel info:
; codeLenInByte = 40
; TotalNumSgprs: 36
; NumVgprs: 40
; ScratchSize: 16
; MemoryBound: 0
; FloatMode: 240
; IeeeMode: 1
; LDSByteSize: 0 bytes/workgroup (compile time only)
; SGPRBlocks: 0
; VGPRBlocks: 4
; NumSGPRsForWavesPerEU: 36
; NumVGPRsForWavesPerEU: 40
; Occupancy: 16
; WaveLimiterHint : 1
; COMPUTE_PGM_RSRC2:SCRATCH_EN: 1
; COMPUTE_PGM_RSRC2:USER_SGPR: 2
; COMPUTE_PGM_RSRC2:TRAP_HANDLER: 0
; COMPUTE_PGM_RSRC2:TGID_X_EN: 1
; COMPUTE_PGM_RSRC2:TGID_Y_EN: 0
; COMPUTE_PGM_RSRC2:TGID_Z_EN: 0
; COMPUTE_PGM_RSRC2:TIDIG_COMP_CNT: 0
	.section	.text._ZL15flash_attn_tileILi96ELi96ELi2ELi1ELb1EEvPKcS1_S1_S1_S1_PKiPfP15HIP_vector_typeIfLj2EEffffjfiS5_IjLj3EEiiiiiiiiiiiliiliiiiil,"axG",@progbits,_ZL15flash_attn_tileILi96ELi96ELi2ELi1ELb1EEvPKcS1_S1_S1_S1_PKiPfP15HIP_vector_typeIfLj2EEffffjfiS5_IjLj3EEiiiiiiiiiiiliiliiiiil,comdat
	.globl	_ZL15flash_attn_tileILi96ELi96ELi2ELi1ELb1EEvPKcS1_S1_S1_S1_PKiPfP15HIP_vector_typeIfLj2EEffffjfiS5_IjLj3EEiiiiiiiiiiiliiliiiiil ; -- Begin function _ZL15flash_attn_tileILi96ELi96ELi2ELi1ELb1EEvPKcS1_S1_S1_S1_PKiPfP15HIP_vector_typeIfLj2EEffffjfiS5_IjLj3EEiiiiiiiiiiiliiliiiiil
	.p2align	8
	.type	_ZL15flash_attn_tileILi96ELi96ELi2ELi1ELb1EEvPKcS1_S1_S1_S1_PKiPfP15HIP_vector_typeIfLj2EEffffjfiS5_IjLj3EEiiiiiiiiiiiliiliiiiil,@function
_ZL15flash_attn_tileILi96ELi96ELi2ELi1ELb1EEvPKcS1_S1_S1_S1_PKiPfP15HIP_vector_typeIfLj2EEffffjfiS5_IjLj3EEiiiiiiiiiiiliiliiiiil: ; @_ZL15flash_attn_tileILi96ELi96ELi2ELi1ELb1EEvPKcS1_S1_S1_S1_PKiPfP15HIP_vector_typeIfLj2EEffffjfiS5_IjLj3EEiiiiiiiiiiiliiliiiiil
; %bb.0:
	s_getpc_b64 s[2:3]
	s_sext_i32_i16 s3, s3
	s_add_co_u32 s2, s2, _ZL14no_device_codePKciS0_iS0_@rel32@lo+8
	s_add_co_ci_u32 s3, s3, _ZL14no_device_codePKciS0_iS0_@rel32@hi+16
	s_add_nc_u64 s[8:9], s[0:1], 0xd0
	s_mov_b32 s32, 0
	s_swappc_b64 s[30:31], s[2:3]
	.section	.rodata,"a",@progbits
	.p2align	6, 0x0
	.amdhsa_kernel _ZL15flash_attn_tileILi96ELi96ELi2ELi1ELb1EEvPKcS1_S1_S1_S1_PKiPfP15HIP_vector_typeIfLj2EEffffjfiS5_IjLj3EEiiiiiiiiiiiliiliiiiil
		.amdhsa_group_segment_fixed_size 0
		.amdhsa_private_segment_fixed_size 16
		.amdhsa_kernarg_size 464
		.amdhsa_user_sgpr_count 2
		.amdhsa_user_sgpr_dispatch_ptr 0
		.amdhsa_user_sgpr_queue_ptr 0
		.amdhsa_user_sgpr_kernarg_segment_ptr 1
		.amdhsa_user_sgpr_dispatch_id 0
		.amdhsa_user_sgpr_private_segment_size 0
		.amdhsa_wavefront_size32 1
		.amdhsa_uses_dynamic_stack 0
		.amdhsa_enable_private_segment 1
		.amdhsa_system_sgpr_workgroup_id_x 1
		.amdhsa_system_sgpr_workgroup_id_y 0
		.amdhsa_system_sgpr_workgroup_id_z 0
		.amdhsa_system_sgpr_workgroup_info 0
		.amdhsa_system_vgpr_workitem_id 0
		.amdhsa_next_free_vgpr 40
		.amdhsa_next_free_sgpr 34
		.amdhsa_reserve_vcc 1
		.amdhsa_float_round_mode_32 0
		.amdhsa_float_round_mode_16_64 0
		.amdhsa_float_denorm_mode_32 3
		.amdhsa_float_denorm_mode_16_64 3
		.amdhsa_fp16_overflow 0
		.amdhsa_workgroup_processor_mode 1
		.amdhsa_memory_ordered 1
		.amdhsa_forward_progress 1
		.amdhsa_inst_pref_size 1
		.amdhsa_round_robin_scheduling 0
		.amdhsa_exception_fp_ieee_invalid_op 0
		.amdhsa_exception_fp_denorm_src 0
		.amdhsa_exception_fp_ieee_div_zero 0
		.amdhsa_exception_fp_ieee_overflow 0
		.amdhsa_exception_fp_ieee_underflow 0
		.amdhsa_exception_fp_ieee_inexact 0
		.amdhsa_exception_int_div_zero 0
	.end_amdhsa_kernel
	.section	.text._ZL15flash_attn_tileILi96ELi96ELi2ELi1ELb1EEvPKcS1_S1_S1_S1_PKiPfP15HIP_vector_typeIfLj2EEffffjfiS5_IjLj3EEiiiiiiiiiiiliiliiiiil,"axG",@progbits,_ZL15flash_attn_tileILi96ELi96ELi2ELi1ELb1EEvPKcS1_S1_S1_S1_PKiPfP15HIP_vector_typeIfLj2EEffffjfiS5_IjLj3EEiiiiiiiiiiiliiliiiiil,comdat
.Lfunc_end94:
	.size	_ZL15flash_attn_tileILi96ELi96ELi2ELi1ELb1EEvPKcS1_S1_S1_S1_PKiPfP15HIP_vector_typeIfLj2EEffffjfiS5_IjLj3EEiiiiiiiiiiiliiliiiiil, .Lfunc_end94-_ZL15flash_attn_tileILi96ELi96ELi2ELi1ELb1EEvPKcS1_S1_S1_S1_PKiPfP15HIP_vector_typeIfLj2EEffffjfiS5_IjLj3EEiiiiiiiiiiiliiliiiiil
                                        ; -- End function
	.set _ZL15flash_attn_tileILi96ELi96ELi2ELi1ELb1EEvPKcS1_S1_S1_S1_PKiPfP15HIP_vector_typeIfLj2EEffffjfiS5_IjLj3EEiiiiiiiiiiiliiliiiiil.num_vgpr, max(0, .L_ZL14no_device_codePKciS0_iS0_.num_vgpr)
	.set _ZL15flash_attn_tileILi96ELi96ELi2ELi1ELb1EEvPKcS1_S1_S1_S1_PKiPfP15HIP_vector_typeIfLj2EEffffjfiS5_IjLj3EEiiiiiiiiiiiliiliiiiil.num_agpr, max(0, .L_ZL14no_device_codePKciS0_iS0_.num_agpr)
	.set _ZL15flash_attn_tileILi96ELi96ELi2ELi1ELb1EEvPKcS1_S1_S1_S1_PKiPfP15HIP_vector_typeIfLj2EEffffjfiS5_IjLj3EEiiiiiiiiiiiliiliiiiil.numbered_sgpr, max(33, .L_ZL14no_device_codePKciS0_iS0_.numbered_sgpr)
	.set _ZL15flash_attn_tileILi96ELi96ELi2ELi1ELb1EEvPKcS1_S1_S1_S1_PKiPfP15HIP_vector_typeIfLj2EEffffjfiS5_IjLj3EEiiiiiiiiiiiliiliiiiil.num_named_barrier, max(0, .L_ZL14no_device_codePKciS0_iS0_.num_named_barrier)
	.set _ZL15flash_attn_tileILi96ELi96ELi2ELi1ELb1EEvPKcS1_S1_S1_S1_PKiPfP15HIP_vector_typeIfLj2EEffffjfiS5_IjLj3EEiiiiiiiiiiiliiliiiiil.private_seg_size, 0+max(.L_ZL14no_device_codePKciS0_iS0_.private_seg_size)
	.set _ZL15flash_attn_tileILi96ELi96ELi2ELi1ELb1EEvPKcS1_S1_S1_S1_PKiPfP15HIP_vector_typeIfLj2EEffffjfiS5_IjLj3EEiiiiiiiiiiiliiliiiiil.uses_vcc, or(1, .L_ZL14no_device_codePKciS0_iS0_.uses_vcc)
	.set _ZL15flash_attn_tileILi96ELi96ELi2ELi1ELb1EEvPKcS1_S1_S1_S1_PKiPfP15HIP_vector_typeIfLj2EEffffjfiS5_IjLj3EEiiiiiiiiiiiliiliiiiil.uses_flat_scratch, or(0, .L_ZL14no_device_codePKciS0_iS0_.uses_flat_scratch)
	.set _ZL15flash_attn_tileILi96ELi96ELi2ELi1ELb1EEvPKcS1_S1_S1_S1_PKiPfP15HIP_vector_typeIfLj2EEffffjfiS5_IjLj3EEiiiiiiiiiiiliiliiiiil.has_dyn_sized_stack, or(0, .L_ZL14no_device_codePKciS0_iS0_.has_dyn_sized_stack)
	.set _ZL15flash_attn_tileILi96ELi96ELi2ELi1ELb1EEvPKcS1_S1_S1_S1_PKiPfP15HIP_vector_typeIfLj2EEffffjfiS5_IjLj3EEiiiiiiiiiiiliiliiiiil.has_recursion, or(0, .L_ZL14no_device_codePKciS0_iS0_.has_recursion)
	.set _ZL15flash_attn_tileILi96ELi96ELi2ELi1ELb1EEvPKcS1_S1_S1_S1_PKiPfP15HIP_vector_typeIfLj2EEffffjfiS5_IjLj3EEiiiiiiiiiiiliiliiiiil.has_indirect_call, or(0, .L_ZL14no_device_codePKciS0_iS0_.has_indirect_call)
	.section	.AMDGPU.csdata,"",@progbits
; Kernel info:
; codeLenInByte = 40
; TotalNumSgprs: 36
; NumVgprs: 40
; ScratchSize: 16
; MemoryBound: 0
; FloatMode: 240
; IeeeMode: 1
; LDSByteSize: 0 bytes/workgroup (compile time only)
; SGPRBlocks: 0
; VGPRBlocks: 4
; NumSGPRsForWavesPerEU: 36
; NumVGPRsForWavesPerEU: 40
; Occupancy: 16
; WaveLimiterHint : 1
; COMPUTE_PGM_RSRC2:SCRATCH_EN: 1
; COMPUTE_PGM_RSRC2:USER_SGPR: 2
; COMPUTE_PGM_RSRC2:TRAP_HANDLER: 0
; COMPUTE_PGM_RSRC2:TGID_X_EN: 1
; COMPUTE_PGM_RSRC2:TGID_Y_EN: 0
; COMPUTE_PGM_RSRC2:TGID_Z_EN: 0
; COMPUTE_PGM_RSRC2:TIDIG_COMP_CNT: 0
	.text
	.p2alignl 7, 3214868480
	.fill 96, 4, 3214868480
	.section	.AMDGPU.gpr_maximums,"",@progbits
	.set amdgpu.max_num_vgpr, 40
	.set amdgpu.max_num_agpr, 0
	.set amdgpu.max_num_sgpr, 34
	.text
	.type	.str.3,@object                  ; @.str.3
	.section	.rodata.str1.1,"aMS",@progbits,1
.str.3:
	.asciz	"/root/src/amdgpu-assembly/repos/ggml-org__llama.cpp/ggml/src/ggml-cuda/template-instances/../fattn-tile.cuh"
	.size	.str.3, 108

	.type	__FUNCTION__._ZL15flash_attn_tileILi96ELi96ELi8ELi8ELb1EEvPKcS1_S1_S1_S1_PKiPfP15HIP_vector_typeIfLj2EEffffjfiS5_IjLj3EEiiiiiiiiiiiliiliiiiil,@object ; @__FUNCTION__._ZL15flash_attn_tileILi96ELi96ELi8ELi8ELb1EEvPKcS1_S1_S1_S1_PKiPfP15HIP_vector_typeIfLj2EEffffjfiS5_IjLj3EEiiiiiiiiiiiliiliiiiil
__FUNCTION__._ZL15flash_attn_tileILi96ELi96ELi8ELi8ELb1EEvPKcS1_S1_S1_S1_PKiPfP15HIP_vector_typeIfLj2EEffffjfiS5_IjLj3EEiiiiiiiiiiiliiliiiiil:
	.asciz	"flash_attn_tile"
	.size	__FUNCTION__._ZL15flash_attn_tileILi96ELi96ELi8ELi8ELb1EEvPKcS1_S1_S1_S1_PKiPfP15HIP_vector_typeIfLj2EEffffjfiS5_IjLj3EEiiiiiiiiiiiliiliiiiil, 16

	.type	.str.5,@object                  ; @.str.5
.str.5:
	.asciz	"%s:%d: ERROR: HIP kernel %s has no device code compatible with HIP arch %d.\n"
	.size	.str.5, 77

	.type	__hip_cuid_2ba39acdfdfcb2c,@object ; @__hip_cuid_2ba39acdfdfcb2c
	.section	.bss,"aw",@nobits
	.globl	__hip_cuid_2ba39acdfdfcb2c
__hip_cuid_2ba39acdfdfcb2c:
	.byte	0                               ; 0x0
	.size	__hip_cuid_2ba39acdfdfcb2c, 1

	.ident	"AMD clang version 22.0.0git (https://github.com/RadeonOpenCompute/llvm-project roc-7.2.4 26084 f58b06dce1f9c15707c5f808fd002e18c2accf7e)"
	.section	".note.GNU-stack","",@progbits
	.addrsig
	.addrsig_sym __hip_cuid_2ba39acdfdfcb2c
	.amdgpu_metadata
---
amdhsa.kernels:
  - .args:
      - .address_space:  global
        .offset:         0
        .size:           8
        .value_kind:     global_buffer
      - .address_space:  global
        .offset:         8
        .size:           8
        .value_kind:     global_buffer
      - .address_space:  global
        .offset:         16
        .size:           8
        .value_kind:     global_buffer
      - .address_space:  global
        .offset:         24
        .size:           8
        .value_kind:     global_buffer
      - .address_space:  global
        .offset:         32
        .size:           8
        .value_kind:     global_buffer
      - .address_space:  global
        .offset:         40
        .size:           8
        .value_kind:     global_buffer
      - .address_space:  global
        .offset:         48
        .size:           8
        .value_kind:     global_buffer
      - .address_space:  global
        .offset:         56
        .size:           8
        .value_kind:     global_buffer
      - .offset:         64
        .size:           4
        .value_kind:     by_value
      - .offset:         68
        .size:           4
        .value_kind:     by_value
      - .offset:         72
        .size:           4
        .value_kind:     by_value
      - .offset:         76
        .size:           4
        .value_kind:     by_value
      - .offset:         80
        .size:           4
        .value_kind:     by_value
      - .offset:         84
        .size:           4
        .value_kind:     by_value
      - .offset:         88
        .size:           4
        .value_kind:     by_value
      - .offset:         92
        .size:           12
        .value_kind:     by_value
      - .offset:         104
        .size:           4
        .value_kind:     by_value
      - .offset:         108
        .size:           4
        .value_kind:     by_value
      - .offset:         112
        .size:           4
        .value_kind:     by_value
      - .offset:         116
        .size:           4
        .value_kind:     by_value
      - .offset:         120
        .size:           4
        .value_kind:     by_value
      - .offset:         124
        .size:           4
        .value_kind:     by_value
      - .offset:         128
        .size:           4
        .value_kind:     by_value
      - .offset:         132
        .size:           4
        .value_kind:     by_value
      - .offset:         136
        .size:           4
        .value_kind:     by_value
      - .offset:         140
        .size:           4
        .value_kind:     by_value
      - .offset:         144
        .size:           4
        .value_kind:     by_value
      - .offset:         152
        .size:           8
        .value_kind:     by_value
      - .offset:         160
        .size:           4
        .value_kind:     by_value
      - .offset:         164
        .size:           4
        .value_kind:     by_value
      - .offset:         168
        .size:           8
        .value_kind:     by_value
      - .offset:         176
        .size:           4
        .value_kind:     by_value
      - .offset:         180
        .size:           4
        .value_kind:     by_value
      - .offset:         184
        .size:           4
        .value_kind:     by_value
      - .offset:         188
        .size:           4
        .value_kind:     by_value
      - .offset:         192
        .size:           4
        .value_kind:     by_value
      - .offset:         200
        .size:           8
        .value_kind:     by_value
      - .offset:         208
        .size:           4
        .value_kind:     hidden_block_count_x
      - .offset:         212
        .size:           4
        .value_kind:     hidden_block_count_y
      - .offset:         216
        .size:           4
        .value_kind:     hidden_block_count_z
      - .offset:         220
        .size:           2
        .value_kind:     hidden_group_size_x
      - .offset:         222
        .size:           2
        .value_kind:     hidden_group_size_y
      - .offset:         224
        .size:           2
        .value_kind:     hidden_group_size_z
      - .offset:         226
        .size:           2
        .value_kind:     hidden_remainder_x
      - .offset:         228
        .size:           2
        .value_kind:     hidden_remainder_y
      - .offset:         230
        .size:           2
        .value_kind:     hidden_remainder_z
      - .offset:         248
        .size:           8
        .value_kind:     hidden_global_offset_x
      - .offset:         256
        .size:           8
        .value_kind:     hidden_global_offset_y
      - .offset:         264
        .size:           8
        .value_kind:     hidden_global_offset_z
      - .offset:         272
        .size:           2
        .value_kind:     hidden_grid_dims
    .group_segment_fixed_size: 20096
    .kernarg_segment_align: 8
    .kernarg_segment_size: 464
    .language:       OpenCL C
    .language_version:
      - 2
      - 0
    .max_flat_workgroup_size: 256
    .name:           _ZL15flash_attn_tileILi96ELi96ELi8ELi8ELb0EEvPKcS1_S1_S1_S1_PKiPfP15HIP_vector_typeIfLj2EEffffjfiS5_IjLj3EEiiiiiiiiiiiliiliiiiil
    .private_segment_fixed_size: 0
    .sgpr_count:     58
    .sgpr_spill_count: 0
    .symbol:         _ZL15flash_attn_tileILi96ELi96ELi8ELi8ELb0EEvPKcS1_S1_S1_S1_PKiPfP15HIP_vector_typeIfLj2EEffffjfiS5_IjLj3EEiiiiiiiiiiiliiliiiiil.kd
    .uniform_work_group_size: 1
    .uses_dynamic_stack: false
    .vgpr_count:     249
    .vgpr_spill_count: 0
    .wavefront_size: 32
    .workgroup_processor_mode: 1
  - .args:
      - .actual_access:  read_only
        .address_space:  global
        .offset:         0
        .size:           8
        .value_kind:     global_buffer
      - .actual_access:  write_only
        .address_space:  global
        .offset:         8
        .size:           8
        .value_kind:     global_buffer
      - .offset:         16
        .size:           4
        .value_kind:     by_value
      - .offset:         20
        .size:           4
        .value_kind:     by_value
      - .offset:         24
        .size:           4
        .value_kind:     by_value
      - .offset:         32
        .size:           4
        .value_kind:     hidden_block_count_x
      - .offset:         36
        .size:           4
        .value_kind:     hidden_block_count_y
      - .offset:         40
        .size:           4
        .value_kind:     hidden_block_count_z
      - .offset:         44
        .size:           2
        .value_kind:     hidden_group_size_x
      - .offset:         46
        .size:           2
        .value_kind:     hidden_group_size_y
      - .offset:         48
        .size:           2
        .value_kind:     hidden_group_size_z
      - .offset:         50
        .size:           2
        .value_kind:     hidden_remainder_x
      - .offset:         52
        .size:           2
        .value_kind:     hidden_remainder_y
      - .offset:         54
        .size:           2
        .value_kind:     hidden_remainder_z
      - .offset:         72
        .size:           8
        .value_kind:     hidden_global_offset_x
      - .offset:         80
        .size:           8
        .value_kind:     hidden_global_offset_y
      - .offset:         88
        .size:           8
        .value_kind:     hidden_global_offset_z
      - .offset:         96
        .size:           2
        .value_kind:     hidden_grid_dims
    .group_segment_fixed_size: 128
    .kernarg_segment_align: 8
    .kernarg_segment_size: 288
    .language:       OpenCL C
    .language_version:
      - 2
      - 0
    .max_flat_workgroup_size: 128
    .name:           _ZL25flash_attn_mask_to_KV_maxILi8EEvPK7__half2Piiii
    .private_segment_fixed_size: 0
    .sgpr_count:     27
    .sgpr_spill_count: 0
    .symbol:         _ZL25flash_attn_mask_to_KV_maxILi8EEvPK7__half2Piiii.kd
    .uniform_work_group_size: 1
    .uses_dynamic_stack: false
    .vgpr_count:     9
    .vgpr_spill_count: 0
    .wavefront_size: 32
    .workgroup_processor_mode: 1
  - .args:
      - .address_space:  global
        .offset:         0
        .size:           8
        .value_kind:     global_buffer
      - .address_space:  global
        .offset:         8
        .size:           8
        .value_kind:     global_buffer
      - .offset:         16
        .size:           4
        .value_kind:     by_value
      - .offset:         20
        .size:           4
        .value_kind:     by_value
      - .offset:         24
        .size:           4
        .value_kind:     by_value
      - .offset:         28
        .size:           4
        .value_kind:     by_value
      - .offset:         32
        .size:           4
        .value_kind:     by_value
      - .offset:         36
        .size:           4
        .value_kind:     by_value
      - .offset:         40
        .size:           12
        .value_kind:     by_value
      - .offset:         52
        .size:           12
        .value_kind:     by_value
      - .offset:         64
        .size:           12
        .value_kind:     by_value
    .group_segment_fixed_size: 0
    .kernarg_segment_align: 8
    .kernarg_segment_size: 76
    .language:       OpenCL C
    .language_version:
      - 2
      - 0
    .max_flat_workgroup_size: 96
    .name:           _ZL33flash_attn_stream_k_fixup_uniformILi96ELi8ELi8EEvPfPK15HIP_vector_typeIfLj2EEiiiiiiS1_IjLj3EES5_S5_
    .private_segment_fixed_size: 0
    .sgpr_count:     18
    .sgpr_spill_count: 0
    .symbol:         _ZL33flash_attn_stream_k_fixup_uniformILi96ELi8ELi8EEvPfPK15HIP_vector_typeIfLj2EEiiiiiiS1_IjLj3EES5_S5_.kd
    .uniform_work_group_size: 1
    .uses_dynamic_stack: false
    .vgpr_count:     11
    .vgpr_spill_count: 0
    .wavefront_size: 32
    .workgroup_processor_mode: 1
  - .args:
      - .address_space:  global
        .offset:         0
        .size:           8
        .value_kind:     global_buffer
      - .address_space:  global
        .offset:         8
        .size:           8
        .value_kind:     global_buffer
      - .offset:         16
        .size:           4
        .value_kind:     by_value
      - .offset:         20
        .size:           4
        .value_kind:     by_value
      - .offset:         24
        .size:           4
        .value_kind:     by_value
      - .offset:         28
        .size:           4
        .value_kind:     by_value
      - .offset:         32
        .size:           12
        .value_kind:     by_value
      - .offset:         44
        .size:           12
        .value_kind:     by_value
      - .offset:         56
        .size:           12
        .value_kind:     by_value
      - .offset:         68
        .size:           12
        .value_kind:     by_value
      - .offset:         80
        .size:           4
        .value_kind:     hidden_block_count_x
      - .offset:         84
        .size:           4
        .value_kind:     hidden_block_count_y
      - .offset:         88
        .size:           4
        .value_kind:     hidden_block_count_z
      - .offset:         92
        .size:           2
        .value_kind:     hidden_group_size_x
      - .offset:         94
        .size:           2
        .value_kind:     hidden_group_size_y
      - .offset:         96
        .size:           2
        .value_kind:     hidden_group_size_z
      - .offset:         98
        .size:           2
        .value_kind:     hidden_remainder_x
      - .offset:         100
        .size:           2
        .value_kind:     hidden_remainder_y
      - .offset:         102
        .size:           2
        .value_kind:     hidden_remainder_z
      - .offset:         120
        .size:           8
        .value_kind:     hidden_global_offset_x
      - .offset:         128
        .size:           8
        .value_kind:     hidden_global_offset_y
      - .offset:         136
        .size:           8
        .value_kind:     hidden_global_offset_z
      - .offset:         144
        .size:           2
        .value_kind:     hidden_grid_dims
    .group_segment_fixed_size: 0
    .kernarg_segment_align: 8
    .kernarg_segment_size: 336
    .language:       OpenCL C
    .language_version:
      - 2
      - 0
    .max_flat_workgroup_size: 96
    .name:           _ZL33flash_attn_stream_k_fixup_generalILi96ELi8ELi8EEvPfPK15HIP_vector_typeIfLj2EEiiiiS1_IjLj3EES5_S5_S5_
    .private_segment_fixed_size: 0
    .sgpr_count:     46
    .sgpr_spill_count: 0
    .symbol:         _ZL33flash_attn_stream_k_fixup_generalILi96ELi8ELi8EEvPfPK15HIP_vector_typeIfLj2EEiiiiS1_IjLj3EES5_S5_S5_.kd
    .uniform_work_group_size: 1
    .uses_dynamic_stack: false
    .vgpr_count:     9
    .vgpr_spill_count: 0
    .wavefront_size: 32
    .workgroup_processor_mode: 1
  - .args:
      - .address_space:  global
        .offset:         0
        .size:           8
        .value_kind:     global_buffer
      - .address_space:  global
        .offset:         8
        .size:           8
        .value_kind:     global_buffer
      - .address_space:  global
        .offset:         16
        .size:           8
        .value_kind:     global_buffer
      - .offset:         24
        .size:           4
        .value_kind:     by_value
      - .offset:         32
        .size:           4
        .value_kind:     hidden_block_count_x
      - .offset:         36
        .size:           4
        .value_kind:     hidden_block_count_y
      - .offset:         40
        .size:           4
        .value_kind:     hidden_block_count_z
      - .offset:         44
        .size:           2
        .value_kind:     hidden_group_size_x
      - .offset:         46
        .size:           2
        .value_kind:     hidden_group_size_y
      - .offset:         48
        .size:           2
        .value_kind:     hidden_group_size_z
      - .offset:         50
        .size:           2
        .value_kind:     hidden_remainder_x
      - .offset:         52
        .size:           2
        .value_kind:     hidden_remainder_y
      - .offset:         54
        .size:           2
        .value_kind:     hidden_remainder_z
      - .offset:         72
        .size:           8
        .value_kind:     hidden_global_offset_x
      - .offset:         80
        .size:           8
        .value_kind:     hidden_global_offset_y
      - .offset:         88
        .size:           8
        .value_kind:     hidden_global_offset_z
      - .offset:         96
        .size:           2
        .value_kind:     hidden_grid_dims
      - .offset:         152
        .size:           4
        .value_kind:     hidden_dynamic_lds_size
    .group_segment_fixed_size: 0
    .kernarg_segment_align: 8
    .kernarg_segment_size: 288
    .language:       OpenCL C
    .language_version:
      - 2
      - 0
    .max_flat_workgroup_size: 96
    .name:           _ZL26flash_attn_combine_resultsILi96EEvPKfPK15HIP_vector_typeIfLj2EEPfi
    .private_segment_fixed_size: 0
    .sgpr_count:     22
    .sgpr_spill_count: 0
    .symbol:         _ZL26flash_attn_combine_resultsILi96EEvPKfPK15HIP_vector_typeIfLj2EEPfi.kd
    .uniform_work_group_size: 1
    .uses_dynamic_stack: false
    .vgpr_count:     57
    .vgpr_spill_count: 0
    .wavefront_size: 32
    .workgroup_processor_mode: 1
  - .args:
      - .address_space:  global
        .offset:         0
        .size:           8
        .value_kind:     global_buffer
      - .address_space:  global
        .offset:         8
        .size:           8
        .value_kind:     global_buffer
      - .address_space:  global
        .offset:         16
        .size:           8
        .value_kind:     global_buffer
      - .address_space:  global
        .offset:         24
        .size:           8
        .value_kind:     global_buffer
      - .address_space:  global
        .offset:         32
        .size:           8
        .value_kind:     global_buffer
      - .address_space:  global
        .offset:         40
        .size:           8
        .value_kind:     global_buffer
      - .address_space:  global
        .offset:         48
        .size:           8
        .value_kind:     global_buffer
      - .address_space:  global
        .offset:         56
        .size:           8
        .value_kind:     global_buffer
      - .offset:         64
        .size:           4
        .value_kind:     by_value
      - .offset:         68
        .size:           4
        .value_kind:     by_value
      - .offset:         72
        .size:           4
        .value_kind:     by_value
      - .offset:         76
        .size:           4
        .value_kind:     by_value
      - .offset:         80
        .size:           4
        .value_kind:     by_value
      - .offset:         84
        .size:           4
        .value_kind:     by_value
      - .offset:         88
        .size:           4
        .value_kind:     by_value
      - .offset:         92
        .size:           12
        .value_kind:     by_value
      - .offset:         104
        .size:           4
        .value_kind:     by_value
      - .offset:         108
        .size:           4
        .value_kind:     by_value
      - .offset:         112
        .size:           4
        .value_kind:     by_value
      - .offset:         116
        .size:           4
        .value_kind:     by_value
      - .offset:         120
        .size:           4
        .value_kind:     by_value
      - .offset:         124
        .size:           4
        .value_kind:     by_value
      - .offset:         128
        .size:           4
        .value_kind:     by_value
      - .offset:         132
        .size:           4
        .value_kind:     by_value
      - .offset:         136
        .size:           4
        .value_kind:     by_value
      - .offset:         140
        .size:           4
        .value_kind:     by_value
      - .offset:         144
        .size:           4
        .value_kind:     by_value
      - .offset:         152
        .size:           8
        .value_kind:     by_value
      - .offset:         160
        .size:           4
        .value_kind:     by_value
      - .offset:         164
        .size:           4
        .value_kind:     by_value
      - .offset:         168
        .size:           8
        .value_kind:     by_value
      - .offset:         176
        .size:           4
        .value_kind:     by_value
      - .offset:         180
        .size:           4
        .value_kind:     by_value
      - .offset:         184
        .size:           4
        .value_kind:     by_value
      - .offset:         188
        .size:           4
        .value_kind:     by_value
      - .offset:         192
        .size:           4
        .value_kind:     by_value
      - .offset:         200
        .size:           8
        .value_kind:     by_value
      - .offset:         208
        .size:           4
        .value_kind:     hidden_block_count_x
      - .offset:         212
        .size:           4
        .value_kind:     hidden_block_count_y
      - .offset:         216
        .size:           4
        .value_kind:     hidden_block_count_z
      - .offset:         220
        .size:           2
        .value_kind:     hidden_group_size_x
      - .offset:         222
        .size:           2
        .value_kind:     hidden_group_size_y
      - .offset:         224
        .size:           2
        .value_kind:     hidden_group_size_z
      - .offset:         226
        .size:           2
        .value_kind:     hidden_remainder_x
      - .offset:         228
        .size:           2
        .value_kind:     hidden_remainder_y
      - .offset:         230
        .size:           2
        .value_kind:     hidden_remainder_z
      - .offset:         248
        .size:           8
        .value_kind:     hidden_global_offset_x
      - .offset:         256
        .size:           8
        .value_kind:     hidden_global_offset_y
      - .offset:         264
        .size:           8
        .value_kind:     hidden_global_offset_z
      - .offset:         272
        .size:           2
        .value_kind:     hidden_grid_dims
    .group_segment_fixed_size: 11904
    .kernarg_segment_align: 8
    .kernarg_segment_size: 464
    .language:       OpenCL C
    .language_version:
      - 2
      - 0
    .max_flat_workgroup_size: 256
    .name:           _ZL15flash_attn_tileILi96ELi96ELi4ELi8ELb0EEvPKcS1_S1_S1_S1_PKiPfP15HIP_vector_typeIfLj2EEffffjfiS5_IjLj3EEiiiiiiiiiiiliiliiiiil
    .private_segment_fixed_size: 0
    .sgpr_count:     48
    .sgpr_spill_count: 0
    .symbol:         _ZL15flash_attn_tileILi96ELi96ELi4ELi8ELb0EEvPKcS1_S1_S1_S1_PKiPfP15HIP_vector_typeIfLj2EEffffjfiS5_IjLj3EEiiiiiiiiiiiliiliiiiil.kd
    .uniform_work_group_size: 1
    .uses_dynamic_stack: false
    .vgpr_count:     153
    .vgpr_spill_count: 0
    .wavefront_size: 32
    .workgroup_processor_mode: 1
  - .args:
      - .actual_access:  read_only
        .address_space:  global
        .offset:         0
        .size:           8
        .value_kind:     global_buffer
      - .actual_access:  write_only
        .address_space:  global
        .offset:         8
        .size:           8
        .value_kind:     global_buffer
      - .offset:         16
        .size:           4
        .value_kind:     by_value
      - .offset:         20
        .size:           4
        .value_kind:     by_value
      - .offset:         24
        .size:           4
        .value_kind:     by_value
      - .offset:         32
        .size:           4
        .value_kind:     hidden_block_count_x
      - .offset:         36
        .size:           4
        .value_kind:     hidden_block_count_y
      - .offset:         40
        .size:           4
        .value_kind:     hidden_block_count_z
      - .offset:         44
        .size:           2
        .value_kind:     hidden_group_size_x
      - .offset:         46
        .size:           2
        .value_kind:     hidden_group_size_y
      - .offset:         48
        .size:           2
        .value_kind:     hidden_group_size_z
      - .offset:         50
        .size:           2
        .value_kind:     hidden_remainder_x
      - .offset:         52
        .size:           2
        .value_kind:     hidden_remainder_y
      - .offset:         54
        .size:           2
        .value_kind:     hidden_remainder_z
      - .offset:         72
        .size:           8
        .value_kind:     hidden_global_offset_x
      - .offset:         80
        .size:           8
        .value_kind:     hidden_global_offset_y
      - .offset:         88
        .size:           8
        .value_kind:     hidden_global_offset_z
      - .offset:         96
        .size:           2
        .value_kind:     hidden_grid_dims
    .group_segment_fixed_size: 128
    .kernarg_segment_align: 8
    .kernarg_segment_size: 288
    .language:       OpenCL C
    .language_version:
      - 2
      - 0
    .max_flat_workgroup_size: 128
    .name:           _ZL25flash_attn_mask_to_KV_maxILi4EEvPK7__half2Piiii
    .private_segment_fixed_size: 0
    .sgpr_count:     19
    .sgpr_spill_count: 0
    .symbol:         _ZL25flash_attn_mask_to_KV_maxILi4EEvPK7__half2Piiii.kd
    .uniform_work_group_size: 1
    .uses_dynamic_stack: false
    .vgpr_count:     9
    .vgpr_spill_count: 0
    .wavefront_size: 32
    .workgroup_processor_mode: 1
  - .args:
      - .address_space:  global
        .offset:         0
        .size:           8
        .value_kind:     global_buffer
      - .address_space:  global
        .offset:         8
        .size:           8
        .value_kind:     global_buffer
      - .offset:         16
        .size:           4
        .value_kind:     by_value
      - .offset:         20
        .size:           4
        .value_kind:     by_value
      - .offset:         24
        .size:           4
        .value_kind:     by_value
      - .offset:         28
        .size:           4
        .value_kind:     by_value
      - .offset:         32
        .size:           4
        .value_kind:     by_value
      - .offset:         36
        .size:           4
        .value_kind:     by_value
      - .offset:         40
        .size:           12
        .value_kind:     by_value
      - .offset:         52
        .size:           12
        .value_kind:     by_value
      - .offset:         64
        .size:           12
        .value_kind:     by_value
    .group_segment_fixed_size: 0
    .kernarg_segment_align: 8
    .kernarg_segment_size: 76
    .language:       OpenCL C
    .language_version:
      - 2
      - 0
    .max_flat_workgroup_size: 96
    .name:           _ZL33flash_attn_stream_k_fixup_uniformILi96ELi4ELi8EEvPfPK15HIP_vector_typeIfLj2EEiiiiiiS1_IjLj3EES5_S5_
    .private_segment_fixed_size: 0
    .sgpr_count:     18
    .sgpr_spill_count: 0
    .symbol:         _ZL33flash_attn_stream_k_fixup_uniformILi96ELi4ELi8EEvPfPK15HIP_vector_typeIfLj2EEiiiiiiS1_IjLj3EES5_S5_.kd
    .uniform_work_group_size: 1
    .uses_dynamic_stack: false
    .vgpr_count:     11
    .vgpr_spill_count: 0
    .wavefront_size: 32
    .workgroup_processor_mode: 1
  - .args:
      - .address_space:  global
        .offset:         0
        .size:           8
        .value_kind:     global_buffer
      - .address_space:  global
        .offset:         8
        .size:           8
        .value_kind:     global_buffer
      - .offset:         16
        .size:           4
        .value_kind:     by_value
      - .offset:         20
        .size:           4
        .value_kind:     by_value
      - .offset:         24
        .size:           4
        .value_kind:     by_value
      - .offset:         28
        .size:           4
        .value_kind:     by_value
      - .offset:         32
        .size:           12
        .value_kind:     by_value
      - .offset:         44
        .size:           12
        .value_kind:     by_value
      - .offset:         56
        .size:           12
        .value_kind:     by_value
      - .offset:         68
        .size:           12
        .value_kind:     by_value
      - .offset:         80
        .size:           4
        .value_kind:     hidden_block_count_x
      - .offset:         84
        .size:           4
        .value_kind:     hidden_block_count_y
      - .offset:         88
        .size:           4
        .value_kind:     hidden_block_count_z
      - .offset:         92
        .size:           2
        .value_kind:     hidden_group_size_x
      - .offset:         94
        .size:           2
        .value_kind:     hidden_group_size_y
      - .offset:         96
        .size:           2
        .value_kind:     hidden_group_size_z
      - .offset:         98
        .size:           2
        .value_kind:     hidden_remainder_x
      - .offset:         100
        .size:           2
        .value_kind:     hidden_remainder_y
      - .offset:         102
        .size:           2
        .value_kind:     hidden_remainder_z
      - .offset:         120
        .size:           8
        .value_kind:     hidden_global_offset_x
      - .offset:         128
        .size:           8
        .value_kind:     hidden_global_offset_y
      - .offset:         136
        .size:           8
        .value_kind:     hidden_global_offset_z
      - .offset:         144
        .size:           2
        .value_kind:     hidden_grid_dims
    .group_segment_fixed_size: 0
    .kernarg_segment_align: 8
    .kernarg_segment_size: 336
    .language:       OpenCL C
    .language_version:
      - 2
      - 0
    .max_flat_workgroup_size: 96
    .name:           _ZL33flash_attn_stream_k_fixup_generalILi96ELi4ELi8EEvPfPK15HIP_vector_typeIfLj2EEiiiiS1_IjLj3EES5_S5_S5_
    .private_segment_fixed_size: 0
    .sgpr_count:     46
    .sgpr_spill_count: 0
    .symbol:         _ZL33flash_attn_stream_k_fixup_generalILi96ELi4ELi8EEvPfPK15HIP_vector_typeIfLj2EEiiiiS1_IjLj3EES5_S5_S5_.kd
    .uniform_work_group_size: 1
    .uses_dynamic_stack: false
    .vgpr_count:     9
    .vgpr_spill_count: 0
    .wavefront_size: 32
    .workgroup_processor_mode: 1
  - .args:
      - .address_space:  global
        .offset:         0
        .size:           8
        .value_kind:     global_buffer
      - .address_space:  global
        .offset:         8
        .size:           8
        .value_kind:     global_buffer
      - .address_space:  global
        .offset:         16
        .size:           8
        .value_kind:     global_buffer
      - .address_space:  global
        .offset:         24
        .size:           8
        .value_kind:     global_buffer
      - .address_space:  global
        .offset:         32
        .size:           8
        .value_kind:     global_buffer
      - .address_space:  global
        .offset:         40
        .size:           8
        .value_kind:     global_buffer
      - .address_space:  global
        .offset:         48
        .size:           8
        .value_kind:     global_buffer
      - .address_space:  global
        .offset:         56
        .size:           8
        .value_kind:     global_buffer
      - .offset:         64
        .size:           4
        .value_kind:     by_value
      - .offset:         68
        .size:           4
        .value_kind:     by_value
      - .offset:         72
        .size:           4
        .value_kind:     by_value
      - .offset:         76
        .size:           4
        .value_kind:     by_value
      - .offset:         80
        .size:           4
        .value_kind:     by_value
      - .offset:         84
        .size:           4
        .value_kind:     by_value
      - .offset:         88
        .size:           4
        .value_kind:     by_value
      - .offset:         92
        .size:           12
        .value_kind:     by_value
      - .offset:         104
        .size:           4
        .value_kind:     by_value
      - .offset:         108
        .size:           4
        .value_kind:     by_value
      - .offset:         112
        .size:           4
        .value_kind:     by_value
      - .offset:         116
        .size:           4
        .value_kind:     by_value
      - .offset:         120
        .size:           4
        .value_kind:     by_value
      - .offset:         124
        .size:           4
        .value_kind:     by_value
      - .offset:         128
        .size:           4
        .value_kind:     by_value
      - .offset:         132
        .size:           4
        .value_kind:     by_value
      - .offset:         136
        .size:           4
        .value_kind:     by_value
      - .offset:         140
        .size:           4
        .value_kind:     by_value
      - .offset:         144
        .size:           4
        .value_kind:     by_value
      - .offset:         152
        .size:           8
        .value_kind:     by_value
      - .offset:         160
        .size:           4
        .value_kind:     by_value
      - .offset:         164
        .size:           4
        .value_kind:     by_value
      - .offset:         168
        .size:           8
        .value_kind:     by_value
      - .offset:         176
        .size:           4
        .value_kind:     by_value
      - .offset:         180
        .size:           4
        .value_kind:     by_value
      - .offset:         184
        .size:           4
        .value_kind:     by_value
      - .offset:         188
        .size:           4
        .value_kind:     by_value
      - .offset:         192
        .size:           4
        .value_kind:     by_value
      - .offset:         200
        .size:           8
        .value_kind:     by_value
      - .offset:         208
        .size:           4
        .value_kind:     hidden_block_count_x
      - .offset:         212
        .size:           4
        .value_kind:     hidden_block_count_y
      - .offset:         216
        .size:           4
        .value_kind:     hidden_block_count_z
      - .offset:         220
        .size:           2
        .value_kind:     hidden_group_size_x
      - .offset:         222
        .size:           2
        .value_kind:     hidden_group_size_y
      - .offset:         224
        .size:           2
        .value_kind:     hidden_group_size_z
      - .offset:         226
        .size:           2
        .value_kind:     hidden_remainder_x
      - .offset:         228
        .size:           2
        .value_kind:     hidden_remainder_y
      - .offset:         230
        .size:           2
        .value_kind:     hidden_remainder_z
      - .offset:         248
        .size:           8
        .value_kind:     hidden_global_offset_x
      - .offset:         256
        .size:           8
        .value_kind:     hidden_global_offset_y
      - .offset:         264
        .size:           8
        .value_kind:     hidden_global_offset_z
      - .offset:         272
        .size:           2
        .value_kind:     hidden_grid_dims
    .group_segment_fixed_size: 7808
    .kernarg_segment_align: 8
    .kernarg_segment_size: 464
    .language:       OpenCL C
    .language_version:
      - 2
      - 0
    .max_flat_workgroup_size: 256
    .name:           _ZL15flash_attn_tileILi96ELi96ELi2ELi8ELb0EEvPKcS1_S1_S1_S1_PKiPfP15HIP_vector_typeIfLj2EEffffjfiS5_IjLj3EEiiiiiiiiiiiliiliiiiil
    .private_segment_fixed_size: 0
    .sgpr_count:     46
    .sgpr_spill_count: 0
    .symbol:         _ZL15flash_attn_tileILi96ELi96ELi2ELi8ELb0EEvPKcS1_S1_S1_S1_PKiPfP15HIP_vector_typeIfLj2EEffffjfiS5_IjLj3EEiiiiiiiiiiiliiliiiiil.kd
    .uniform_work_group_size: 1
    .uses_dynamic_stack: false
    .vgpr_count:     110
    .vgpr_spill_count: 0
    .wavefront_size: 32
    .workgroup_processor_mode: 1
  - .args:
      - .actual_access:  read_only
        .address_space:  global
        .offset:         0
        .size:           8
        .value_kind:     global_buffer
      - .actual_access:  write_only
        .address_space:  global
        .offset:         8
        .size:           8
        .value_kind:     global_buffer
      - .offset:         16
        .size:           4
        .value_kind:     by_value
      - .offset:         20
        .size:           4
        .value_kind:     by_value
      - .offset:         24
        .size:           4
        .value_kind:     by_value
      - .offset:         32
        .size:           4
        .value_kind:     hidden_block_count_x
      - .offset:         36
        .size:           4
        .value_kind:     hidden_block_count_y
      - .offset:         40
        .size:           4
        .value_kind:     hidden_block_count_z
      - .offset:         44
        .size:           2
        .value_kind:     hidden_group_size_x
      - .offset:         46
        .size:           2
        .value_kind:     hidden_group_size_y
      - .offset:         48
        .size:           2
        .value_kind:     hidden_group_size_z
      - .offset:         50
        .size:           2
        .value_kind:     hidden_remainder_x
      - .offset:         52
        .size:           2
        .value_kind:     hidden_remainder_y
      - .offset:         54
        .size:           2
        .value_kind:     hidden_remainder_z
      - .offset:         72
        .size:           8
        .value_kind:     hidden_global_offset_x
      - .offset:         80
        .size:           8
        .value_kind:     hidden_global_offset_y
      - .offset:         88
        .size:           8
        .value_kind:     hidden_global_offset_z
      - .offset:         96
        .size:           2
        .value_kind:     hidden_grid_dims
    .group_segment_fixed_size: 128
    .kernarg_segment_align: 8
    .kernarg_segment_size: 288
    .language:       OpenCL C
    .language_version:
      - 2
      - 0
    .max_flat_workgroup_size: 128
    .name:           _ZL25flash_attn_mask_to_KV_maxILi2EEvPK7__half2Piiii
    .private_segment_fixed_size: 0
    .sgpr_count:     15
    .sgpr_spill_count: 0
    .symbol:         _ZL25flash_attn_mask_to_KV_maxILi2EEvPK7__half2Piiii.kd
    .uniform_work_group_size: 1
    .uses_dynamic_stack: false
    .vgpr_count:     7
    .vgpr_spill_count: 0
    .wavefront_size: 32
    .workgroup_processor_mode: 1
  - .args:
      - .address_space:  global
        .offset:         0
        .size:           8
        .value_kind:     global_buffer
      - .address_space:  global
        .offset:         8
        .size:           8
        .value_kind:     global_buffer
      - .offset:         16
        .size:           4
        .value_kind:     by_value
      - .offset:         20
        .size:           4
        .value_kind:     by_value
      - .offset:         24
        .size:           4
        .value_kind:     by_value
      - .offset:         28
        .size:           4
        .value_kind:     by_value
      - .offset:         32
        .size:           4
        .value_kind:     by_value
      - .offset:         36
        .size:           4
        .value_kind:     by_value
      - .offset:         40
        .size:           12
        .value_kind:     by_value
      - .offset:         52
        .size:           12
        .value_kind:     by_value
      - .offset:         64
        .size:           12
        .value_kind:     by_value
    .group_segment_fixed_size: 0
    .kernarg_segment_align: 8
    .kernarg_segment_size: 76
    .language:       OpenCL C
    .language_version:
      - 2
      - 0
    .max_flat_workgroup_size: 96
    .name:           _ZL33flash_attn_stream_k_fixup_uniformILi96ELi2ELi8EEvPfPK15HIP_vector_typeIfLj2EEiiiiiiS1_IjLj3EES5_S5_
    .private_segment_fixed_size: 0
    .sgpr_count:     18
    .sgpr_spill_count: 0
    .symbol:         _ZL33flash_attn_stream_k_fixup_uniformILi96ELi2ELi8EEvPfPK15HIP_vector_typeIfLj2EEiiiiiiS1_IjLj3EES5_S5_.kd
    .uniform_work_group_size: 1
    .uses_dynamic_stack: false
    .vgpr_count:     11
    .vgpr_spill_count: 0
    .wavefront_size: 32
    .workgroup_processor_mode: 1
  - .args:
      - .address_space:  global
        .offset:         0
        .size:           8
        .value_kind:     global_buffer
      - .address_space:  global
        .offset:         8
        .size:           8
        .value_kind:     global_buffer
      - .offset:         16
        .size:           4
        .value_kind:     by_value
      - .offset:         20
        .size:           4
        .value_kind:     by_value
      - .offset:         24
        .size:           4
        .value_kind:     by_value
      - .offset:         28
        .size:           4
        .value_kind:     by_value
      - .offset:         32
        .size:           12
        .value_kind:     by_value
      - .offset:         44
        .size:           12
        .value_kind:     by_value
      - .offset:         56
        .size:           12
        .value_kind:     by_value
      - .offset:         68
        .size:           12
        .value_kind:     by_value
      - .offset:         80
        .size:           4
        .value_kind:     hidden_block_count_x
      - .offset:         84
        .size:           4
        .value_kind:     hidden_block_count_y
      - .offset:         88
        .size:           4
        .value_kind:     hidden_block_count_z
      - .offset:         92
        .size:           2
        .value_kind:     hidden_group_size_x
      - .offset:         94
        .size:           2
        .value_kind:     hidden_group_size_y
      - .offset:         96
        .size:           2
        .value_kind:     hidden_group_size_z
      - .offset:         98
        .size:           2
        .value_kind:     hidden_remainder_x
      - .offset:         100
        .size:           2
        .value_kind:     hidden_remainder_y
      - .offset:         102
        .size:           2
        .value_kind:     hidden_remainder_z
      - .offset:         120
        .size:           8
        .value_kind:     hidden_global_offset_x
      - .offset:         128
        .size:           8
        .value_kind:     hidden_global_offset_y
      - .offset:         136
        .size:           8
        .value_kind:     hidden_global_offset_z
      - .offset:         144
        .size:           2
        .value_kind:     hidden_grid_dims
    .group_segment_fixed_size: 0
    .kernarg_segment_align: 8
    .kernarg_segment_size: 336
    .language:       OpenCL C
    .language_version:
      - 2
      - 0
    .max_flat_workgroup_size: 96
    .name:           _ZL33flash_attn_stream_k_fixup_generalILi96ELi2ELi8EEvPfPK15HIP_vector_typeIfLj2EEiiiiS1_IjLj3EES5_S5_S5_
    .private_segment_fixed_size: 0
    .sgpr_count:     46
    .sgpr_spill_count: 0
    .symbol:         _ZL33flash_attn_stream_k_fixup_generalILi96ELi2ELi8EEvPfPK15HIP_vector_typeIfLj2EEiiiiS1_IjLj3EES5_S5_S5_.kd
    .uniform_work_group_size: 1
    .uses_dynamic_stack: false
    .vgpr_count:     9
    .vgpr_spill_count: 0
    .wavefront_size: 32
    .workgroup_processor_mode: 1
  - .args:
      - .address_space:  global
        .offset:         0
        .size:           8
        .value_kind:     global_buffer
      - .address_space:  global
        .offset:         8
        .size:           8
        .value_kind:     global_buffer
      - .address_space:  global
        .offset:         16
        .size:           8
        .value_kind:     global_buffer
      - .address_space:  global
        .offset:         24
        .size:           8
        .value_kind:     global_buffer
      - .address_space:  global
        .offset:         32
        .size:           8
        .value_kind:     global_buffer
      - .address_space:  global
        .offset:         40
        .size:           8
        .value_kind:     global_buffer
      - .address_space:  global
        .offset:         48
        .size:           8
        .value_kind:     global_buffer
      - .address_space:  global
        .offset:         56
        .size:           8
        .value_kind:     global_buffer
      - .offset:         64
        .size:           4
        .value_kind:     by_value
      - .offset:         68
        .size:           4
        .value_kind:     by_value
      - .offset:         72
        .size:           4
        .value_kind:     by_value
      - .offset:         76
        .size:           4
        .value_kind:     by_value
      - .offset:         80
        .size:           4
        .value_kind:     by_value
      - .offset:         84
        .size:           4
        .value_kind:     by_value
      - .offset:         88
        .size:           4
        .value_kind:     by_value
      - .offset:         92
        .size:           12
        .value_kind:     by_value
      - .offset:         104
        .size:           4
        .value_kind:     by_value
      - .offset:         108
        .size:           4
        .value_kind:     by_value
      - .offset:         112
        .size:           4
        .value_kind:     by_value
      - .offset:         116
        .size:           4
        .value_kind:     by_value
      - .offset:         120
        .size:           4
        .value_kind:     by_value
      - .offset:         124
        .size:           4
        .value_kind:     by_value
      - .offset:         128
        .size:           4
        .value_kind:     by_value
      - .offset:         132
        .size:           4
        .value_kind:     by_value
      - .offset:         136
        .size:           4
        .value_kind:     by_value
      - .offset:         140
        .size:           4
        .value_kind:     by_value
      - .offset:         144
        .size:           4
        .value_kind:     by_value
      - .offset:         152
        .size:           8
        .value_kind:     by_value
      - .offset:         160
        .size:           4
        .value_kind:     by_value
      - .offset:         164
        .size:           4
        .value_kind:     by_value
      - .offset:         168
        .size:           8
        .value_kind:     by_value
      - .offset:         176
        .size:           4
        .value_kind:     by_value
      - .offset:         180
        .size:           4
        .value_kind:     by_value
      - .offset:         184
        .size:           4
        .value_kind:     by_value
      - .offset:         188
        .size:           4
        .value_kind:     by_value
      - .offset:         192
        .size:           4
        .value_kind:     by_value
      - .offset:         200
        .size:           8
        .value_kind:     by_value
      - .offset:         208
        .size:           4
        .value_kind:     hidden_block_count_x
      - .offset:         212
        .size:           4
        .value_kind:     hidden_block_count_y
      - .offset:         216
        .size:           4
        .value_kind:     hidden_block_count_z
      - .offset:         220
        .size:           2
        .value_kind:     hidden_group_size_x
      - .offset:         222
        .size:           2
        .value_kind:     hidden_group_size_y
      - .offset:         224
        .size:           2
        .value_kind:     hidden_group_size_z
      - .offset:         226
        .size:           2
        .value_kind:     hidden_remainder_x
      - .offset:         228
        .size:           2
        .value_kind:     hidden_remainder_y
      - .offset:         230
        .size:           2
        .value_kind:     hidden_remainder_z
      - .offset:         248
        .size:           8
        .value_kind:     hidden_global_offset_x
      - .offset:         256
        .size:           8
        .value_kind:     hidden_global_offset_y
      - .offset:         264
        .size:           8
        .value_kind:     hidden_global_offset_z
      - .offset:         272
        .size:           2
        .value_kind:     hidden_grid_dims
    .group_segment_fixed_size: 5760
    .kernarg_segment_align: 8
    .kernarg_segment_size: 464
    .language:       OpenCL C
    .language_version:
      - 2
      - 0
    .max_flat_workgroup_size: 256
    .name:           _ZL15flash_attn_tileILi96ELi96ELi1ELi8ELb0EEvPKcS1_S1_S1_S1_PKiPfP15HIP_vector_typeIfLj2EEffffjfiS5_IjLj3EEiiiiiiiiiiiliiliiiiil
    .private_segment_fixed_size: 0
    .sgpr_count:     48
    .sgpr_spill_count: 0
    .symbol:         _ZL15flash_attn_tileILi96ELi96ELi1ELi8ELb0EEvPKcS1_S1_S1_S1_PKiPfP15HIP_vector_typeIfLj2EEffffjfiS5_IjLj3EEiiiiiiiiiiiliiliiiiil.kd
    .uniform_work_group_size: 1
    .uses_dynamic_stack: false
    .vgpr_count:     84
    .vgpr_spill_count: 0
    .wavefront_size: 32
    .workgroup_processor_mode: 1
  - .args:
      - .actual_access:  read_only
        .address_space:  global
        .offset:         0
        .size:           8
        .value_kind:     global_buffer
      - .actual_access:  write_only
        .address_space:  global
        .offset:         8
        .size:           8
        .value_kind:     global_buffer
      - .offset:         16
        .size:           4
        .value_kind:     by_value
      - .offset:         20
        .size:           4
        .value_kind:     by_value
      - .offset:         24
        .size:           4
        .value_kind:     by_value
      - .offset:         32
        .size:           4
        .value_kind:     hidden_block_count_x
      - .offset:         36
        .size:           4
        .value_kind:     hidden_block_count_y
      - .offset:         40
        .size:           4
        .value_kind:     hidden_block_count_z
      - .offset:         44
        .size:           2
        .value_kind:     hidden_group_size_x
      - .offset:         46
        .size:           2
        .value_kind:     hidden_group_size_y
      - .offset:         48
        .size:           2
        .value_kind:     hidden_group_size_z
      - .offset:         50
        .size:           2
        .value_kind:     hidden_remainder_x
      - .offset:         52
        .size:           2
        .value_kind:     hidden_remainder_y
      - .offset:         54
        .size:           2
        .value_kind:     hidden_remainder_z
      - .offset:         72
        .size:           8
        .value_kind:     hidden_global_offset_x
      - .offset:         80
        .size:           8
        .value_kind:     hidden_global_offset_y
      - .offset:         88
        .size:           8
        .value_kind:     hidden_global_offset_z
      - .offset:         96
        .size:           2
        .value_kind:     hidden_grid_dims
    .group_segment_fixed_size: 128
    .kernarg_segment_align: 8
    .kernarg_segment_size: 288
    .language:       OpenCL C
    .language_version:
      - 2
      - 0
    .max_flat_workgroup_size: 128
    .name:           _ZL25flash_attn_mask_to_KV_maxILi1EEvPK7__half2Piiii
    .private_segment_fixed_size: 0
    .sgpr_count:     13
    .sgpr_spill_count: 0
    .symbol:         _ZL25flash_attn_mask_to_KV_maxILi1EEvPK7__half2Piiii.kd
    .uniform_work_group_size: 1
    .uses_dynamic_stack: false
    .vgpr_count:     7
    .vgpr_spill_count: 0
    .wavefront_size: 32
    .workgroup_processor_mode: 1
  - .args:
      - .address_space:  global
        .offset:         0
        .size:           8
        .value_kind:     global_buffer
      - .address_space:  global
        .offset:         8
        .size:           8
        .value_kind:     global_buffer
      - .offset:         16
        .size:           4
        .value_kind:     by_value
      - .offset:         20
        .size:           4
        .value_kind:     by_value
      - .offset:         24
        .size:           4
        .value_kind:     by_value
      - .offset:         28
        .size:           4
        .value_kind:     by_value
      - .offset:         32
        .size:           4
        .value_kind:     by_value
      - .offset:         36
        .size:           4
        .value_kind:     by_value
      - .offset:         40
        .size:           12
        .value_kind:     by_value
      - .offset:         52
        .size:           12
        .value_kind:     by_value
      - .offset:         64
        .size:           12
        .value_kind:     by_value
    .group_segment_fixed_size: 0
    .kernarg_segment_align: 8
    .kernarg_segment_size: 76
    .language:       OpenCL C
    .language_version:
      - 2
      - 0
    .max_flat_workgroup_size: 96
    .name:           _ZL33flash_attn_stream_k_fixup_uniformILi96ELi1ELi8EEvPfPK15HIP_vector_typeIfLj2EEiiiiiiS1_IjLj3EES5_S5_
    .private_segment_fixed_size: 0
    .sgpr_count:     18
    .sgpr_spill_count: 0
    .symbol:         _ZL33flash_attn_stream_k_fixup_uniformILi96ELi1ELi8EEvPfPK15HIP_vector_typeIfLj2EEiiiiiiS1_IjLj3EES5_S5_.kd
    .uniform_work_group_size: 1
    .uses_dynamic_stack: false
    .vgpr_count:     11
    .vgpr_spill_count: 0
    .wavefront_size: 32
    .workgroup_processor_mode: 1
  - .args:
      - .address_space:  global
        .offset:         0
        .size:           8
        .value_kind:     global_buffer
      - .address_space:  global
        .offset:         8
        .size:           8
        .value_kind:     global_buffer
      - .offset:         16
        .size:           4
        .value_kind:     by_value
      - .offset:         20
        .size:           4
        .value_kind:     by_value
      - .offset:         24
        .size:           4
        .value_kind:     by_value
      - .offset:         28
        .size:           4
        .value_kind:     by_value
      - .offset:         32
        .size:           12
        .value_kind:     by_value
      - .offset:         44
        .size:           12
        .value_kind:     by_value
      - .offset:         56
        .size:           12
        .value_kind:     by_value
      - .offset:         68
        .size:           12
        .value_kind:     by_value
      - .offset:         80
        .size:           4
        .value_kind:     hidden_block_count_x
      - .offset:         84
        .size:           4
        .value_kind:     hidden_block_count_y
      - .offset:         88
        .size:           4
        .value_kind:     hidden_block_count_z
      - .offset:         92
        .size:           2
        .value_kind:     hidden_group_size_x
      - .offset:         94
        .size:           2
        .value_kind:     hidden_group_size_y
      - .offset:         96
        .size:           2
        .value_kind:     hidden_group_size_z
      - .offset:         98
        .size:           2
        .value_kind:     hidden_remainder_x
      - .offset:         100
        .size:           2
        .value_kind:     hidden_remainder_y
      - .offset:         102
        .size:           2
        .value_kind:     hidden_remainder_z
      - .offset:         120
        .size:           8
        .value_kind:     hidden_global_offset_x
      - .offset:         128
        .size:           8
        .value_kind:     hidden_global_offset_y
      - .offset:         136
        .size:           8
        .value_kind:     hidden_global_offset_z
      - .offset:         144
        .size:           2
        .value_kind:     hidden_grid_dims
    .group_segment_fixed_size: 0
    .kernarg_segment_align: 8
    .kernarg_segment_size: 336
    .language:       OpenCL C
    .language_version:
      - 2
      - 0
    .max_flat_workgroup_size: 96
    .name:           _ZL33flash_attn_stream_k_fixup_generalILi96ELi1ELi8EEvPfPK15HIP_vector_typeIfLj2EEiiiiS1_IjLj3EES5_S5_S5_
    .private_segment_fixed_size: 0
    .sgpr_count:     46
    .sgpr_spill_count: 0
    .symbol:         _ZL33flash_attn_stream_k_fixup_generalILi96ELi1ELi8EEvPfPK15HIP_vector_typeIfLj2EEiiiiS1_IjLj3EES5_S5_S5_.kd
    .uniform_work_group_size: 1
    .uses_dynamic_stack: false
    .vgpr_count:     9
    .vgpr_spill_count: 0
    .wavefront_size: 32
    .workgroup_processor_mode: 1
  - .args:
      - .address_space:  global
        .offset:         0
        .size:           8
        .value_kind:     global_buffer
      - .address_space:  global
        .offset:         8
        .size:           8
        .value_kind:     global_buffer
      - .address_space:  global
        .offset:         16
        .size:           8
        .value_kind:     global_buffer
      - .address_space:  global
        .offset:         24
        .size:           8
        .value_kind:     global_buffer
      - .address_space:  global
        .offset:         32
        .size:           8
        .value_kind:     global_buffer
      - .address_space:  global
        .offset:         40
        .size:           8
        .value_kind:     global_buffer
      - .address_space:  global
        .offset:         48
        .size:           8
        .value_kind:     global_buffer
      - .address_space:  global
        .offset:         56
        .size:           8
        .value_kind:     global_buffer
      - .offset:         64
        .size:           4
        .value_kind:     by_value
      - .offset:         68
        .size:           4
        .value_kind:     by_value
      - .offset:         72
        .size:           4
        .value_kind:     by_value
      - .offset:         76
        .size:           4
        .value_kind:     by_value
      - .offset:         80
        .size:           4
        .value_kind:     by_value
      - .offset:         84
        .size:           4
        .value_kind:     by_value
      - .offset:         88
        .size:           4
        .value_kind:     by_value
      - .offset:         92
        .size:           12
        .value_kind:     by_value
      - .offset:         104
        .size:           4
        .value_kind:     by_value
      - .offset:         108
        .size:           4
        .value_kind:     by_value
      - .offset:         112
        .size:           4
        .value_kind:     by_value
      - .offset:         116
        .size:           4
        .value_kind:     by_value
      - .offset:         120
        .size:           4
        .value_kind:     by_value
      - .offset:         124
        .size:           4
        .value_kind:     by_value
      - .offset:         128
        .size:           4
        .value_kind:     by_value
      - .offset:         132
        .size:           4
        .value_kind:     by_value
      - .offset:         136
        .size:           4
        .value_kind:     by_value
      - .offset:         140
        .size:           4
        .value_kind:     by_value
      - .offset:         144
        .size:           4
        .value_kind:     by_value
      - .offset:         152
        .size:           8
        .value_kind:     by_value
      - .offset:         160
        .size:           4
        .value_kind:     by_value
      - .offset:         164
        .size:           4
        .value_kind:     by_value
      - .offset:         168
        .size:           8
        .value_kind:     by_value
      - .offset:         176
        .size:           4
        .value_kind:     by_value
      - .offset:         180
        .size:           4
        .value_kind:     by_value
      - .offset:         184
        .size:           4
        .value_kind:     by_value
      - .offset:         188
        .size:           4
        .value_kind:     by_value
      - .offset:         192
        .size:           4
        .value_kind:     by_value
      - .offset:         200
        .size:           8
        .value_kind:     by_value
      - .offset:         208
        .size:           4
        .value_kind:     hidden_block_count_x
      - .offset:         212
        .size:           4
        .value_kind:     hidden_block_count_y
      - .offset:         216
        .size:           4
        .value_kind:     hidden_block_count_z
      - .offset:         220
        .size:           2
        .value_kind:     hidden_group_size_x
      - .offset:         222
        .size:           2
        .value_kind:     hidden_group_size_y
      - .offset:         224
        .size:           2
        .value_kind:     hidden_group_size_z
      - .offset:         226
        .size:           2
        .value_kind:     hidden_remainder_x
      - .offset:         228
        .size:           2
        .value_kind:     hidden_remainder_y
      - .offset:         230
        .size:           2
        .value_kind:     hidden_remainder_z
      - .offset:         248
        .size:           8
        .value_kind:     hidden_global_offset_x
      - .offset:         256
        .size:           8
        .value_kind:     hidden_global_offset_y
      - .offset:         264
        .size:           8
        .value_kind:     hidden_global_offset_z
      - .offset:         272
        .size:           2
        .value_kind:     hidden_grid_dims
    .group_segment_fixed_size: 20096
    .kernarg_segment_align: 8
    .kernarg_segment_size: 464
    .language:       OpenCL C
    .language_version:
      - 2
      - 0
    .max_flat_workgroup_size: 256
    .name:           _ZL15flash_attn_tileILi96ELi96ELi16ELi4ELb0EEvPKcS1_S1_S1_S1_PKiPfP15HIP_vector_typeIfLj2EEffffjfiS5_IjLj3EEiiiiiiiiiiiliiliiiiil
    .private_segment_fixed_size: 0
    .sgpr_count:     60
    .sgpr_spill_count: 0
    .symbol:         _ZL15flash_attn_tileILi96ELi96ELi16ELi4ELb0EEvPKcS1_S1_S1_S1_PKiPfP15HIP_vector_typeIfLj2EEffffjfiS5_IjLj3EEiiiiiiiiiiiliiliiiiil.kd
    .uniform_work_group_size: 1
    .uses_dynamic_stack: false
    .vgpr_count:     254
    .vgpr_spill_count: 0
    .wavefront_size: 32
    .workgroup_processor_mode: 1
  - .args:
      - .actual_access:  read_only
        .address_space:  global
        .offset:         0
        .size:           8
        .value_kind:     global_buffer
      - .actual_access:  write_only
        .address_space:  global
        .offset:         8
        .size:           8
        .value_kind:     global_buffer
      - .offset:         16
        .size:           4
        .value_kind:     by_value
      - .offset:         20
        .size:           4
        .value_kind:     by_value
      - .offset:         24
        .size:           4
        .value_kind:     by_value
      - .offset:         32
        .size:           4
        .value_kind:     hidden_block_count_x
      - .offset:         36
        .size:           4
        .value_kind:     hidden_block_count_y
      - .offset:         40
        .size:           4
        .value_kind:     hidden_block_count_z
      - .offset:         44
        .size:           2
        .value_kind:     hidden_group_size_x
      - .offset:         46
        .size:           2
        .value_kind:     hidden_group_size_y
      - .offset:         48
        .size:           2
        .value_kind:     hidden_group_size_z
      - .offset:         50
        .size:           2
        .value_kind:     hidden_remainder_x
      - .offset:         52
        .size:           2
        .value_kind:     hidden_remainder_y
      - .offset:         54
        .size:           2
        .value_kind:     hidden_remainder_z
      - .offset:         72
        .size:           8
        .value_kind:     hidden_global_offset_x
      - .offset:         80
        .size:           8
        .value_kind:     hidden_global_offset_y
      - .offset:         88
        .size:           8
        .value_kind:     hidden_global_offset_z
      - .offset:         96
        .size:           2
        .value_kind:     hidden_grid_dims
    .group_segment_fixed_size: 128
    .kernarg_segment_align: 8
    .kernarg_segment_size: 288
    .language:       OpenCL C
    .language_version:
      - 2
      - 0
    .max_flat_workgroup_size: 128
    .name:           _ZL25flash_attn_mask_to_KV_maxILi16EEvPK7__half2Piiii
    .private_segment_fixed_size: 0
    .sgpr_count:     44
    .sgpr_spill_count: 0
    .symbol:         _ZL25flash_attn_mask_to_KV_maxILi16EEvPK7__half2Piiii.kd
    .uniform_work_group_size: 1
    .uses_dynamic_stack: false
    .vgpr_count:     9
    .vgpr_spill_count: 0
    .wavefront_size: 32
    .workgroup_processor_mode: 1
  - .args:
      - .address_space:  global
        .offset:         0
        .size:           8
        .value_kind:     global_buffer
      - .address_space:  global
        .offset:         8
        .size:           8
        .value_kind:     global_buffer
      - .offset:         16
        .size:           4
        .value_kind:     by_value
      - .offset:         20
        .size:           4
        .value_kind:     by_value
      - .offset:         24
        .size:           4
        .value_kind:     by_value
      - .offset:         28
        .size:           4
        .value_kind:     by_value
      - .offset:         32
        .size:           4
        .value_kind:     by_value
      - .offset:         36
        .size:           4
        .value_kind:     by_value
      - .offset:         40
        .size:           12
        .value_kind:     by_value
      - .offset:         52
        .size:           12
        .value_kind:     by_value
      - .offset:         64
        .size:           12
        .value_kind:     by_value
    .group_segment_fixed_size: 0
    .kernarg_segment_align: 8
    .kernarg_segment_size: 76
    .language:       OpenCL C
    .language_version:
      - 2
      - 0
    .max_flat_workgroup_size: 96
    .name:           _ZL33flash_attn_stream_k_fixup_uniformILi96ELi16ELi4EEvPfPK15HIP_vector_typeIfLj2EEiiiiiiS1_IjLj3EES5_S5_
    .private_segment_fixed_size: 0
    .sgpr_count:     18
    .sgpr_spill_count: 0
    .symbol:         _ZL33flash_attn_stream_k_fixup_uniformILi96ELi16ELi4EEvPfPK15HIP_vector_typeIfLj2EEiiiiiiS1_IjLj3EES5_S5_.kd
    .uniform_work_group_size: 1
    .uses_dynamic_stack: false
    .vgpr_count:     11
    .vgpr_spill_count: 0
    .wavefront_size: 32
    .workgroup_processor_mode: 1
  - .args:
      - .address_space:  global
        .offset:         0
        .size:           8
        .value_kind:     global_buffer
      - .address_space:  global
        .offset:         8
        .size:           8
        .value_kind:     global_buffer
      - .offset:         16
        .size:           4
        .value_kind:     by_value
      - .offset:         20
        .size:           4
        .value_kind:     by_value
      - .offset:         24
        .size:           4
        .value_kind:     by_value
      - .offset:         28
        .size:           4
        .value_kind:     by_value
      - .offset:         32
        .size:           12
        .value_kind:     by_value
      - .offset:         44
        .size:           12
        .value_kind:     by_value
      - .offset:         56
        .size:           12
        .value_kind:     by_value
      - .offset:         68
        .size:           12
        .value_kind:     by_value
      - .offset:         80
        .size:           4
        .value_kind:     hidden_block_count_x
      - .offset:         84
        .size:           4
        .value_kind:     hidden_block_count_y
      - .offset:         88
        .size:           4
        .value_kind:     hidden_block_count_z
      - .offset:         92
        .size:           2
        .value_kind:     hidden_group_size_x
      - .offset:         94
        .size:           2
        .value_kind:     hidden_group_size_y
      - .offset:         96
        .size:           2
        .value_kind:     hidden_group_size_z
      - .offset:         98
        .size:           2
        .value_kind:     hidden_remainder_x
      - .offset:         100
        .size:           2
        .value_kind:     hidden_remainder_y
      - .offset:         102
        .size:           2
        .value_kind:     hidden_remainder_z
      - .offset:         120
        .size:           8
        .value_kind:     hidden_global_offset_x
      - .offset:         128
        .size:           8
        .value_kind:     hidden_global_offset_y
      - .offset:         136
        .size:           8
        .value_kind:     hidden_global_offset_z
      - .offset:         144
        .size:           2
        .value_kind:     hidden_grid_dims
    .group_segment_fixed_size: 0
    .kernarg_segment_align: 8
    .kernarg_segment_size: 336
    .language:       OpenCL C
    .language_version:
      - 2
      - 0
    .max_flat_workgroup_size: 96
    .name:           _ZL33flash_attn_stream_k_fixup_generalILi96ELi16ELi4EEvPfPK15HIP_vector_typeIfLj2EEiiiiS1_IjLj3EES5_S5_S5_
    .private_segment_fixed_size: 0
    .sgpr_count:     46
    .sgpr_spill_count: 0
    .symbol:         _ZL33flash_attn_stream_k_fixup_generalILi96ELi16ELi4EEvPfPK15HIP_vector_typeIfLj2EEiiiiS1_IjLj3EES5_S5_S5_.kd
    .uniform_work_group_size: 1
    .uses_dynamic_stack: false
    .vgpr_count:     9
    .vgpr_spill_count: 0
    .wavefront_size: 32
    .workgroup_processor_mode: 1
  - .args:
      - .address_space:  global
        .offset:         0
        .size:           8
        .value_kind:     global_buffer
      - .address_space:  global
        .offset:         8
        .size:           8
        .value_kind:     global_buffer
      - .address_space:  global
        .offset:         16
        .size:           8
        .value_kind:     global_buffer
      - .address_space:  global
        .offset:         24
        .size:           8
        .value_kind:     global_buffer
      - .address_space:  global
        .offset:         32
        .size:           8
        .value_kind:     global_buffer
      - .address_space:  global
        .offset:         40
        .size:           8
        .value_kind:     global_buffer
      - .address_space:  global
        .offset:         48
        .size:           8
        .value_kind:     global_buffer
      - .address_space:  global
        .offset:         56
        .size:           8
        .value_kind:     global_buffer
      - .offset:         64
        .size:           4
        .value_kind:     by_value
      - .offset:         68
        .size:           4
        .value_kind:     by_value
      - .offset:         72
        .size:           4
        .value_kind:     by_value
      - .offset:         76
        .size:           4
        .value_kind:     by_value
      - .offset:         80
        .size:           4
        .value_kind:     by_value
      - .offset:         84
        .size:           4
        .value_kind:     by_value
      - .offset:         88
        .size:           4
        .value_kind:     by_value
      - .offset:         92
        .size:           12
        .value_kind:     by_value
      - .offset:         104
        .size:           4
        .value_kind:     by_value
      - .offset:         108
        .size:           4
        .value_kind:     by_value
      - .offset:         112
        .size:           4
        .value_kind:     by_value
      - .offset:         116
        .size:           4
        .value_kind:     by_value
      - .offset:         120
        .size:           4
        .value_kind:     by_value
      - .offset:         124
        .size:           4
        .value_kind:     by_value
      - .offset:         128
        .size:           4
        .value_kind:     by_value
      - .offset:         132
        .size:           4
        .value_kind:     by_value
      - .offset:         136
        .size:           4
        .value_kind:     by_value
      - .offset:         140
        .size:           4
        .value_kind:     by_value
      - .offset:         144
        .size:           4
        .value_kind:     by_value
      - .offset:         152
        .size:           8
        .value_kind:     by_value
      - .offset:         160
        .size:           4
        .value_kind:     by_value
      - .offset:         164
        .size:           4
        .value_kind:     by_value
      - .offset:         168
        .size:           8
        .value_kind:     by_value
      - .offset:         176
        .size:           4
        .value_kind:     by_value
      - .offset:         180
        .size:           4
        .value_kind:     by_value
      - .offset:         184
        .size:           4
        .value_kind:     by_value
      - .offset:         188
        .size:           4
        .value_kind:     by_value
      - .offset:         192
        .size:           4
        .value_kind:     by_value
      - .offset:         200
        .size:           8
        .value_kind:     by_value
      - .offset:         208
        .size:           4
        .value_kind:     hidden_block_count_x
      - .offset:         212
        .size:           4
        .value_kind:     hidden_block_count_y
      - .offset:         216
        .size:           4
        .value_kind:     hidden_block_count_z
      - .offset:         220
        .size:           2
        .value_kind:     hidden_group_size_x
      - .offset:         222
        .size:           2
        .value_kind:     hidden_group_size_y
      - .offset:         224
        .size:           2
        .value_kind:     hidden_group_size_z
      - .offset:         226
        .size:           2
        .value_kind:     hidden_remainder_x
      - .offset:         228
        .size:           2
        .value_kind:     hidden_remainder_y
      - .offset:         230
        .size:           2
        .value_kind:     hidden_remainder_z
      - .offset:         248
        .size:           8
        .value_kind:     hidden_global_offset_x
      - .offset:         256
        .size:           8
        .value_kind:     hidden_global_offset_y
      - .offset:         264
        .size:           8
        .value_kind:     hidden_global_offset_z
      - .offset:         272
        .size:           2
        .value_kind:     hidden_grid_dims
    .group_segment_fixed_size: 11904
    .kernarg_segment_align: 8
    .kernarg_segment_size: 464
    .language:       OpenCL C
    .language_version:
      - 2
      - 0
    .max_flat_workgroup_size: 256
    .name:           _ZL15flash_attn_tileILi96ELi96ELi8ELi4ELb0EEvPKcS1_S1_S1_S1_PKiPfP15HIP_vector_typeIfLj2EEffffjfiS5_IjLj3EEiiiiiiiiiiiliiliiiiil
    .private_segment_fixed_size: 0
    .sgpr_count:     50
    .sgpr_spill_count: 0
    .symbol:         _ZL15flash_attn_tileILi96ELi96ELi8ELi4ELb0EEvPKcS1_S1_S1_S1_PKiPfP15HIP_vector_typeIfLj2EEffffjfiS5_IjLj3EEiiiiiiiiiiiliiliiiiil.kd
    .uniform_work_group_size: 1
    .uses_dynamic_stack: false
    .vgpr_count:     152
    .vgpr_spill_count: 0
    .wavefront_size: 32
    .workgroup_processor_mode: 1
  - .args:
      - .address_space:  global
        .offset:         0
        .size:           8
        .value_kind:     global_buffer
      - .address_space:  global
        .offset:         8
        .size:           8
        .value_kind:     global_buffer
      - .offset:         16
        .size:           4
        .value_kind:     by_value
      - .offset:         20
        .size:           4
        .value_kind:     by_value
      - .offset:         24
        .size:           4
        .value_kind:     by_value
      - .offset:         28
        .size:           4
        .value_kind:     by_value
      - .offset:         32
        .size:           4
        .value_kind:     by_value
      - .offset:         36
        .size:           4
        .value_kind:     by_value
      - .offset:         40
        .size:           12
        .value_kind:     by_value
      - .offset:         52
        .size:           12
        .value_kind:     by_value
      - .offset:         64
        .size:           12
        .value_kind:     by_value
    .group_segment_fixed_size: 0
    .kernarg_segment_align: 8
    .kernarg_segment_size: 76
    .language:       OpenCL C
    .language_version:
      - 2
      - 0
    .max_flat_workgroup_size: 96
    .name:           _ZL33flash_attn_stream_k_fixup_uniformILi96ELi8ELi4EEvPfPK15HIP_vector_typeIfLj2EEiiiiiiS1_IjLj3EES5_S5_
    .private_segment_fixed_size: 0
    .sgpr_count:     18
    .sgpr_spill_count: 0
    .symbol:         _ZL33flash_attn_stream_k_fixup_uniformILi96ELi8ELi4EEvPfPK15HIP_vector_typeIfLj2EEiiiiiiS1_IjLj3EES5_S5_.kd
    .uniform_work_group_size: 1
    .uses_dynamic_stack: false
    .vgpr_count:     11
    .vgpr_spill_count: 0
    .wavefront_size: 32
    .workgroup_processor_mode: 1
  - .args:
      - .address_space:  global
        .offset:         0
        .size:           8
        .value_kind:     global_buffer
      - .address_space:  global
        .offset:         8
        .size:           8
        .value_kind:     global_buffer
      - .offset:         16
        .size:           4
        .value_kind:     by_value
      - .offset:         20
        .size:           4
        .value_kind:     by_value
      - .offset:         24
        .size:           4
        .value_kind:     by_value
      - .offset:         28
        .size:           4
        .value_kind:     by_value
      - .offset:         32
        .size:           12
        .value_kind:     by_value
      - .offset:         44
        .size:           12
        .value_kind:     by_value
      - .offset:         56
        .size:           12
        .value_kind:     by_value
      - .offset:         68
        .size:           12
        .value_kind:     by_value
      - .offset:         80
        .size:           4
        .value_kind:     hidden_block_count_x
      - .offset:         84
        .size:           4
        .value_kind:     hidden_block_count_y
      - .offset:         88
        .size:           4
        .value_kind:     hidden_block_count_z
      - .offset:         92
        .size:           2
        .value_kind:     hidden_group_size_x
      - .offset:         94
        .size:           2
        .value_kind:     hidden_group_size_y
      - .offset:         96
        .size:           2
        .value_kind:     hidden_group_size_z
      - .offset:         98
        .size:           2
        .value_kind:     hidden_remainder_x
      - .offset:         100
        .size:           2
        .value_kind:     hidden_remainder_y
      - .offset:         102
        .size:           2
        .value_kind:     hidden_remainder_z
      - .offset:         120
        .size:           8
        .value_kind:     hidden_global_offset_x
      - .offset:         128
        .size:           8
        .value_kind:     hidden_global_offset_y
      - .offset:         136
        .size:           8
        .value_kind:     hidden_global_offset_z
      - .offset:         144
        .size:           2
        .value_kind:     hidden_grid_dims
    .group_segment_fixed_size: 0
    .kernarg_segment_align: 8
    .kernarg_segment_size: 336
    .language:       OpenCL C
    .language_version:
      - 2
      - 0
    .max_flat_workgroup_size: 96
    .name:           _ZL33flash_attn_stream_k_fixup_generalILi96ELi8ELi4EEvPfPK15HIP_vector_typeIfLj2EEiiiiS1_IjLj3EES5_S5_S5_
    .private_segment_fixed_size: 0
    .sgpr_count:     46
    .sgpr_spill_count: 0
    .symbol:         _ZL33flash_attn_stream_k_fixup_generalILi96ELi8ELi4EEvPfPK15HIP_vector_typeIfLj2EEiiiiS1_IjLj3EES5_S5_S5_.kd
    .uniform_work_group_size: 1
    .uses_dynamic_stack: false
    .vgpr_count:     9
    .vgpr_spill_count: 0
    .wavefront_size: 32
    .workgroup_processor_mode: 1
  - .args:
      - .address_space:  global
        .offset:         0
        .size:           8
        .value_kind:     global_buffer
      - .address_space:  global
        .offset:         8
        .size:           8
        .value_kind:     global_buffer
      - .address_space:  global
        .offset:         16
        .size:           8
        .value_kind:     global_buffer
      - .address_space:  global
        .offset:         24
        .size:           8
        .value_kind:     global_buffer
      - .address_space:  global
        .offset:         32
        .size:           8
        .value_kind:     global_buffer
      - .address_space:  global
        .offset:         40
        .size:           8
        .value_kind:     global_buffer
      - .address_space:  global
        .offset:         48
        .size:           8
        .value_kind:     global_buffer
      - .address_space:  global
        .offset:         56
        .size:           8
        .value_kind:     global_buffer
      - .offset:         64
        .size:           4
        .value_kind:     by_value
      - .offset:         68
        .size:           4
        .value_kind:     by_value
      - .offset:         72
        .size:           4
        .value_kind:     by_value
      - .offset:         76
        .size:           4
        .value_kind:     by_value
      - .offset:         80
        .size:           4
        .value_kind:     by_value
      - .offset:         84
        .size:           4
        .value_kind:     by_value
      - .offset:         88
        .size:           4
        .value_kind:     by_value
      - .offset:         92
        .size:           12
        .value_kind:     by_value
      - .offset:         104
        .size:           4
        .value_kind:     by_value
      - .offset:         108
        .size:           4
        .value_kind:     by_value
      - .offset:         112
        .size:           4
        .value_kind:     by_value
      - .offset:         116
        .size:           4
        .value_kind:     by_value
      - .offset:         120
        .size:           4
        .value_kind:     by_value
      - .offset:         124
        .size:           4
        .value_kind:     by_value
      - .offset:         128
        .size:           4
        .value_kind:     by_value
      - .offset:         132
        .size:           4
        .value_kind:     by_value
      - .offset:         136
        .size:           4
        .value_kind:     by_value
      - .offset:         140
        .size:           4
        .value_kind:     by_value
      - .offset:         144
        .size:           4
        .value_kind:     by_value
      - .offset:         152
        .size:           8
        .value_kind:     by_value
      - .offset:         160
        .size:           4
        .value_kind:     by_value
      - .offset:         164
        .size:           4
        .value_kind:     by_value
      - .offset:         168
        .size:           8
        .value_kind:     by_value
      - .offset:         176
        .size:           4
        .value_kind:     by_value
      - .offset:         180
        .size:           4
        .value_kind:     by_value
      - .offset:         184
        .size:           4
        .value_kind:     by_value
      - .offset:         188
        .size:           4
        .value_kind:     by_value
      - .offset:         192
        .size:           4
        .value_kind:     by_value
      - .offset:         200
        .size:           8
        .value_kind:     by_value
      - .offset:         208
        .size:           4
        .value_kind:     hidden_block_count_x
      - .offset:         212
        .size:           4
        .value_kind:     hidden_block_count_y
      - .offset:         216
        .size:           4
        .value_kind:     hidden_block_count_z
      - .offset:         220
        .size:           2
        .value_kind:     hidden_group_size_x
      - .offset:         222
        .size:           2
        .value_kind:     hidden_group_size_y
      - .offset:         224
        .size:           2
        .value_kind:     hidden_group_size_z
      - .offset:         226
        .size:           2
        .value_kind:     hidden_remainder_x
      - .offset:         228
        .size:           2
        .value_kind:     hidden_remainder_y
      - .offset:         230
        .size:           2
        .value_kind:     hidden_remainder_z
      - .offset:         248
        .size:           8
        .value_kind:     hidden_global_offset_x
      - .offset:         256
        .size:           8
        .value_kind:     hidden_global_offset_y
      - .offset:         264
        .size:           8
        .value_kind:     hidden_global_offset_z
      - .offset:         272
        .size:           2
        .value_kind:     hidden_grid_dims
    .group_segment_fixed_size: 7808
    .kernarg_segment_align: 8
    .kernarg_segment_size: 464
    .language:       OpenCL C
    .language_version:
      - 2
      - 0
    .max_flat_workgroup_size: 256
    .name:           _ZL15flash_attn_tileILi96ELi96ELi4ELi4ELb0EEvPKcS1_S1_S1_S1_PKiPfP15HIP_vector_typeIfLj2EEffffjfiS5_IjLj3EEiiiiiiiiiiiliiliiiiil
    .private_segment_fixed_size: 0
    .sgpr_count:     44
    .sgpr_spill_count: 0
    .symbol:         _ZL15flash_attn_tileILi96ELi96ELi4ELi4ELb0EEvPKcS1_S1_S1_S1_PKiPfP15HIP_vector_typeIfLj2EEffffjfiS5_IjLj3EEiiiiiiiiiiiliiliiiiil.kd
    .uniform_work_group_size: 1
    .uses_dynamic_stack: false
    .vgpr_count:     110
    .vgpr_spill_count: 0
    .wavefront_size: 32
    .workgroup_processor_mode: 1
  - .args:
      - .address_space:  global
        .offset:         0
        .size:           8
        .value_kind:     global_buffer
      - .address_space:  global
        .offset:         8
        .size:           8
        .value_kind:     global_buffer
      - .offset:         16
        .size:           4
        .value_kind:     by_value
      - .offset:         20
        .size:           4
        .value_kind:     by_value
      - .offset:         24
        .size:           4
        .value_kind:     by_value
      - .offset:         28
        .size:           4
        .value_kind:     by_value
      - .offset:         32
        .size:           4
        .value_kind:     by_value
      - .offset:         36
        .size:           4
        .value_kind:     by_value
      - .offset:         40
        .size:           12
        .value_kind:     by_value
      - .offset:         52
        .size:           12
        .value_kind:     by_value
      - .offset:         64
        .size:           12
        .value_kind:     by_value
    .group_segment_fixed_size: 0
    .kernarg_segment_align: 8
    .kernarg_segment_size: 76
    .language:       OpenCL C
    .language_version:
      - 2
      - 0
    .max_flat_workgroup_size: 96
    .name:           _ZL33flash_attn_stream_k_fixup_uniformILi96ELi4ELi4EEvPfPK15HIP_vector_typeIfLj2EEiiiiiiS1_IjLj3EES5_S5_
    .private_segment_fixed_size: 0
    .sgpr_count:     18
    .sgpr_spill_count: 0
    .symbol:         _ZL33flash_attn_stream_k_fixup_uniformILi96ELi4ELi4EEvPfPK15HIP_vector_typeIfLj2EEiiiiiiS1_IjLj3EES5_S5_.kd
    .uniform_work_group_size: 1
    .uses_dynamic_stack: false
    .vgpr_count:     11
    .vgpr_spill_count: 0
    .wavefront_size: 32
    .workgroup_processor_mode: 1
  - .args:
      - .address_space:  global
        .offset:         0
        .size:           8
        .value_kind:     global_buffer
      - .address_space:  global
        .offset:         8
        .size:           8
        .value_kind:     global_buffer
      - .offset:         16
        .size:           4
        .value_kind:     by_value
      - .offset:         20
        .size:           4
        .value_kind:     by_value
      - .offset:         24
        .size:           4
        .value_kind:     by_value
      - .offset:         28
        .size:           4
        .value_kind:     by_value
      - .offset:         32
        .size:           12
        .value_kind:     by_value
      - .offset:         44
        .size:           12
        .value_kind:     by_value
      - .offset:         56
        .size:           12
        .value_kind:     by_value
      - .offset:         68
        .size:           12
        .value_kind:     by_value
      - .offset:         80
        .size:           4
        .value_kind:     hidden_block_count_x
      - .offset:         84
        .size:           4
        .value_kind:     hidden_block_count_y
      - .offset:         88
        .size:           4
        .value_kind:     hidden_block_count_z
      - .offset:         92
        .size:           2
        .value_kind:     hidden_group_size_x
      - .offset:         94
        .size:           2
        .value_kind:     hidden_group_size_y
      - .offset:         96
        .size:           2
        .value_kind:     hidden_group_size_z
      - .offset:         98
        .size:           2
        .value_kind:     hidden_remainder_x
      - .offset:         100
        .size:           2
        .value_kind:     hidden_remainder_y
      - .offset:         102
        .size:           2
        .value_kind:     hidden_remainder_z
      - .offset:         120
        .size:           8
        .value_kind:     hidden_global_offset_x
      - .offset:         128
        .size:           8
        .value_kind:     hidden_global_offset_y
      - .offset:         136
        .size:           8
        .value_kind:     hidden_global_offset_z
      - .offset:         144
        .size:           2
        .value_kind:     hidden_grid_dims
    .group_segment_fixed_size: 0
    .kernarg_segment_align: 8
    .kernarg_segment_size: 336
    .language:       OpenCL C
    .language_version:
      - 2
      - 0
    .max_flat_workgroup_size: 96
    .name:           _ZL33flash_attn_stream_k_fixup_generalILi96ELi4ELi4EEvPfPK15HIP_vector_typeIfLj2EEiiiiS1_IjLj3EES5_S5_S5_
    .private_segment_fixed_size: 0
    .sgpr_count:     46
    .sgpr_spill_count: 0
    .symbol:         _ZL33flash_attn_stream_k_fixup_generalILi96ELi4ELi4EEvPfPK15HIP_vector_typeIfLj2EEiiiiS1_IjLj3EES5_S5_S5_.kd
    .uniform_work_group_size: 1
    .uses_dynamic_stack: false
    .vgpr_count:     9
    .vgpr_spill_count: 0
    .wavefront_size: 32
    .workgroup_processor_mode: 1
  - .args:
      - .address_space:  global
        .offset:         0
        .size:           8
        .value_kind:     global_buffer
      - .address_space:  global
        .offset:         8
        .size:           8
        .value_kind:     global_buffer
      - .address_space:  global
        .offset:         16
        .size:           8
        .value_kind:     global_buffer
      - .address_space:  global
        .offset:         24
        .size:           8
        .value_kind:     global_buffer
      - .address_space:  global
        .offset:         32
        .size:           8
        .value_kind:     global_buffer
      - .address_space:  global
        .offset:         40
        .size:           8
        .value_kind:     global_buffer
      - .address_space:  global
        .offset:         48
        .size:           8
        .value_kind:     global_buffer
      - .address_space:  global
        .offset:         56
        .size:           8
        .value_kind:     global_buffer
      - .offset:         64
        .size:           4
        .value_kind:     by_value
      - .offset:         68
        .size:           4
        .value_kind:     by_value
      - .offset:         72
        .size:           4
        .value_kind:     by_value
      - .offset:         76
        .size:           4
        .value_kind:     by_value
      - .offset:         80
        .size:           4
        .value_kind:     by_value
      - .offset:         84
        .size:           4
        .value_kind:     by_value
      - .offset:         88
        .size:           4
        .value_kind:     by_value
      - .offset:         92
        .size:           12
        .value_kind:     by_value
      - .offset:         104
        .size:           4
        .value_kind:     by_value
      - .offset:         108
        .size:           4
        .value_kind:     by_value
      - .offset:         112
        .size:           4
        .value_kind:     by_value
      - .offset:         116
        .size:           4
        .value_kind:     by_value
      - .offset:         120
        .size:           4
        .value_kind:     by_value
      - .offset:         124
        .size:           4
        .value_kind:     by_value
      - .offset:         128
        .size:           4
        .value_kind:     by_value
      - .offset:         132
        .size:           4
        .value_kind:     by_value
      - .offset:         136
        .size:           4
        .value_kind:     by_value
      - .offset:         140
        .size:           4
        .value_kind:     by_value
      - .offset:         144
        .size:           4
        .value_kind:     by_value
      - .offset:         152
        .size:           8
        .value_kind:     by_value
      - .offset:         160
        .size:           4
        .value_kind:     by_value
      - .offset:         164
        .size:           4
        .value_kind:     by_value
      - .offset:         168
        .size:           8
        .value_kind:     by_value
      - .offset:         176
        .size:           4
        .value_kind:     by_value
      - .offset:         180
        .size:           4
        .value_kind:     by_value
      - .offset:         184
        .size:           4
        .value_kind:     by_value
      - .offset:         188
        .size:           4
        .value_kind:     by_value
      - .offset:         192
        .size:           4
        .value_kind:     by_value
      - .offset:         200
        .size:           8
        .value_kind:     by_value
      - .offset:         208
        .size:           4
        .value_kind:     hidden_block_count_x
      - .offset:         212
        .size:           4
        .value_kind:     hidden_block_count_y
      - .offset:         216
        .size:           4
        .value_kind:     hidden_block_count_z
      - .offset:         220
        .size:           2
        .value_kind:     hidden_group_size_x
      - .offset:         222
        .size:           2
        .value_kind:     hidden_group_size_y
      - .offset:         224
        .size:           2
        .value_kind:     hidden_group_size_z
      - .offset:         226
        .size:           2
        .value_kind:     hidden_remainder_x
      - .offset:         228
        .size:           2
        .value_kind:     hidden_remainder_y
      - .offset:         230
        .size:           2
        .value_kind:     hidden_remainder_z
      - .offset:         248
        .size:           8
        .value_kind:     hidden_global_offset_x
      - .offset:         256
        .size:           8
        .value_kind:     hidden_global_offset_y
      - .offset:         264
        .size:           8
        .value_kind:     hidden_global_offset_z
      - .offset:         272
        .size:           2
        .value_kind:     hidden_grid_dims
    .group_segment_fixed_size: 5760
    .kernarg_segment_align: 8
    .kernarg_segment_size: 464
    .language:       OpenCL C
    .language_version:
      - 2
      - 0
    .max_flat_workgroup_size: 256
    .name:           _ZL15flash_attn_tileILi96ELi96ELi2ELi4ELb0EEvPKcS1_S1_S1_S1_PKiPfP15HIP_vector_typeIfLj2EEffffjfiS5_IjLj3EEiiiiiiiiiiiliiliiiiil
    .private_segment_fixed_size: 0
    .sgpr_count:     50
    .sgpr_spill_count: 0
    .symbol:         _ZL15flash_attn_tileILi96ELi96ELi2ELi4ELb0EEvPKcS1_S1_S1_S1_PKiPfP15HIP_vector_typeIfLj2EEffffjfiS5_IjLj3EEiiiiiiiiiiiliiliiiiil.kd
    .uniform_work_group_size: 1
    .uses_dynamic_stack: false
    .vgpr_count:     84
    .vgpr_spill_count: 0
    .wavefront_size: 32
    .workgroup_processor_mode: 1
  - .args:
      - .address_space:  global
        .offset:         0
        .size:           8
        .value_kind:     global_buffer
      - .address_space:  global
        .offset:         8
        .size:           8
        .value_kind:     global_buffer
      - .offset:         16
        .size:           4
        .value_kind:     by_value
      - .offset:         20
        .size:           4
        .value_kind:     by_value
      - .offset:         24
        .size:           4
        .value_kind:     by_value
      - .offset:         28
        .size:           4
        .value_kind:     by_value
      - .offset:         32
        .size:           4
        .value_kind:     by_value
      - .offset:         36
        .size:           4
        .value_kind:     by_value
      - .offset:         40
        .size:           12
        .value_kind:     by_value
      - .offset:         52
        .size:           12
        .value_kind:     by_value
      - .offset:         64
        .size:           12
        .value_kind:     by_value
    .group_segment_fixed_size: 0
    .kernarg_segment_align: 8
    .kernarg_segment_size: 76
    .language:       OpenCL C
    .language_version:
      - 2
      - 0
    .max_flat_workgroup_size: 96
    .name:           _ZL33flash_attn_stream_k_fixup_uniformILi96ELi2ELi4EEvPfPK15HIP_vector_typeIfLj2EEiiiiiiS1_IjLj3EES5_S5_
    .private_segment_fixed_size: 0
    .sgpr_count:     18
    .sgpr_spill_count: 0
    .symbol:         _ZL33flash_attn_stream_k_fixup_uniformILi96ELi2ELi4EEvPfPK15HIP_vector_typeIfLj2EEiiiiiiS1_IjLj3EES5_S5_.kd
    .uniform_work_group_size: 1
    .uses_dynamic_stack: false
    .vgpr_count:     11
    .vgpr_spill_count: 0
    .wavefront_size: 32
    .workgroup_processor_mode: 1
  - .args:
      - .address_space:  global
        .offset:         0
        .size:           8
        .value_kind:     global_buffer
      - .address_space:  global
        .offset:         8
        .size:           8
        .value_kind:     global_buffer
      - .offset:         16
        .size:           4
        .value_kind:     by_value
      - .offset:         20
        .size:           4
        .value_kind:     by_value
      - .offset:         24
        .size:           4
        .value_kind:     by_value
      - .offset:         28
        .size:           4
        .value_kind:     by_value
      - .offset:         32
        .size:           12
        .value_kind:     by_value
      - .offset:         44
        .size:           12
        .value_kind:     by_value
      - .offset:         56
        .size:           12
        .value_kind:     by_value
      - .offset:         68
        .size:           12
        .value_kind:     by_value
      - .offset:         80
        .size:           4
        .value_kind:     hidden_block_count_x
      - .offset:         84
        .size:           4
        .value_kind:     hidden_block_count_y
      - .offset:         88
        .size:           4
        .value_kind:     hidden_block_count_z
      - .offset:         92
        .size:           2
        .value_kind:     hidden_group_size_x
      - .offset:         94
        .size:           2
        .value_kind:     hidden_group_size_y
      - .offset:         96
        .size:           2
        .value_kind:     hidden_group_size_z
      - .offset:         98
        .size:           2
        .value_kind:     hidden_remainder_x
      - .offset:         100
        .size:           2
        .value_kind:     hidden_remainder_y
      - .offset:         102
        .size:           2
        .value_kind:     hidden_remainder_z
      - .offset:         120
        .size:           8
        .value_kind:     hidden_global_offset_x
      - .offset:         128
        .size:           8
        .value_kind:     hidden_global_offset_y
      - .offset:         136
        .size:           8
        .value_kind:     hidden_global_offset_z
      - .offset:         144
        .size:           2
        .value_kind:     hidden_grid_dims
    .group_segment_fixed_size: 0
    .kernarg_segment_align: 8
    .kernarg_segment_size: 336
    .language:       OpenCL C
    .language_version:
      - 2
      - 0
    .max_flat_workgroup_size: 96
    .name:           _ZL33flash_attn_stream_k_fixup_generalILi96ELi2ELi4EEvPfPK15HIP_vector_typeIfLj2EEiiiiS1_IjLj3EES5_S5_S5_
    .private_segment_fixed_size: 0
    .sgpr_count:     46
    .sgpr_spill_count: 0
    .symbol:         _ZL33flash_attn_stream_k_fixup_generalILi96ELi2ELi4EEvPfPK15HIP_vector_typeIfLj2EEiiiiS1_IjLj3EES5_S5_S5_.kd
    .uniform_work_group_size: 1
    .uses_dynamic_stack: false
    .vgpr_count:     9
    .vgpr_spill_count: 0
    .wavefront_size: 32
    .workgroup_processor_mode: 1
  - .args:
      - .address_space:  global
        .offset:         0
        .size:           8
        .value_kind:     global_buffer
      - .address_space:  global
        .offset:         8
        .size:           8
        .value_kind:     global_buffer
      - .address_space:  global
        .offset:         16
        .size:           8
        .value_kind:     global_buffer
      - .address_space:  global
        .offset:         24
        .size:           8
        .value_kind:     global_buffer
      - .address_space:  global
        .offset:         32
        .size:           8
        .value_kind:     global_buffer
      - .address_space:  global
        .offset:         40
        .size:           8
        .value_kind:     global_buffer
      - .address_space:  global
        .offset:         48
        .size:           8
        .value_kind:     global_buffer
      - .address_space:  global
        .offset:         56
        .size:           8
        .value_kind:     global_buffer
      - .offset:         64
        .size:           4
        .value_kind:     by_value
      - .offset:         68
        .size:           4
        .value_kind:     by_value
      - .offset:         72
        .size:           4
        .value_kind:     by_value
      - .offset:         76
        .size:           4
        .value_kind:     by_value
      - .offset:         80
        .size:           4
        .value_kind:     by_value
      - .offset:         84
        .size:           4
        .value_kind:     by_value
      - .offset:         88
        .size:           4
        .value_kind:     by_value
      - .offset:         92
        .size:           12
        .value_kind:     by_value
      - .offset:         104
        .size:           4
        .value_kind:     by_value
      - .offset:         108
        .size:           4
        .value_kind:     by_value
      - .offset:         112
        .size:           4
        .value_kind:     by_value
      - .offset:         116
        .size:           4
        .value_kind:     by_value
      - .offset:         120
        .size:           4
        .value_kind:     by_value
      - .offset:         124
        .size:           4
        .value_kind:     by_value
      - .offset:         128
        .size:           4
        .value_kind:     by_value
      - .offset:         132
        .size:           4
        .value_kind:     by_value
      - .offset:         136
        .size:           4
        .value_kind:     by_value
      - .offset:         140
        .size:           4
        .value_kind:     by_value
      - .offset:         144
        .size:           4
        .value_kind:     by_value
      - .offset:         152
        .size:           8
        .value_kind:     by_value
      - .offset:         160
        .size:           4
        .value_kind:     by_value
      - .offset:         164
        .size:           4
        .value_kind:     by_value
      - .offset:         168
        .size:           8
        .value_kind:     by_value
      - .offset:         176
        .size:           4
        .value_kind:     by_value
      - .offset:         180
        .size:           4
        .value_kind:     by_value
      - .offset:         184
        .size:           4
        .value_kind:     by_value
      - .offset:         188
        .size:           4
        .value_kind:     by_value
      - .offset:         192
        .size:           4
        .value_kind:     by_value
      - .offset:         200
        .size:           8
        .value_kind:     by_value
      - .offset:         208
        .size:           4
        .value_kind:     hidden_block_count_x
      - .offset:         212
        .size:           4
        .value_kind:     hidden_block_count_y
      - .offset:         216
        .size:           4
        .value_kind:     hidden_block_count_z
      - .offset:         220
        .size:           2
        .value_kind:     hidden_group_size_x
      - .offset:         222
        .size:           2
        .value_kind:     hidden_group_size_y
      - .offset:         224
        .size:           2
        .value_kind:     hidden_group_size_z
      - .offset:         226
        .size:           2
        .value_kind:     hidden_remainder_x
      - .offset:         228
        .size:           2
        .value_kind:     hidden_remainder_y
      - .offset:         230
        .size:           2
        .value_kind:     hidden_remainder_z
      - .offset:         248
        .size:           8
        .value_kind:     hidden_global_offset_x
      - .offset:         256
        .size:           8
        .value_kind:     hidden_global_offset_y
      - .offset:         264
        .size:           8
        .value_kind:     hidden_global_offset_z
      - .offset:         272
        .size:           2
        .value_kind:     hidden_grid_dims
    .group_segment_fixed_size: 4736
    .kernarg_segment_align: 8
    .kernarg_segment_size: 464
    .language:       OpenCL C
    .language_version:
      - 2
      - 0
    .max_flat_workgroup_size: 128
    .name:           _ZL15flash_attn_tileILi96ELi96ELi1ELi4ELb0EEvPKcS1_S1_S1_S1_PKiPfP15HIP_vector_typeIfLj2EEffffjfiS5_IjLj3EEiiiiiiiiiiiliiliiiiil
    .private_segment_fixed_size: 0
    .sgpr_count:     48
    .sgpr_spill_count: 0
    .symbol:         _ZL15flash_attn_tileILi96ELi96ELi1ELi4ELb0EEvPKcS1_S1_S1_S1_PKiPfP15HIP_vector_typeIfLj2EEffffjfiS5_IjLj3EEiiiiiiiiiiiliiliiiiil.kd
    .uniform_work_group_size: 1
    .uses_dynamic_stack: false
    .vgpr_count:     86
    .vgpr_spill_count: 0
    .wavefront_size: 32
    .workgroup_processor_mode: 1
  - .args:
      - .address_space:  global
        .offset:         0
        .size:           8
        .value_kind:     global_buffer
      - .address_space:  global
        .offset:         8
        .size:           8
        .value_kind:     global_buffer
      - .offset:         16
        .size:           4
        .value_kind:     by_value
      - .offset:         20
        .size:           4
        .value_kind:     by_value
      - .offset:         24
        .size:           4
        .value_kind:     by_value
      - .offset:         28
        .size:           4
        .value_kind:     by_value
      - .offset:         32
        .size:           4
        .value_kind:     by_value
      - .offset:         36
        .size:           4
        .value_kind:     by_value
      - .offset:         40
        .size:           12
        .value_kind:     by_value
      - .offset:         52
        .size:           12
        .value_kind:     by_value
      - .offset:         64
        .size:           12
        .value_kind:     by_value
    .group_segment_fixed_size: 0
    .kernarg_segment_align: 8
    .kernarg_segment_size: 76
    .language:       OpenCL C
    .language_version:
      - 2
      - 0
    .max_flat_workgroup_size: 96
    .name:           _ZL33flash_attn_stream_k_fixup_uniformILi96ELi1ELi4EEvPfPK15HIP_vector_typeIfLj2EEiiiiiiS1_IjLj3EES5_S5_
    .private_segment_fixed_size: 0
    .sgpr_count:     18
    .sgpr_spill_count: 0
    .symbol:         _ZL33flash_attn_stream_k_fixup_uniformILi96ELi1ELi4EEvPfPK15HIP_vector_typeIfLj2EEiiiiiiS1_IjLj3EES5_S5_.kd
    .uniform_work_group_size: 1
    .uses_dynamic_stack: false
    .vgpr_count:     11
    .vgpr_spill_count: 0
    .wavefront_size: 32
    .workgroup_processor_mode: 1
  - .args:
      - .address_space:  global
        .offset:         0
        .size:           8
        .value_kind:     global_buffer
      - .address_space:  global
        .offset:         8
        .size:           8
        .value_kind:     global_buffer
      - .offset:         16
        .size:           4
        .value_kind:     by_value
      - .offset:         20
        .size:           4
        .value_kind:     by_value
      - .offset:         24
        .size:           4
        .value_kind:     by_value
      - .offset:         28
        .size:           4
        .value_kind:     by_value
      - .offset:         32
        .size:           12
        .value_kind:     by_value
      - .offset:         44
        .size:           12
        .value_kind:     by_value
      - .offset:         56
        .size:           12
        .value_kind:     by_value
      - .offset:         68
        .size:           12
        .value_kind:     by_value
      - .offset:         80
        .size:           4
        .value_kind:     hidden_block_count_x
      - .offset:         84
        .size:           4
        .value_kind:     hidden_block_count_y
      - .offset:         88
        .size:           4
        .value_kind:     hidden_block_count_z
      - .offset:         92
        .size:           2
        .value_kind:     hidden_group_size_x
      - .offset:         94
        .size:           2
        .value_kind:     hidden_group_size_y
      - .offset:         96
        .size:           2
        .value_kind:     hidden_group_size_z
      - .offset:         98
        .size:           2
        .value_kind:     hidden_remainder_x
      - .offset:         100
        .size:           2
        .value_kind:     hidden_remainder_y
      - .offset:         102
        .size:           2
        .value_kind:     hidden_remainder_z
      - .offset:         120
        .size:           8
        .value_kind:     hidden_global_offset_x
      - .offset:         128
        .size:           8
        .value_kind:     hidden_global_offset_y
      - .offset:         136
        .size:           8
        .value_kind:     hidden_global_offset_z
      - .offset:         144
        .size:           2
        .value_kind:     hidden_grid_dims
    .group_segment_fixed_size: 0
    .kernarg_segment_align: 8
    .kernarg_segment_size: 336
    .language:       OpenCL C
    .language_version:
      - 2
      - 0
    .max_flat_workgroup_size: 96
    .name:           _ZL33flash_attn_stream_k_fixup_generalILi96ELi1ELi4EEvPfPK15HIP_vector_typeIfLj2EEiiiiS1_IjLj3EES5_S5_S5_
    .private_segment_fixed_size: 0
    .sgpr_count:     46
    .sgpr_spill_count: 0
    .symbol:         _ZL33flash_attn_stream_k_fixup_generalILi96ELi1ELi4EEvPfPK15HIP_vector_typeIfLj2EEiiiiS1_IjLj3EES5_S5_S5_.kd
    .uniform_work_group_size: 1
    .uses_dynamic_stack: false
    .vgpr_count:     9
    .vgpr_spill_count: 0
    .wavefront_size: 32
    .workgroup_processor_mode: 1
  - .args:
      - .address_space:  global
        .offset:         0
        .size:           8
        .value_kind:     global_buffer
      - .address_space:  global
        .offset:         8
        .size:           8
        .value_kind:     global_buffer
      - .address_space:  global
        .offset:         16
        .size:           8
        .value_kind:     global_buffer
      - .address_space:  global
        .offset:         24
        .size:           8
        .value_kind:     global_buffer
      - .address_space:  global
        .offset:         32
        .size:           8
        .value_kind:     global_buffer
      - .address_space:  global
        .offset:         40
        .size:           8
        .value_kind:     global_buffer
      - .address_space:  global
        .offset:         48
        .size:           8
        .value_kind:     global_buffer
      - .address_space:  global
        .offset:         56
        .size:           8
        .value_kind:     global_buffer
      - .offset:         64
        .size:           4
        .value_kind:     by_value
      - .offset:         68
        .size:           4
        .value_kind:     by_value
      - .offset:         72
        .size:           4
        .value_kind:     by_value
      - .offset:         76
        .size:           4
        .value_kind:     by_value
      - .offset:         80
        .size:           4
        .value_kind:     by_value
      - .offset:         84
        .size:           4
        .value_kind:     by_value
      - .offset:         88
        .size:           4
        .value_kind:     by_value
      - .offset:         92
        .size:           12
        .value_kind:     by_value
      - .offset:         104
        .size:           4
        .value_kind:     by_value
      - .offset:         108
        .size:           4
        .value_kind:     by_value
      - .offset:         112
        .size:           4
        .value_kind:     by_value
      - .offset:         116
        .size:           4
        .value_kind:     by_value
      - .offset:         120
        .size:           4
        .value_kind:     by_value
      - .offset:         124
        .size:           4
        .value_kind:     by_value
      - .offset:         128
        .size:           4
        .value_kind:     by_value
      - .offset:         132
        .size:           4
        .value_kind:     by_value
      - .offset:         136
        .size:           4
        .value_kind:     by_value
      - .offset:         140
        .size:           4
        .value_kind:     by_value
      - .offset:         144
        .size:           4
        .value_kind:     by_value
      - .offset:         152
        .size:           8
        .value_kind:     by_value
      - .offset:         160
        .size:           4
        .value_kind:     by_value
      - .offset:         164
        .size:           4
        .value_kind:     by_value
      - .offset:         168
        .size:           8
        .value_kind:     by_value
      - .offset:         176
        .size:           4
        .value_kind:     by_value
      - .offset:         180
        .size:           4
        .value_kind:     by_value
      - .offset:         184
        .size:           4
        .value_kind:     by_value
      - .offset:         188
        .size:           4
        .value_kind:     by_value
      - .offset:         192
        .size:           4
        .value_kind:     by_value
      - .offset:         200
        .size:           8
        .value_kind:     by_value
      - .offset:         208
        .size:           4
        .value_kind:     hidden_block_count_x
      - .offset:         212
        .size:           4
        .value_kind:     hidden_block_count_y
      - .offset:         216
        .size:           4
        .value_kind:     hidden_block_count_z
      - .offset:         220
        .size:           2
        .value_kind:     hidden_group_size_x
      - .offset:         222
        .size:           2
        .value_kind:     hidden_group_size_y
      - .offset:         224
        .size:           2
        .value_kind:     hidden_group_size_z
      - .offset:         226
        .size:           2
        .value_kind:     hidden_remainder_x
      - .offset:         228
        .size:           2
        .value_kind:     hidden_remainder_y
      - .offset:         230
        .size:           2
        .value_kind:     hidden_remainder_z
      - .offset:         248
        .size:           8
        .value_kind:     hidden_global_offset_x
      - .offset:         256
        .size:           8
        .value_kind:     hidden_global_offset_y
      - .offset:         264
        .size:           8
        .value_kind:     hidden_global_offset_z
      - .offset:         272
        .size:           2
        .value_kind:     hidden_grid_dims
    .group_segment_fixed_size: 20096
    .kernarg_segment_align: 8
    .kernarg_segment_size: 464
    .language:       OpenCL C
    .language_version:
      - 2
      - 0
    .max_flat_workgroup_size: 256
    .name:           _ZL15flash_attn_tileILi96ELi96ELi32ELi2ELb0EEvPKcS1_S1_S1_S1_PKiPfP15HIP_vector_typeIfLj2EEffffjfiS5_IjLj3EEiiiiiiiiiiiliiliiiiil
    .private_segment_fixed_size: 0
    .sgpr_count:     60
    .sgpr_spill_count: 0
    .symbol:         _ZL15flash_attn_tileILi96ELi96ELi32ELi2ELb0EEvPKcS1_S1_S1_S1_PKiPfP15HIP_vector_typeIfLj2EEffffjfiS5_IjLj3EEiiiiiiiiiiiliiliiiiil.kd
    .uniform_work_group_size: 1
    .uses_dynamic_stack: false
    .vgpr_count:     243
    .vgpr_spill_count: 0
    .wavefront_size: 32
    .workgroup_processor_mode: 1
  - .args:
      - .actual_access:  read_only
        .address_space:  global
        .offset:         0
        .size:           8
        .value_kind:     global_buffer
      - .actual_access:  write_only
        .address_space:  global
        .offset:         8
        .size:           8
        .value_kind:     global_buffer
      - .offset:         16
        .size:           4
        .value_kind:     by_value
      - .offset:         20
        .size:           4
        .value_kind:     by_value
      - .offset:         24
        .size:           4
        .value_kind:     by_value
      - .offset:         32
        .size:           4
        .value_kind:     hidden_block_count_x
      - .offset:         36
        .size:           4
        .value_kind:     hidden_block_count_y
      - .offset:         40
        .size:           4
        .value_kind:     hidden_block_count_z
      - .offset:         44
        .size:           2
        .value_kind:     hidden_group_size_x
      - .offset:         46
        .size:           2
        .value_kind:     hidden_group_size_y
      - .offset:         48
        .size:           2
        .value_kind:     hidden_group_size_z
      - .offset:         50
        .size:           2
        .value_kind:     hidden_remainder_x
      - .offset:         52
        .size:           2
        .value_kind:     hidden_remainder_y
      - .offset:         54
        .size:           2
        .value_kind:     hidden_remainder_z
      - .offset:         72
        .size:           8
        .value_kind:     hidden_global_offset_x
      - .offset:         80
        .size:           8
        .value_kind:     hidden_global_offset_y
      - .offset:         88
        .size:           8
        .value_kind:     hidden_global_offset_z
      - .offset:         96
        .size:           2
        .value_kind:     hidden_grid_dims
    .group_segment_fixed_size: 128
    .kernarg_segment_align: 8
    .kernarg_segment_size: 288
    .language:       OpenCL C
    .language_version:
      - 2
      - 0
    .max_flat_workgroup_size: 128
    .name:           _ZL25flash_attn_mask_to_KV_maxILi32EEvPK7__half2Piiii
    .private_segment_fixed_size: 0
    .sgpr_count:     76
    .sgpr_spill_count: 0
    .symbol:         _ZL25flash_attn_mask_to_KV_maxILi32EEvPK7__half2Piiii.kd
    .uniform_work_group_size: 1
    .uses_dynamic_stack: false
    .vgpr_count:     9
    .vgpr_spill_count: 0
    .wavefront_size: 32
    .workgroup_processor_mode: 1
  - .args:
      - .address_space:  global
        .offset:         0
        .size:           8
        .value_kind:     global_buffer
      - .address_space:  global
        .offset:         8
        .size:           8
        .value_kind:     global_buffer
      - .offset:         16
        .size:           4
        .value_kind:     by_value
      - .offset:         20
        .size:           4
        .value_kind:     by_value
      - .offset:         24
        .size:           4
        .value_kind:     by_value
      - .offset:         28
        .size:           4
        .value_kind:     by_value
      - .offset:         32
        .size:           4
        .value_kind:     by_value
      - .offset:         36
        .size:           4
        .value_kind:     by_value
      - .offset:         40
        .size:           12
        .value_kind:     by_value
      - .offset:         52
        .size:           12
        .value_kind:     by_value
      - .offset:         64
        .size:           12
        .value_kind:     by_value
    .group_segment_fixed_size: 0
    .kernarg_segment_align: 8
    .kernarg_segment_size: 76
    .language:       OpenCL C
    .language_version:
      - 2
      - 0
    .max_flat_workgroup_size: 96
    .name:           _ZL33flash_attn_stream_k_fixup_uniformILi96ELi32ELi2EEvPfPK15HIP_vector_typeIfLj2EEiiiiiiS1_IjLj3EES5_S5_
    .private_segment_fixed_size: 0
    .sgpr_count:     18
    .sgpr_spill_count: 0
    .symbol:         _ZL33flash_attn_stream_k_fixup_uniformILi96ELi32ELi2EEvPfPK15HIP_vector_typeIfLj2EEiiiiiiS1_IjLj3EES5_S5_.kd
    .uniform_work_group_size: 1
    .uses_dynamic_stack: false
    .vgpr_count:     11
    .vgpr_spill_count: 0
    .wavefront_size: 32
    .workgroup_processor_mode: 1
  - .args:
      - .address_space:  global
        .offset:         0
        .size:           8
        .value_kind:     global_buffer
      - .address_space:  global
        .offset:         8
        .size:           8
        .value_kind:     global_buffer
      - .offset:         16
        .size:           4
        .value_kind:     by_value
      - .offset:         20
        .size:           4
        .value_kind:     by_value
      - .offset:         24
        .size:           4
        .value_kind:     by_value
      - .offset:         28
        .size:           4
        .value_kind:     by_value
      - .offset:         32
        .size:           12
        .value_kind:     by_value
      - .offset:         44
        .size:           12
        .value_kind:     by_value
      - .offset:         56
        .size:           12
        .value_kind:     by_value
      - .offset:         68
        .size:           12
        .value_kind:     by_value
      - .offset:         80
        .size:           4
        .value_kind:     hidden_block_count_x
      - .offset:         84
        .size:           4
        .value_kind:     hidden_block_count_y
      - .offset:         88
        .size:           4
        .value_kind:     hidden_block_count_z
      - .offset:         92
        .size:           2
        .value_kind:     hidden_group_size_x
      - .offset:         94
        .size:           2
        .value_kind:     hidden_group_size_y
      - .offset:         96
        .size:           2
        .value_kind:     hidden_group_size_z
      - .offset:         98
        .size:           2
        .value_kind:     hidden_remainder_x
      - .offset:         100
        .size:           2
        .value_kind:     hidden_remainder_y
      - .offset:         102
        .size:           2
        .value_kind:     hidden_remainder_z
      - .offset:         120
        .size:           8
        .value_kind:     hidden_global_offset_x
      - .offset:         128
        .size:           8
        .value_kind:     hidden_global_offset_y
      - .offset:         136
        .size:           8
        .value_kind:     hidden_global_offset_z
      - .offset:         144
        .size:           2
        .value_kind:     hidden_grid_dims
    .group_segment_fixed_size: 0
    .kernarg_segment_align: 8
    .kernarg_segment_size: 336
    .language:       OpenCL C
    .language_version:
      - 2
      - 0
    .max_flat_workgroup_size: 96
    .name:           _ZL33flash_attn_stream_k_fixup_generalILi96ELi32ELi2EEvPfPK15HIP_vector_typeIfLj2EEiiiiS1_IjLj3EES5_S5_S5_
    .private_segment_fixed_size: 0
    .sgpr_count:     46
    .sgpr_spill_count: 0
    .symbol:         _ZL33flash_attn_stream_k_fixup_generalILi96ELi32ELi2EEvPfPK15HIP_vector_typeIfLj2EEiiiiS1_IjLj3EES5_S5_S5_.kd
    .uniform_work_group_size: 1
    .uses_dynamic_stack: false
    .vgpr_count:     9
    .vgpr_spill_count: 0
    .wavefront_size: 32
    .workgroup_processor_mode: 1
  - .args:
      - .address_space:  global
        .offset:         0
        .size:           8
        .value_kind:     global_buffer
      - .address_space:  global
        .offset:         8
        .size:           8
        .value_kind:     global_buffer
      - .address_space:  global
        .offset:         16
        .size:           8
        .value_kind:     global_buffer
      - .address_space:  global
        .offset:         24
        .size:           8
        .value_kind:     global_buffer
      - .address_space:  global
        .offset:         32
        .size:           8
        .value_kind:     global_buffer
      - .address_space:  global
        .offset:         40
        .size:           8
        .value_kind:     global_buffer
      - .address_space:  global
        .offset:         48
        .size:           8
        .value_kind:     global_buffer
      - .address_space:  global
        .offset:         56
        .size:           8
        .value_kind:     global_buffer
      - .offset:         64
        .size:           4
        .value_kind:     by_value
      - .offset:         68
        .size:           4
        .value_kind:     by_value
      - .offset:         72
        .size:           4
        .value_kind:     by_value
      - .offset:         76
        .size:           4
        .value_kind:     by_value
      - .offset:         80
        .size:           4
        .value_kind:     by_value
      - .offset:         84
        .size:           4
        .value_kind:     by_value
      - .offset:         88
        .size:           4
        .value_kind:     by_value
      - .offset:         92
        .size:           12
        .value_kind:     by_value
      - .offset:         104
        .size:           4
        .value_kind:     by_value
      - .offset:         108
        .size:           4
        .value_kind:     by_value
      - .offset:         112
        .size:           4
        .value_kind:     by_value
      - .offset:         116
        .size:           4
        .value_kind:     by_value
      - .offset:         120
        .size:           4
        .value_kind:     by_value
      - .offset:         124
        .size:           4
        .value_kind:     by_value
      - .offset:         128
        .size:           4
        .value_kind:     by_value
      - .offset:         132
        .size:           4
        .value_kind:     by_value
      - .offset:         136
        .size:           4
        .value_kind:     by_value
      - .offset:         140
        .size:           4
        .value_kind:     by_value
      - .offset:         144
        .size:           4
        .value_kind:     by_value
      - .offset:         152
        .size:           8
        .value_kind:     by_value
      - .offset:         160
        .size:           4
        .value_kind:     by_value
      - .offset:         164
        .size:           4
        .value_kind:     by_value
      - .offset:         168
        .size:           8
        .value_kind:     by_value
      - .offset:         176
        .size:           4
        .value_kind:     by_value
      - .offset:         180
        .size:           4
        .value_kind:     by_value
      - .offset:         184
        .size:           4
        .value_kind:     by_value
      - .offset:         188
        .size:           4
        .value_kind:     by_value
      - .offset:         192
        .size:           4
        .value_kind:     by_value
      - .offset:         200
        .size:           8
        .value_kind:     by_value
      - .offset:         208
        .size:           4
        .value_kind:     hidden_block_count_x
      - .offset:         212
        .size:           4
        .value_kind:     hidden_block_count_y
      - .offset:         216
        .size:           4
        .value_kind:     hidden_block_count_z
      - .offset:         220
        .size:           2
        .value_kind:     hidden_group_size_x
      - .offset:         222
        .size:           2
        .value_kind:     hidden_group_size_y
      - .offset:         224
        .size:           2
        .value_kind:     hidden_group_size_z
      - .offset:         226
        .size:           2
        .value_kind:     hidden_remainder_x
      - .offset:         228
        .size:           2
        .value_kind:     hidden_remainder_y
      - .offset:         230
        .size:           2
        .value_kind:     hidden_remainder_z
      - .offset:         248
        .size:           8
        .value_kind:     hidden_global_offset_x
      - .offset:         256
        .size:           8
        .value_kind:     hidden_global_offset_y
      - .offset:         264
        .size:           8
        .value_kind:     hidden_global_offset_z
      - .offset:         272
        .size:           2
        .value_kind:     hidden_grid_dims
    .group_segment_fixed_size: 11904
    .kernarg_segment_align: 8
    .kernarg_segment_size: 464
    .language:       OpenCL C
    .language_version:
      - 2
      - 0
    .max_flat_workgroup_size: 256
    .name:           _ZL15flash_attn_tileILi96ELi96ELi16ELi2ELb0EEvPKcS1_S1_S1_S1_PKiPfP15HIP_vector_typeIfLj2EEffffjfiS5_IjLj3EEiiiiiiiiiiiliiliiiiil
    .private_segment_fixed_size: 0
    .sgpr_count:     52
    .sgpr_spill_count: 0
    .symbol:         _ZL15flash_attn_tileILi96ELi96ELi16ELi2ELb0EEvPKcS1_S1_S1_S1_PKiPfP15HIP_vector_typeIfLj2EEffffjfiS5_IjLj3EEiiiiiiiiiiiliiliiiiil.kd
    .uniform_work_group_size: 1
    .uses_dynamic_stack: false
    .vgpr_count:     155
    .vgpr_spill_count: 0
    .wavefront_size: 32
    .workgroup_processor_mode: 1
  - .args:
      - .address_space:  global
        .offset:         0
        .size:           8
        .value_kind:     global_buffer
      - .address_space:  global
        .offset:         8
        .size:           8
        .value_kind:     global_buffer
      - .offset:         16
        .size:           4
        .value_kind:     by_value
      - .offset:         20
        .size:           4
        .value_kind:     by_value
      - .offset:         24
        .size:           4
        .value_kind:     by_value
      - .offset:         28
        .size:           4
        .value_kind:     by_value
      - .offset:         32
        .size:           4
        .value_kind:     by_value
      - .offset:         36
        .size:           4
        .value_kind:     by_value
      - .offset:         40
        .size:           12
        .value_kind:     by_value
      - .offset:         52
        .size:           12
        .value_kind:     by_value
      - .offset:         64
        .size:           12
        .value_kind:     by_value
    .group_segment_fixed_size: 0
    .kernarg_segment_align: 8
    .kernarg_segment_size: 76
    .language:       OpenCL C
    .language_version:
      - 2
      - 0
    .max_flat_workgroup_size: 96
    .name:           _ZL33flash_attn_stream_k_fixup_uniformILi96ELi16ELi2EEvPfPK15HIP_vector_typeIfLj2EEiiiiiiS1_IjLj3EES5_S5_
    .private_segment_fixed_size: 0
    .sgpr_count:     18
    .sgpr_spill_count: 0
    .symbol:         _ZL33flash_attn_stream_k_fixup_uniformILi96ELi16ELi2EEvPfPK15HIP_vector_typeIfLj2EEiiiiiiS1_IjLj3EES5_S5_.kd
    .uniform_work_group_size: 1
    .uses_dynamic_stack: false
    .vgpr_count:     11
    .vgpr_spill_count: 0
    .wavefront_size: 32
    .workgroup_processor_mode: 1
  - .args:
      - .address_space:  global
        .offset:         0
        .size:           8
        .value_kind:     global_buffer
      - .address_space:  global
        .offset:         8
        .size:           8
        .value_kind:     global_buffer
      - .offset:         16
        .size:           4
        .value_kind:     by_value
      - .offset:         20
        .size:           4
        .value_kind:     by_value
      - .offset:         24
        .size:           4
        .value_kind:     by_value
      - .offset:         28
        .size:           4
        .value_kind:     by_value
      - .offset:         32
        .size:           12
        .value_kind:     by_value
      - .offset:         44
        .size:           12
        .value_kind:     by_value
      - .offset:         56
        .size:           12
        .value_kind:     by_value
      - .offset:         68
        .size:           12
        .value_kind:     by_value
      - .offset:         80
        .size:           4
        .value_kind:     hidden_block_count_x
      - .offset:         84
        .size:           4
        .value_kind:     hidden_block_count_y
      - .offset:         88
        .size:           4
        .value_kind:     hidden_block_count_z
      - .offset:         92
        .size:           2
        .value_kind:     hidden_group_size_x
      - .offset:         94
        .size:           2
        .value_kind:     hidden_group_size_y
      - .offset:         96
        .size:           2
        .value_kind:     hidden_group_size_z
      - .offset:         98
        .size:           2
        .value_kind:     hidden_remainder_x
      - .offset:         100
        .size:           2
        .value_kind:     hidden_remainder_y
      - .offset:         102
        .size:           2
        .value_kind:     hidden_remainder_z
      - .offset:         120
        .size:           8
        .value_kind:     hidden_global_offset_x
      - .offset:         128
        .size:           8
        .value_kind:     hidden_global_offset_y
      - .offset:         136
        .size:           8
        .value_kind:     hidden_global_offset_z
      - .offset:         144
        .size:           2
        .value_kind:     hidden_grid_dims
    .group_segment_fixed_size: 0
    .kernarg_segment_align: 8
    .kernarg_segment_size: 336
    .language:       OpenCL C
    .language_version:
      - 2
      - 0
    .max_flat_workgroup_size: 96
    .name:           _ZL33flash_attn_stream_k_fixup_generalILi96ELi16ELi2EEvPfPK15HIP_vector_typeIfLj2EEiiiiS1_IjLj3EES5_S5_S5_
    .private_segment_fixed_size: 0
    .sgpr_count:     46
    .sgpr_spill_count: 0
    .symbol:         _ZL33flash_attn_stream_k_fixup_generalILi96ELi16ELi2EEvPfPK15HIP_vector_typeIfLj2EEiiiiS1_IjLj3EES5_S5_S5_.kd
    .uniform_work_group_size: 1
    .uses_dynamic_stack: false
    .vgpr_count:     9
    .vgpr_spill_count: 0
    .wavefront_size: 32
    .workgroup_processor_mode: 1
  - .args:
      - .address_space:  global
        .offset:         0
        .size:           8
        .value_kind:     global_buffer
      - .address_space:  global
        .offset:         8
        .size:           8
        .value_kind:     global_buffer
      - .address_space:  global
        .offset:         16
        .size:           8
        .value_kind:     global_buffer
      - .address_space:  global
        .offset:         24
        .size:           8
        .value_kind:     global_buffer
      - .address_space:  global
        .offset:         32
        .size:           8
        .value_kind:     global_buffer
      - .address_space:  global
        .offset:         40
        .size:           8
        .value_kind:     global_buffer
      - .address_space:  global
        .offset:         48
        .size:           8
        .value_kind:     global_buffer
      - .address_space:  global
        .offset:         56
        .size:           8
        .value_kind:     global_buffer
      - .offset:         64
        .size:           4
        .value_kind:     by_value
      - .offset:         68
        .size:           4
        .value_kind:     by_value
      - .offset:         72
        .size:           4
        .value_kind:     by_value
      - .offset:         76
        .size:           4
        .value_kind:     by_value
      - .offset:         80
        .size:           4
        .value_kind:     by_value
      - .offset:         84
        .size:           4
        .value_kind:     by_value
      - .offset:         88
        .size:           4
        .value_kind:     by_value
      - .offset:         92
        .size:           12
        .value_kind:     by_value
      - .offset:         104
        .size:           4
        .value_kind:     by_value
      - .offset:         108
        .size:           4
        .value_kind:     by_value
      - .offset:         112
        .size:           4
        .value_kind:     by_value
      - .offset:         116
        .size:           4
        .value_kind:     by_value
      - .offset:         120
        .size:           4
        .value_kind:     by_value
      - .offset:         124
        .size:           4
        .value_kind:     by_value
      - .offset:         128
        .size:           4
        .value_kind:     by_value
      - .offset:         132
        .size:           4
        .value_kind:     by_value
      - .offset:         136
        .size:           4
        .value_kind:     by_value
      - .offset:         140
        .size:           4
        .value_kind:     by_value
      - .offset:         144
        .size:           4
        .value_kind:     by_value
      - .offset:         152
        .size:           8
        .value_kind:     by_value
      - .offset:         160
        .size:           4
        .value_kind:     by_value
      - .offset:         164
        .size:           4
        .value_kind:     by_value
      - .offset:         168
        .size:           8
        .value_kind:     by_value
      - .offset:         176
        .size:           4
        .value_kind:     by_value
      - .offset:         180
        .size:           4
        .value_kind:     by_value
      - .offset:         184
        .size:           4
        .value_kind:     by_value
      - .offset:         188
        .size:           4
        .value_kind:     by_value
      - .offset:         192
        .size:           4
        .value_kind:     by_value
      - .offset:         200
        .size:           8
        .value_kind:     by_value
      - .offset:         208
        .size:           4
        .value_kind:     hidden_block_count_x
      - .offset:         212
        .size:           4
        .value_kind:     hidden_block_count_y
      - .offset:         216
        .size:           4
        .value_kind:     hidden_block_count_z
      - .offset:         220
        .size:           2
        .value_kind:     hidden_group_size_x
      - .offset:         222
        .size:           2
        .value_kind:     hidden_group_size_y
      - .offset:         224
        .size:           2
        .value_kind:     hidden_group_size_z
      - .offset:         226
        .size:           2
        .value_kind:     hidden_remainder_x
      - .offset:         228
        .size:           2
        .value_kind:     hidden_remainder_y
      - .offset:         230
        .size:           2
        .value_kind:     hidden_remainder_z
      - .offset:         248
        .size:           8
        .value_kind:     hidden_global_offset_x
      - .offset:         256
        .size:           8
        .value_kind:     hidden_global_offset_y
      - .offset:         264
        .size:           8
        .value_kind:     hidden_global_offset_z
      - .offset:         272
        .size:           2
        .value_kind:     hidden_grid_dims
    .group_segment_fixed_size: 7808
    .kernarg_segment_align: 8
    .kernarg_segment_size: 464
    .language:       OpenCL C
    .language_version:
      - 2
      - 0
    .max_flat_workgroup_size: 256
    .name:           _ZL15flash_attn_tileILi96ELi96ELi8ELi2ELb0EEvPKcS1_S1_S1_S1_PKiPfP15HIP_vector_typeIfLj2EEffffjfiS5_IjLj3EEiiiiiiiiiiiliiliiiiil
    .private_segment_fixed_size: 0
    .sgpr_count:     48
    .sgpr_spill_count: 0
    .symbol:         _ZL15flash_attn_tileILi96ELi96ELi8ELi2ELb0EEvPKcS1_S1_S1_S1_PKiPfP15HIP_vector_typeIfLj2EEffffjfiS5_IjLj3EEiiiiiiiiiiiliiliiiiil.kd
    .uniform_work_group_size: 1
    .uses_dynamic_stack: false
    .vgpr_count:     109
    .vgpr_spill_count: 0
    .wavefront_size: 32
    .workgroup_processor_mode: 1
  - .args:
      - .address_space:  global
        .offset:         0
        .size:           8
        .value_kind:     global_buffer
      - .address_space:  global
        .offset:         8
        .size:           8
        .value_kind:     global_buffer
      - .offset:         16
        .size:           4
        .value_kind:     by_value
      - .offset:         20
        .size:           4
        .value_kind:     by_value
      - .offset:         24
        .size:           4
        .value_kind:     by_value
      - .offset:         28
        .size:           4
        .value_kind:     by_value
      - .offset:         32
        .size:           4
        .value_kind:     by_value
      - .offset:         36
        .size:           4
        .value_kind:     by_value
      - .offset:         40
        .size:           12
        .value_kind:     by_value
      - .offset:         52
        .size:           12
        .value_kind:     by_value
      - .offset:         64
        .size:           12
        .value_kind:     by_value
    .group_segment_fixed_size: 0
    .kernarg_segment_align: 8
    .kernarg_segment_size: 76
    .language:       OpenCL C
    .language_version:
      - 2
      - 0
    .max_flat_workgroup_size: 96
    .name:           _ZL33flash_attn_stream_k_fixup_uniformILi96ELi8ELi2EEvPfPK15HIP_vector_typeIfLj2EEiiiiiiS1_IjLj3EES5_S5_
    .private_segment_fixed_size: 0
    .sgpr_count:     18
    .sgpr_spill_count: 0
    .symbol:         _ZL33flash_attn_stream_k_fixup_uniformILi96ELi8ELi2EEvPfPK15HIP_vector_typeIfLj2EEiiiiiiS1_IjLj3EES5_S5_.kd
    .uniform_work_group_size: 1
    .uses_dynamic_stack: false
    .vgpr_count:     11
    .vgpr_spill_count: 0
    .wavefront_size: 32
    .workgroup_processor_mode: 1
  - .args:
      - .address_space:  global
        .offset:         0
        .size:           8
        .value_kind:     global_buffer
      - .address_space:  global
        .offset:         8
        .size:           8
        .value_kind:     global_buffer
      - .offset:         16
        .size:           4
        .value_kind:     by_value
      - .offset:         20
        .size:           4
        .value_kind:     by_value
      - .offset:         24
        .size:           4
        .value_kind:     by_value
      - .offset:         28
        .size:           4
        .value_kind:     by_value
      - .offset:         32
        .size:           12
        .value_kind:     by_value
      - .offset:         44
        .size:           12
        .value_kind:     by_value
      - .offset:         56
        .size:           12
        .value_kind:     by_value
      - .offset:         68
        .size:           12
        .value_kind:     by_value
      - .offset:         80
        .size:           4
        .value_kind:     hidden_block_count_x
      - .offset:         84
        .size:           4
        .value_kind:     hidden_block_count_y
      - .offset:         88
        .size:           4
        .value_kind:     hidden_block_count_z
      - .offset:         92
        .size:           2
        .value_kind:     hidden_group_size_x
      - .offset:         94
        .size:           2
        .value_kind:     hidden_group_size_y
      - .offset:         96
        .size:           2
        .value_kind:     hidden_group_size_z
      - .offset:         98
        .size:           2
        .value_kind:     hidden_remainder_x
      - .offset:         100
        .size:           2
        .value_kind:     hidden_remainder_y
      - .offset:         102
        .size:           2
        .value_kind:     hidden_remainder_z
      - .offset:         120
        .size:           8
        .value_kind:     hidden_global_offset_x
      - .offset:         128
        .size:           8
        .value_kind:     hidden_global_offset_y
      - .offset:         136
        .size:           8
        .value_kind:     hidden_global_offset_z
      - .offset:         144
        .size:           2
        .value_kind:     hidden_grid_dims
    .group_segment_fixed_size: 0
    .kernarg_segment_align: 8
    .kernarg_segment_size: 336
    .language:       OpenCL C
    .language_version:
      - 2
      - 0
    .max_flat_workgroup_size: 96
    .name:           _ZL33flash_attn_stream_k_fixup_generalILi96ELi8ELi2EEvPfPK15HIP_vector_typeIfLj2EEiiiiS1_IjLj3EES5_S5_S5_
    .private_segment_fixed_size: 0
    .sgpr_count:     46
    .sgpr_spill_count: 0
    .symbol:         _ZL33flash_attn_stream_k_fixup_generalILi96ELi8ELi2EEvPfPK15HIP_vector_typeIfLj2EEiiiiS1_IjLj3EES5_S5_S5_.kd
    .uniform_work_group_size: 1
    .uses_dynamic_stack: false
    .vgpr_count:     9
    .vgpr_spill_count: 0
    .wavefront_size: 32
    .workgroup_processor_mode: 1
  - .args:
      - .address_space:  global
        .offset:         0
        .size:           8
        .value_kind:     global_buffer
      - .address_space:  global
        .offset:         8
        .size:           8
        .value_kind:     global_buffer
      - .address_space:  global
        .offset:         16
        .size:           8
        .value_kind:     global_buffer
      - .address_space:  global
        .offset:         24
        .size:           8
        .value_kind:     global_buffer
      - .address_space:  global
        .offset:         32
        .size:           8
        .value_kind:     global_buffer
      - .address_space:  global
        .offset:         40
        .size:           8
        .value_kind:     global_buffer
      - .address_space:  global
        .offset:         48
        .size:           8
        .value_kind:     global_buffer
      - .address_space:  global
        .offset:         56
        .size:           8
        .value_kind:     global_buffer
      - .offset:         64
        .size:           4
        .value_kind:     by_value
      - .offset:         68
        .size:           4
        .value_kind:     by_value
      - .offset:         72
        .size:           4
        .value_kind:     by_value
      - .offset:         76
        .size:           4
        .value_kind:     by_value
      - .offset:         80
        .size:           4
        .value_kind:     by_value
      - .offset:         84
        .size:           4
        .value_kind:     by_value
      - .offset:         88
        .size:           4
        .value_kind:     by_value
      - .offset:         92
        .size:           12
        .value_kind:     by_value
      - .offset:         104
        .size:           4
        .value_kind:     by_value
      - .offset:         108
        .size:           4
        .value_kind:     by_value
      - .offset:         112
        .size:           4
        .value_kind:     by_value
      - .offset:         116
        .size:           4
        .value_kind:     by_value
      - .offset:         120
        .size:           4
        .value_kind:     by_value
      - .offset:         124
        .size:           4
        .value_kind:     by_value
      - .offset:         128
        .size:           4
        .value_kind:     by_value
      - .offset:         132
        .size:           4
        .value_kind:     by_value
      - .offset:         136
        .size:           4
        .value_kind:     by_value
      - .offset:         140
        .size:           4
        .value_kind:     by_value
      - .offset:         144
        .size:           4
        .value_kind:     by_value
      - .offset:         152
        .size:           8
        .value_kind:     by_value
      - .offset:         160
        .size:           4
        .value_kind:     by_value
      - .offset:         164
        .size:           4
        .value_kind:     by_value
      - .offset:         168
        .size:           8
        .value_kind:     by_value
      - .offset:         176
        .size:           4
        .value_kind:     by_value
      - .offset:         180
        .size:           4
        .value_kind:     by_value
      - .offset:         184
        .size:           4
        .value_kind:     by_value
      - .offset:         188
        .size:           4
        .value_kind:     by_value
      - .offset:         192
        .size:           4
        .value_kind:     by_value
      - .offset:         200
        .size:           8
        .value_kind:     by_value
      - .offset:         208
        .size:           4
        .value_kind:     hidden_block_count_x
      - .offset:         212
        .size:           4
        .value_kind:     hidden_block_count_y
      - .offset:         216
        .size:           4
        .value_kind:     hidden_block_count_z
      - .offset:         220
        .size:           2
        .value_kind:     hidden_group_size_x
      - .offset:         222
        .size:           2
        .value_kind:     hidden_group_size_y
      - .offset:         224
        .size:           2
        .value_kind:     hidden_group_size_z
      - .offset:         226
        .size:           2
        .value_kind:     hidden_remainder_x
      - .offset:         228
        .size:           2
        .value_kind:     hidden_remainder_y
      - .offset:         230
        .size:           2
        .value_kind:     hidden_remainder_z
      - .offset:         248
        .size:           8
        .value_kind:     hidden_global_offset_x
      - .offset:         256
        .size:           8
        .value_kind:     hidden_global_offset_y
      - .offset:         264
        .size:           8
        .value_kind:     hidden_global_offset_z
      - .offset:         272
        .size:           2
        .value_kind:     hidden_grid_dims
    .group_segment_fixed_size: 5760
    .kernarg_segment_align: 8
    .kernarg_segment_size: 464
    .language:       OpenCL C
    .language_version:
      - 2
      - 0
    .max_flat_workgroup_size: 256
    .name:           _ZL15flash_attn_tileILi96ELi96ELi4ELi2ELb0EEvPKcS1_S1_S1_S1_PKiPfP15HIP_vector_typeIfLj2EEffffjfiS5_IjLj3EEiiiiiiiiiiiliiliiiiil
    .private_segment_fixed_size: 0
    .sgpr_count:     50
    .sgpr_spill_count: 0
    .symbol:         _ZL15flash_attn_tileILi96ELi96ELi4ELi2ELb0EEvPKcS1_S1_S1_S1_PKiPfP15HIP_vector_typeIfLj2EEffffjfiS5_IjLj3EEiiiiiiiiiiiliiliiiiil.kd
    .uniform_work_group_size: 1
    .uses_dynamic_stack: false
    .vgpr_count:     84
    .vgpr_spill_count: 0
    .wavefront_size: 32
    .workgroup_processor_mode: 1
  - .args:
      - .address_space:  global
        .offset:         0
        .size:           8
        .value_kind:     global_buffer
      - .address_space:  global
        .offset:         8
        .size:           8
        .value_kind:     global_buffer
      - .offset:         16
        .size:           4
        .value_kind:     by_value
      - .offset:         20
        .size:           4
        .value_kind:     by_value
      - .offset:         24
        .size:           4
        .value_kind:     by_value
      - .offset:         28
        .size:           4
        .value_kind:     by_value
      - .offset:         32
        .size:           4
        .value_kind:     by_value
      - .offset:         36
        .size:           4
        .value_kind:     by_value
      - .offset:         40
        .size:           12
        .value_kind:     by_value
      - .offset:         52
        .size:           12
        .value_kind:     by_value
      - .offset:         64
        .size:           12
        .value_kind:     by_value
    .group_segment_fixed_size: 0
    .kernarg_segment_align: 8
    .kernarg_segment_size: 76
    .language:       OpenCL C
    .language_version:
      - 2
      - 0
    .max_flat_workgroup_size: 96
    .name:           _ZL33flash_attn_stream_k_fixup_uniformILi96ELi4ELi2EEvPfPK15HIP_vector_typeIfLj2EEiiiiiiS1_IjLj3EES5_S5_
    .private_segment_fixed_size: 0
    .sgpr_count:     18
    .sgpr_spill_count: 0
    .symbol:         _ZL33flash_attn_stream_k_fixup_uniformILi96ELi4ELi2EEvPfPK15HIP_vector_typeIfLj2EEiiiiiiS1_IjLj3EES5_S5_.kd
    .uniform_work_group_size: 1
    .uses_dynamic_stack: false
    .vgpr_count:     11
    .vgpr_spill_count: 0
    .wavefront_size: 32
    .workgroup_processor_mode: 1
  - .args:
      - .address_space:  global
        .offset:         0
        .size:           8
        .value_kind:     global_buffer
      - .address_space:  global
        .offset:         8
        .size:           8
        .value_kind:     global_buffer
      - .offset:         16
        .size:           4
        .value_kind:     by_value
      - .offset:         20
        .size:           4
        .value_kind:     by_value
      - .offset:         24
        .size:           4
        .value_kind:     by_value
      - .offset:         28
        .size:           4
        .value_kind:     by_value
      - .offset:         32
        .size:           12
        .value_kind:     by_value
      - .offset:         44
        .size:           12
        .value_kind:     by_value
      - .offset:         56
        .size:           12
        .value_kind:     by_value
      - .offset:         68
        .size:           12
        .value_kind:     by_value
      - .offset:         80
        .size:           4
        .value_kind:     hidden_block_count_x
      - .offset:         84
        .size:           4
        .value_kind:     hidden_block_count_y
      - .offset:         88
        .size:           4
        .value_kind:     hidden_block_count_z
      - .offset:         92
        .size:           2
        .value_kind:     hidden_group_size_x
      - .offset:         94
        .size:           2
        .value_kind:     hidden_group_size_y
      - .offset:         96
        .size:           2
        .value_kind:     hidden_group_size_z
      - .offset:         98
        .size:           2
        .value_kind:     hidden_remainder_x
      - .offset:         100
        .size:           2
        .value_kind:     hidden_remainder_y
      - .offset:         102
        .size:           2
        .value_kind:     hidden_remainder_z
      - .offset:         120
        .size:           8
        .value_kind:     hidden_global_offset_x
      - .offset:         128
        .size:           8
        .value_kind:     hidden_global_offset_y
      - .offset:         136
        .size:           8
        .value_kind:     hidden_global_offset_z
      - .offset:         144
        .size:           2
        .value_kind:     hidden_grid_dims
    .group_segment_fixed_size: 0
    .kernarg_segment_align: 8
    .kernarg_segment_size: 336
    .language:       OpenCL C
    .language_version:
      - 2
      - 0
    .max_flat_workgroup_size: 96
    .name:           _ZL33flash_attn_stream_k_fixup_generalILi96ELi4ELi2EEvPfPK15HIP_vector_typeIfLj2EEiiiiS1_IjLj3EES5_S5_S5_
    .private_segment_fixed_size: 0
    .sgpr_count:     46
    .sgpr_spill_count: 0
    .symbol:         _ZL33flash_attn_stream_k_fixup_generalILi96ELi4ELi2EEvPfPK15HIP_vector_typeIfLj2EEiiiiS1_IjLj3EES5_S5_S5_.kd
    .uniform_work_group_size: 1
    .uses_dynamic_stack: false
    .vgpr_count:     9
    .vgpr_spill_count: 0
    .wavefront_size: 32
    .workgroup_processor_mode: 1
  - .args:
      - .address_space:  global
        .offset:         0
        .size:           8
        .value_kind:     global_buffer
      - .address_space:  global
        .offset:         8
        .size:           8
        .value_kind:     global_buffer
      - .address_space:  global
        .offset:         16
        .size:           8
        .value_kind:     global_buffer
      - .address_space:  global
        .offset:         24
        .size:           8
        .value_kind:     global_buffer
      - .address_space:  global
        .offset:         32
        .size:           8
        .value_kind:     global_buffer
      - .address_space:  global
        .offset:         40
        .size:           8
        .value_kind:     global_buffer
      - .address_space:  global
        .offset:         48
        .size:           8
        .value_kind:     global_buffer
      - .address_space:  global
        .offset:         56
        .size:           8
        .value_kind:     global_buffer
      - .offset:         64
        .size:           4
        .value_kind:     by_value
      - .offset:         68
        .size:           4
        .value_kind:     by_value
      - .offset:         72
        .size:           4
        .value_kind:     by_value
      - .offset:         76
        .size:           4
        .value_kind:     by_value
      - .offset:         80
        .size:           4
        .value_kind:     by_value
      - .offset:         84
        .size:           4
        .value_kind:     by_value
      - .offset:         88
        .size:           4
        .value_kind:     by_value
      - .offset:         92
        .size:           12
        .value_kind:     by_value
      - .offset:         104
        .size:           4
        .value_kind:     by_value
      - .offset:         108
        .size:           4
        .value_kind:     by_value
      - .offset:         112
        .size:           4
        .value_kind:     by_value
      - .offset:         116
        .size:           4
        .value_kind:     by_value
      - .offset:         120
        .size:           4
        .value_kind:     by_value
      - .offset:         124
        .size:           4
        .value_kind:     by_value
      - .offset:         128
        .size:           4
        .value_kind:     by_value
      - .offset:         132
        .size:           4
        .value_kind:     by_value
      - .offset:         136
        .size:           4
        .value_kind:     by_value
      - .offset:         140
        .size:           4
        .value_kind:     by_value
      - .offset:         144
        .size:           4
        .value_kind:     by_value
      - .offset:         152
        .size:           8
        .value_kind:     by_value
      - .offset:         160
        .size:           4
        .value_kind:     by_value
      - .offset:         164
        .size:           4
        .value_kind:     by_value
      - .offset:         168
        .size:           8
        .value_kind:     by_value
      - .offset:         176
        .size:           4
        .value_kind:     by_value
      - .offset:         180
        .size:           4
        .value_kind:     by_value
      - .offset:         184
        .size:           4
        .value_kind:     by_value
      - .offset:         188
        .size:           4
        .value_kind:     by_value
      - .offset:         192
        .size:           4
        .value_kind:     by_value
      - .offset:         200
        .size:           8
        .value_kind:     by_value
      - .offset:         208
        .size:           4
        .value_kind:     hidden_block_count_x
      - .offset:         212
        .size:           4
        .value_kind:     hidden_block_count_y
      - .offset:         216
        .size:           4
        .value_kind:     hidden_block_count_z
      - .offset:         220
        .size:           2
        .value_kind:     hidden_group_size_x
      - .offset:         222
        .size:           2
        .value_kind:     hidden_group_size_y
      - .offset:         224
        .size:           2
        .value_kind:     hidden_group_size_z
      - .offset:         226
        .size:           2
        .value_kind:     hidden_remainder_x
      - .offset:         228
        .size:           2
        .value_kind:     hidden_remainder_y
      - .offset:         230
        .size:           2
        .value_kind:     hidden_remainder_z
      - .offset:         248
        .size:           8
        .value_kind:     hidden_global_offset_x
      - .offset:         256
        .size:           8
        .value_kind:     hidden_global_offset_y
      - .offset:         264
        .size:           8
        .value_kind:     hidden_global_offset_z
      - .offset:         272
        .size:           2
        .value_kind:     hidden_grid_dims
    .group_segment_fixed_size: 4736
    .kernarg_segment_align: 8
    .kernarg_segment_size: 464
    .language:       OpenCL C
    .language_version:
      - 2
      - 0
    .max_flat_workgroup_size: 128
    .name:           _ZL15flash_attn_tileILi96ELi96ELi2ELi2ELb0EEvPKcS1_S1_S1_S1_PKiPfP15HIP_vector_typeIfLj2EEffffjfiS5_IjLj3EEiiiiiiiiiiiliiliiiiil
    .private_segment_fixed_size: 0
    .sgpr_count:     50
    .sgpr_spill_count: 0
    .symbol:         _ZL15flash_attn_tileILi96ELi96ELi2ELi2ELb0EEvPKcS1_S1_S1_S1_PKiPfP15HIP_vector_typeIfLj2EEffffjfiS5_IjLj3EEiiiiiiiiiiiliiliiiiil.kd
    .uniform_work_group_size: 1
    .uses_dynamic_stack: false
    .vgpr_count:     86
    .vgpr_spill_count: 0
    .wavefront_size: 32
    .workgroup_processor_mode: 1
  - .args:
      - .address_space:  global
        .offset:         0
        .size:           8
        .value_kind:     global_buffer
      - .address_space:  global
        .offset:         8
        .size:           8
        .value_kind:     global_buffer
      - .offset:         16
        .size:           4
        .value_kind:     by_value
      - .offset:         20
        .size:           4
        .value_kind:     by_value
      - .offset:         24
        .size:           4
        .value_kind:     by_value
      - .offset:         28
        .size:           4
        .value_kind:     by_value
      - .offset:         32
        .size:           4
        .value_kind:     by_value
      - .offset:         36
        .size:           4
        .value_kind:     by_value
      - .offset:         40
        .size:           12
        .value_kind:     by_value
      - .offset:         52
        .size:           12
        .value_kind:     by_value
      - .offset:         64
        .size:           12
        .value_kind:     by_value
    .group_segment_fixed_size: 0
    .kernarg_segment_align: 8
    .kernarg_segment_size: 76
    .language:       OpenCL C
    .language_version:
      - 2
      - 0
    .max_flat_workgroup_size: 96
    .name:           _ZL33flash_attn_stream_k_fixup_uniformILi96ELi2ELi2EEvPfPK15HIP_vector_typeIfLj2EEiiiiiiS1_IjLj3EES5_S5_
    .private_segment_fixed_size: 0
    .sgpr_count:     18
    .sgpr_spill_count: 0
    .symbol:         _ZL33flash_attn_stream_k_fixup_uniformILi96ELi2ELi2EEvPfPK15HIP_vector_typeIfLj2EEiiiiiiS1_IjLj3EES5_S5_.kd
    .uniform_work_group_size: 1
    .uses_dynamic_stack: false
    .vgpr_count:     11
    .vgpr_spill_count: 0
    .wavefront_size: 32
    .workgroup_processor_mode: 1
  - .args:
      - .address_space:  global
        .offset:         0
        .size:           8
        .value_kind:     global_buffer
      - .address_space:  global
        .offset:         8
        .size:           8
        .value_kind:     global_buffer
      - .offset:         16
        .size:           4
        .value_kind:     by_value
      - .offset:         20
        .size:           4
        .value_kind:     by_value
      - .offset:         24
        .size:           4
        .value_kind:     by_value
      - .offset:         28
        .size:           4
        .value_kind:     by_value
      - .offset:         32
        .size:           12
        .value_kind:     by_value
      - .offset:         44
        .size:           12
        .value_kind:     by_value
      - .offset:         56
        .size:           12
        .value_kind:     by_value
      - .offset:         68
        .size:           12
        .value_kind:     by_value
      - .offset:         80
        .size:           4
        .value_kind:     hidden_block_count_x
      - .offset:         84
        .size:           4
        .value_kind:     hidden_block_count_y
      - .offset:         88
        .size:           4
        .value_kind:     hidden_block_count_z
      - .offset:         92
        .size:           2
        .value_kind:     hidden_group_size_x
      - .offset:         94
        .size:           2
        .value_kind:     hidden_group_size_y
      - .offset:         96
        .size:           2
        .value_kind:     hidden_group_size_z
      - .offset:         98
        .size:           2
        .value_kind:     hidden_remainder_x
      - .offset:         100
        .size:           2
        .value_kind:     hidden_remainder_y
      - .offset:         102
        .size:           2
        .value_kind:     hidden_remainder_z
      - .offset:         120
        .size:           8
        .value_kind:     hidden_global_offset_x
      - .offset:         128
        .size:           8
        .value_kind:     hidden_global_offset_y
      - .offset:         136
        .size:           8
        .value_kind:     hidden_global_offset_z
      - .offset:         144
        .size:           2
        .value_kind:     hidden_grid_dims
    .group_segment_fixed_size: 0
    .kernarg_segment_align: 8
    .kernarg_segment_size: 336
    .language:       OpenCL C
    .language_version:
      - 2
      - 0
    .max_flat_workgroup_size: 96
    .name:           _ZL33flash_attn_stream_k_fixup_generalILi96ELi2ELi2EEvPfPK15HIP_vector_typeIfLj2EEiiiiS1_IjLj3EES5_S5_S5_
    .private_segment_fixed_size: 0
    .sgpr_count:     46
    .sgpr_spill_count: 0
    .symbol:         _ZL33flash_attn_stream_k_fixup_generalILi96ELi2ELi2EEvPfPK15HIP_vector_typeIfLj2EEiiiiS1_IjLj3EES5_S5_S5_.kd
    .uniform_work_group_size: 1
    .uses_dynamic_stack: false
    .vgpr_count:     9
    .vgpr_spill_count: 0
    .wavefront_size: 32
    .workgroup_processor_mode: 1
  - .args:
      - .address_space:  global
        .offset:         0
        .size:           8
        .value_kind:     global_buffer
      - .address_space:  global
        .offset:         8
        .size:           8
        .value_kind:     global_buffer
      - .address_space:  global
        .offset:         16
        .size:           8
        .value_kind:     global_buffer
      - .address_space:  global
        .offset:         24
        .size:           8
        .value_kind:     global_buffer
      - .address_space:  global
        .offset:         32
        .size:           8
        .value_kind:     global_buffer
      - .address_space:  global
        .offset:         40
        .size:           8
        .value_kind:     global_buffer
      - .address_space:  global
        .offset:         48
        .size:           8
        .value_kind:     global_buffer
      - .address_space:  global
        .offset:         56
        .size:           8
        .value_kind:     global_buffer
      - .offset:         64
        .size:           4
        .value_kind:     by_value
      - .offset:         68
        .size:           4
        .value_kind:     by_value
      - .offset:         72
        .size:           4
        .value_kind:     by_value
      - .offset:         76
        .size:           4
        .value_kind:     by_value
      - .offset:         80
        .size:           4
        .value_kind:     by_value
      - .offset:         84
        .size:           4
        .value_kind:     by_value
      - .offset:         88
        .size:           4
        .value_kind:     by_value
      - .offset:         92
        .size:           12
        .value_kind:     by_value
      - .offset:         104
        .size:           4
        .value_kind:     by_value
      - .offset:         108
        .size:           4
        .value_kind:     by_value
      - .offset:         112
        .size:           4
        .value_kind:     by_value
      - .offset:         116
        .size:           4
        .value_kind:     by_value
      - .offset:         120
        .size:           4
        .value_kind:     by_value
      - .offset:         124
        .size:           4
        .value_kind:     by_value
      - .offset:         128
        .size:           4
        .value_kind:     by_value
      - .offset:         132
        .size:           4
        .value_kind:     by_value
      - .offset:         136
        .size:           4
        .value_kind:     by_value
      - .offset:         140
        .size:           4
        .value_kind:     by_value
      - .offset:         144
        .size:           4
        .value_kind:     by_value
      - .offset:         152
        .size:           8
        .value_kind:     by_value
      - .offset:         160
        .size:           4
        .value_kind:     by_value
      - .offset:         164
        .size:           4
        .value_kind:     by_value
      - .offset:         168
        .size:           8
        .value_kind:     by_value
      - .offset:         176
        .size:           4
        .value_kind:     by_value
      - .offset:         180
        .size:           4
        .value_kind:     by_value
      - .offset:         184
        .size:           4
        .value_kind:     by_value
      - .offset:         188
        .size:           4
        .value_kind:     by_value
      - .offset:         192
        .size:           4
        .value_kind:     by_value
      - .offset:         200
        .size:           8
        .value_kind:     by_value
      - .offset:         208
        .size:           4
        .value_kind:     hidden_block_count_x
      - .offset:         212
        .size:           4
        .value_kind:     hidden_block_count_y
      - .offset:         216
        .size:           4
        .value_kind:     hidden_block_count_z
      - .offset:         220
        .size:           2
        .value_kind:     hidden_group_size_x
      - .offset:         222
        .size:           2
        .value_kind:     hidden_group_size_y
      - .offset:         224
        .size:           2
        .value_kind:     hidden_group_size_z
      - .offset:         226
        .size:           2
        .value_kind:     hidden_remainder_x
      - .offset:         228
        .size:           2
        .value_kind:     hidden_remainder_y
      - .offset:         230
        .size:           2
        .value_kind:     hidden_remainder_z
      - .offset:         248
        .size:           8
        .value_kind:     hidden_global_offset_x
      - .offset:         256
        .size:           8
        .value_kind:     hidden_global_offset_y
      - .offset:         264
        .size:           8
        .value_kind:     hidden_global_offset_z
      - .offset:         272
        .size:           2
        .value_kind:     hidden_grid_dims
    .group_segment_fixed_size: 4224
    .kernarg_segment_align: 8
    .kernarg_segment_size: 464
    .language:       OpenCL C
    .language_version:
      - 2
      - 0
    .max_flat_workgroup_size: 64
    .name:           _ZL15flash_attn_tileILi96ELi96ELi1ELi2ELb0EEvPKcS1_S1_S1_S1_PKiPfP15HIP_vector_typeIfLj2EEffffjfiS5_IjLj3EEiiiiiiiiiiiliiliiiiil
    .private_segment_fixed_size: 0
    .sgpr_count:     50
    .sgpr_spill_count: 0
    .symbol:         _ZL15flash_attn_tileILi96ELi96ELi1ELi2ELb0EEvPKcS1_S1_S1_S1_PKiPfP15HIP_vector_typeIfLj2EEffffjfiS5_IjLj3EEiiiiiiiiiiiliiliiiiil.kd
    .uniform_work_group_size: 1
    .uses_dynamic_stack: false
    .vgpr_count:     97
    .vgpr_spill_count: 0
    .wavefront_size: 32
    .workgroup_processor_mode: 1
  - .args:
      - .address_space:  global
        .offset:         0
        .size:           8
        .value_kind:     global_buffer
      - .address_space:  global
        .offset:         8
        .size:           8
        .value_kind:     global_buffer
      - .offset:         16
        .size:           4
        .value_kind:     by_value
      - .offset:         20
        .size:           4
        .value_kind:     by_value
      - .offset:         24
        .size:           4
        .value_kind:     by_value
      - .offset:         28
        .size:           4
        .value_kind:     by_value
      - .offset:         32
        .size:           4
        .value_kind:     by_value
      - .offset:         36
        .size:           4
        .value_kind:     by_value
      - .offset:         40
        .size:           12
        .value_kind:     by_value
      - .offset:         52
        .size:           12
        .value_kind:     by_value
      - .offset:         64
        .size:           12
        .value_kind:     by_value
    .group_segment_fixed_size: 0
    .kernarg_segment_align: 8
    .kernarg_segment_size: 76
    .language:       OpenCL C
    .language_version:
      - 2
      - 0
    .max_flat_workgroup_size: 96
    .name:           _ZL33flash_attn_stream_k_fixup_uniformILi96ELi1ELi2EEvPfPK15HIP_vector_typeIfLj2EEiiiiiiS1_IjLj3EES5_S5_
    .private_segment_fixed_size: 0
    .sgpr_count:     18
    .sgpr_spill_count: 0
    .symbol:         _ZL33flash_attn_stream_k_fixup_uniformILi96ELi1ELi2EEvPfPK15HIP_vector_typeIfLj2EEiiiiiiS1_IjLj3EES5_S5_.kd
    .uniform_work_group_size: 1
    .uses_dynamic_stack: false
    .vgpr_count:     11
    .vgpr_spill_count: 0
    .wavefront_size: 32
    .workgroup_processor_mode: 1
  - .args:
      - .address_space:  global
        .offset:         0
        .size:           8
        .value_kind:     global_buffer
      - .address_space:  global
        .offset:         8
        .size:           8
        .value_kind:     global_buffer
      - .offset:         16
        .size:           4
        .value_kind:     by_value
      - .offset:         20
        .size:           4
        .value_kind:     by_value
      - .offset:         24
        .size:           4
        .value_kind:     by_value
      - .offset:         28
        .size:           4
        .value_kind:     by_value
      - .offset:         32
        .size:           12
        .value_kind:     by_value
      - .offset:         44
        .size:           12
        .value_kind:     by_value
      - .offset:         56
        .size:           12
        .value_kind:     by_value
      - .offset:         68
        .size:           12
        .value_kind:     by_value
      - .offset:         80
        .size:           4
        .value_kind:     hidden_block_count_x
      - .offset:         84
        .size:           4
        .value_kind:     hidden_block_count_y
      - .offset:         88
        .size:           4
        .value_kind:     hidden_block_count_z
      - .offset:         92
        .size:           2
        .value_kind:     hidden_group_size_x
      - .offset:         94
        .size:           2
        .value_kind:     hidden_group_size_y
      - .offset:         96
        .size:           2
        .value_kind:     hidden_group_size_z
      - .offset:         98
        .size:           2
        .value_kind:     hidden_remainder_x
      - .offset:         100
        .size:           2
        .value_kind:     hidden_remainder_y
      - .offset:         102
        .size:           2
        .value_kind:     hidden_remainder_z
      - .offset:         120
        .size:           8
        .value_kind:     hidden_global_offset_x
      - .offset:         128
        .size:           8
        .value_kind:     hidden_global_offset_y
      - .offset:         136
        .size:           8
        .value_kind:     hidden_global_offset_z
      - .offset:         144
        .size:           2
        .value_kind:     hidden_grid_dims
    .group_segment_fixed_size: 0
    .kernarg_segment_align: 8
    .kernarg_segment_size: 336
    .language:       OpenCL C
    .language_version:
      - 2
      - 0
    .max_flat_workgroup_size: 96
    .name:           _ZL33flash_attn_stream_k_fixup_generalILi96ELi1ELi2EEvPfPK15HIP_vector_typeIfLj2EEiiiiS1_IjLj3EES5_S5_S5_
    .private_segment_fixed_size: 0
    .sgpr_count:     46
    .sgpr_spill_count: 0
    .symbol:         _ZL33flash_attn_stream_k_fixup_generalILi96ELi1ELi2EEvPfPK15HIP_vector_typeIfLj2EEiiiiS1_IjLj3EES5_S5_S5_.kd
    .uniform_work_group_size: 1
    .uses_dynamic_stack: false
    .vgpr_count:     9
    .vgpr_spill_count: 0
    .wavefront_size: 32
    .workgroup_processor_mode: 1
  - .args:
      - .address_space:  global
        .offset:         0
        .size:           8
        .value_kind:     global_buffer
      - .address_space:  global
        .offset:         8
        .size:           8
        .value_kind:     global_buffer
      - .address_space:  global
        .offset:         16
        .size:           8
        .value_kind:     global_buffer
      - .address_space:  global
        .offset:         24
        .size:           8
        .value_kind:     global_buffer
      - .address_space:  global
        .offset:         32
        .size:           8
        .value_kind:     global_buffer
      - .address_space:  global
        .offset:         40
        .size:           8
        .value_kind:     global_buffer
      - .address_space:  global
        .offset:         48
        .size:           8
        .value_kind:     global_buffer
      - .address_space:  global
        .offset:         56
        .size:           8
        .value_kind:     global_buffer
      - .offset:         64
        .size:           4
        .value_kind:     by_value
      - .offset:         68
        .size:           4
        .value_kind:     by_value
      - .offset:         72
        .size:           4
        .value_kind:     by_value
      - .offset:         76
        .size:           4
        .value_kind:     by_value
      - .offset:         80
        .size:           4
        .value_kind:     by_value
      - .offset:         84
        .size:           4
        .value_kind:     by_value
      - .offset:         88
        .size:           4
        .value_kind:     by_value
      - .offset:         92
        .size:           12
        .value_kind:     by_value
      - .offset:         104
        .size:           4
        .value_kind:     by_value
      - .offset:         108
        .size:           4
        .value_kind:     by_value
      - .offset:         112
        .size:           4
        .value_kind:     by_value
      - .offset:         116
        .size:           4
        .value_kind:     by_value
      - .offset:         120
        .size:           4
        .value_kind:     by_value
      - .offset:         124
        .size:           4
        .value_kind:     by_value
      - .offset:         128
        .size:           4
        .value_kind:     by_value
      - .offset:         132
        .size:           4
        .value_kind:     by_value
      - .offset:         136
        .size:           4
        .value_kind:     by_value
      - .offset:         140
        .size:           4
        .value_kind:     by_value
      - .offset:         144
        .size:           4
        .value_kind:     by_value
      - .offset:         152
        .size:           8
        .value_kind:     by_value
      - .offset:         160
        .size:           4
        .value_kind:     by_value
      - .offset:         164
        .size:           4
        .value_kind:     by_value
      - .offset:         168
        .size:           8
        .value_kind:     by_value
      - .offset:         176
        .size:           4
        .value_kind:     by_value
      - .offset:         180
        .size:           4
        .value_kind:     by_value
      - .offset:         184
        .size:           4
        .value_kind:     by_value
      - .offset:         188
        .size:           4
        .value_kind:     by_value
      - .offset:         192
        .size:           4
        .value_kind:     by_value
      - .offset:         200
        .size:           8
        .value_kind:     by_value
      - .offset:         208
        .size:           4
        .value_kind:     hidden_block_count_x
      - .offset:         212
        .size:           4
        .value_kind:     hidden_block_count_y
      - .offset:         216
        .size:           4
        .value_kind:     hidden_block_count_z
      - .offset:         220
        .size:           2
        .value_kind:     hidden_group_size_x
      - .offset:         222
        .size:           2
        .value_kind:     hidden_group_size_y
      - .offset:         224
        .size:           2
        .value_kind:     hidden_group_size_z
      - .offset:         226
        .size:           2
        .value_kind:     hidden_remainder_x
      - .offset:         228
        .size:           2
        .value_kind:     hidden_remainder_y
      - .offset:         230
        .size:           2
        .value_kind:     hidden_remainder_z
      - .offset:         248
        .size:           8
        .value_kind:     hidden_global_offset_x
      - .offset:         256
        .size:           8
        .value_kind:     hidden_global_offset_y
      - .offset:         264
        .size:           8
        .value_kind:     hidden_global_offset_z
      - .offset:         272
        .size:           2
        .value_kind:     hidden_grid_dims
    .group_segment_fixed_size: 20096
    .kernarg_segment_align: 8
    .kernarg_segment_size: 464
    .language:       OpenCL C
    .language_version:
      - 2
      - 0
    .max_flat_workgroup_size: 256
    .name:           _ZL15flash_attn_tileILi96ELi96ELi64ELi1ELb0EEvPKcS1_S1_S1_S1_PKiPfP15HIP_vector_typeIfLj2EEffffjfiS5_IjLj3EEiiiiiiiiiiiliiliiiiil
    .private_segment_fixed_size: 192
    .sgpr_count:     62
    .sgpr_spill_count: 0
    .symbol:         _ZL15flash_attn_tileILi96ELi96ELi64ELi1ELb0EEvPKcS1_S1_S1_S1_PKiPfP15HIP_vector_typeIfLj2EEffffjfiS5_IjLj3EEiiiiiiiiiiiliiliiiiil.kd
    .uniform_work_group_size: 1
    .uses_dynamic_stack: false
    .vgpr_count:     256
    .vgpr_spill_count: 49
    .wavefront_size: 32
    .workgroup_processor_mode: 1
  - .args:
      - .actual_access:  read_only
        .address_space:  global
        .offset:         0
        .size:           8
        .value_kind:     global_buffer
      - .actual_access:  write_only
        .address_space:  global
        .offset:         8
        .size:           8
        .value_kind:     global_buffer
      - .offset:         16
        .size:           4
        .value_kind:     by_value
      - .offset:         20
        .size:           4
        .value_kind:     by_value
      - .offset:         24
        .size:           4
        .value_kind:     by_value
      - .offset:         32
        .size:           4
        .value_kind:     hidden_block_count_x
      - .offset:         36
        .size:           4
        .value_kind:     hidden_block_count_y
      - .offset:         40
        .size:           4
        .value_kind:     hidden_block_count_z
      - .offset:         44
        .size:           2
        .value_kind:     hidden_group_size_x
      - .offset:         46
        .size:           2
        .value_kind:     hidden_group_size_y
      - .offset:         48
        .size:           2
        .value_kind:     hidden_group_size_z
      - .offset:         50
        .size:           2
        .value_kind:     hidden_remainder_x
      - .offset:         52
        .size:           2
        .value_kind:     hidden_remainder_y
      - .offset:         54
        .size:           2
        .value_kind:     hidden_remainder_z
      - .offset:         72
        .size:           8
        .value_kind:     hidden_global_offset_x
      - .offset:         80
        .size:           8
        .value_kind:     hidden_global_offset_y
      - .offset:         88
        .size:           8
        .value_kind:     hidden_global_offset_z
      - .offset:         96
        .size:           2
        .value_kind:     hidden_grid_dims
    .group_segment_fixed_size: 128
    .kernarg_segment_align: 8
    .kernarg_segment_size: 288
    .language:       OpenCL C
    .language_version:
      - 2
      - 0
    .max_flat_workgroup_size: 128
    .name:           _ZL25flash_attn_mask_to_KV_maxILi64EEvPK7__half2Piiii
    .private_segment_fixed_size: 0
    .sgpr_count:     107
    .sgpr_spill_count: 31
    .symbol:         _ZL25flash_attn_mask_to_KV_maxILi64EEvPK7__half2Piiii.kd
    .uniform_work_group_size: 1
    .uses_dynamic_stack: false
    .vgpr_count:     10
    .vgpr_spill_count: 0
    .wavefront_size: 32
    .workgroup_processor_mode: 1
  - .args:
      - .address_space:  global
        .offset:         0
        .size:           8
        .value_kind:     global_buffer
      - .address_space:  global
        .offset:         8
        .size:           8
        .value_kind:     global_buffer
      - .offset:         16
        .size:           4
        .value_kind:     by_value
      - .offset:         20
        .size:           4
        .value_kind:     by_value
      - .offset:         24
        .size:           4
        .value_kind:     by_value
      - .offset:         28
        .size:           4
        .value_kind:     by_value
      - .offset:         32
        .size:           4
        .value_kind:     by_value
      - .offset:         36
        .size:           4
        .value_kind:     by_value
      - .offset:         40
        .size:           12
        .value_kind:     by_value
      - .offset:         52
        .size:           12
        .value_kind:     by_value
      - .offset:         64
        .size:           12
        .value_kind:     by_value
    .group_segment_fixed_size: 0
    .kernarg_segment_align: 8
    .kernarg_segment_size: 76
    .language:       OpenCL C
    .language_version:
      - 2
      - 0
    .max_flat_workgroup_size: 96
    .name:           _ZL33flash_attn_stream_k_fixup_uniformILi96ELi64ELi1EEvPfPK15HIP_vector_typeIfLj2EEiiiiiiS1_IjLj3EES5_S5_
    .private_segment_fixed_size: 0
    .sgpr_count:     18
    .sgpr_spill_count: 0
    .symbol:         _ZL33flash_attn_stream_k_fixup_uniformILi96ELi64ELi1EEvPfPK15HIP_vector_typeIfLj2EEiiiiiiS1_IjLj3EES5_S5_.kd
    .uniform_work_group_size: 1
    .uses_dynamic_stack: false
    .vgpr_count:     11
    .vgpr_spill_count: 0
    .wavefront_size: 32
    .workgroup_processor_mode: 1
  - .args:
      - .address_space:  global
        .offset:         0
        .size:           8
        .value_kind:     global_buffer
      - .address_space:  global
        .offset:         8
        .size:           8
        .value_kind:     global_buffer
      - .offset:         16
        .size:           4
        .value_kind:     by_value
      - .offset:         20
        .size:           4
        .value_kind:     by_value
      - .offset:         24
        .size:           4
        .value_kind:     by_value
      - .offset:         28
        .size:           4
        .value_kind:     by_value
      - .offset:         32
        .size:           12
        .value_kind:     by_value
      - .offset:         44
        .size:           12
        .value_kind:     by_value
      - .offset:         56
        .size:           12
        .value_kind:     by_value
      - .offset:         68
        .size:           12
        .value_kind:     by_value
      - .offset:         80
        .size:           4
        .value_kind:     hidden_block_count_x
      - .offset:         84
        .size:           4
        .value_kind:     hidden_block_count_y
      - .offset:         88
        .size:           4
        .value_kind:     hidden_block_count_z
      - .offset:         92
        .size:           2
        .value_kind:     hidden_group_size_x
      - .offset:         94
        .size:           2
        .value_kind:     hidden_group_size_y
      - .offset:         96
        .size:           2
        .value_kind:     hidden_group_size_z
      - .offset:         98
        .size:           2
        .value_kind:     hidden_remainder_x
      - .offset:         100
        .size:           2
        .value_kind:     hidden_remainder_y
      - .offset:         102
        .size:           2
        .value_kind:     hidden_remainder_z
      - .offset:         120
        .size:           8
        .value_kind:     hidden_global_offset_x
      - .offset:         128
        .size:           8
        .value_kind:     hidden_global_offset_y
      - .offset:         136
        .size:           8
        .value_kind:     hidden_global_offset_z
      - .offset:         144
        .size:           2
        .value_kind:     hidden_grid_dims
    .group_segment_fixed_size: 0
    .kernarg_segment_align: 8
    .kernarg_segment_size: 336
    .language:       OpenCL C
    .language_version:
      - 2
      - 0
    .max_flat_workgroup_size: 96
    .name:           _ZL33flash_attn_stream_k_fixup_generalILi96ELi64ELi1EEvPfPK15HIP_vector_typeIfLj2EEiiiiS1_IjLj3EES5_S5_S5_
    .private_segment_fixed_size: 0
    .sgpr_count:     46
    .sgpr_spill_count: 0
    .symbol:         _ZL33flash_attn_stream_k_fixup_generalILi96ELi64ELi1EEvPfPK15HIP_vector_typeIfLj2EEiiiiS1_IjLj3EES5_S5_S5_.kd
    .uniform_work_group_size: 1
    .uses_dynamic_stack: false
    .vgpr_count:     9
    .vgpr_spill_count: 0
    .wavefront_size: 32
    .workgroup_processor_mode: 1
  - .args:
      - .address_space:  global
        .offset:         0
        .size:           8
        .value_kind:     global_buffer
      - .address_space:  global
        .offset:         8
        .size:           8
        .value_kind:     global_buffer
      - .address_space:  global
        .offset:         16
        .size:           8
        .value_kind:     global_buffer
      - .address_space:  global
        .offset:         24
        .size:           8
        .value_kind:     global_buffer
      - .address_space:  global
        .offset:         32
        .size:           8
        .value_kind:     global_buffer
      - .address_space:  global
        .offset:         40
        .size:           8
        .value_kind:     global_buffer
      - .address_space:  global
        .offset:         48
        .size:           8
        .value_kind:     global_buffer
      - .address_space:  global
        .offset:         56
        .size:           8
        .value_kind:     global_buffer
      - .offset:         64
        .size:           4
        .value_kind:     by_value
      - .offset:         68
        .size:           4
        .value_kind:     by_value
      - .offset:         72
        .size:           4
        .value_kind:     by_value
      - .offset:         76
        .size:           4
        .value_kind:     by_value
      - .offset:         80
        .size:           4
        .value_kind:     by_value
      - .offset:         84
        .size:           4
        .value_kind:     by_value
      - .offset:         88
        .size:           4
        .value_kind:     by_value
      - .offset:         92
        .size:           12
        .value_kind:     by_value
      - .offset:         104
        .size:           4
        .value_kind:     by_value
      - .offset:         108
        .size:           4
        .value_kind:     by_value
      - .offset:         112
        .size:           4
        .value_kind:     by_value
      - .offset:         116
        .size:           4
        .value_kind:     by_value
      - .offset:         120
        .size:           4
        .value_kind:     by_value
      - .offset:         124
        .size:           4
        .value_kind:     by_value
      - .offset:         128
        .size:           4
        .value_kind:     by_value
      - .offset:         132
        .size:           4
        .value_kind:     by_value
      - .offset:         136
        .size:           4
        .value_kind:     by_value
      - .offset:         140
        .size:           4
        .value_kind:     by_value
      - .offset:         144
        .size:           4
        .value_kind:     by_value
      - .offset:         152
        .size:           8
        .value_kind:     by_value
      - .offset:         160
        .size:           4
        .value_kind:     by_value
      - .offset:         164
        .size:           4
        .value_kind:     by_value
      - .offset:         168
        .size:           8
        .value_kind:     by_value
      - .offset:         176
        .size:           4
        .value_kind:     by_value
      - .offset:         180
        .size:           4
        .value_kind:     by_value
      - .offset:         184
        .size:           4
        .value_kind:     by_value
      - .offset:         188
        .size:           4
        .value_kind:     by_value
      - .offset:         192
        .size:           4
        .value_kind:     by_value
      - .offset:         200
        .size:           8
        .value_kind:     by_value
      - .offset:         208
        .size:           4
        .value_kind:     hidden_block_count_x
      - .offset:         212
        .size:           4
        .value_kind:     hidden_block_count_y
      - .offset:         216
        .size:           4
        .value_kind:     hidden_block_count_z
      - .offset:         220
        .size:           2
        .value_kind:     hidden_group_size_x
      - .offset:         222
        .size:           2
        .value_kind:     hidden_group_size_y
      - .offset:         224
        .size:           2
        .value_kind:     hidden_group_size_z
      - .offset:         226
        .size:           2
        .value_kind:     hidden_remainder_x
      - .offset:         228
        .size:           2
        .value_kind:     hidden_remainder_y
      - .offset:         230
        .size:           2
        .value_kind:     hidden_remainder_z
      - .offset:         248
        .size:           8
        .value_kind:     hidden_global_offset_x
      - .offset:         256
        .size:           8
        .value_kind:     hidden_global_offset_y
      - .offset:         264
        .size:           8
        .value_kind:     hidden_global_offset_z
      - .offset:         272
        .size:           2
        .value_kind:     hidden_grid_dims
    .group_segment_fixed_size: 11904
    .kernarg_segment_align: 8
    .kernarg_segment_size: 464
    .language:       OpenCL C
    .language_version:
      - 2
      - 0
    .max_flat_workgroup_size: 256
    .name:           _ZL15flash_attn_tileILi96ELi96ELi32ELi1ELb0EEvPKcS1_S1_S1_S1_PKiPfP15HIP_vector_typeIfLj2EEffffjfiS5_IjLj3EEiiiiiiiiiiiliiliiiiil
    .private_segment_fixed_size: 32
    .sgpr_count:     54
    .sgpr_spill_count: 0
    .symbol:         _ZL15flash_attn_tileILi96ELi96ELi32ELi1ELb0EEvPKcS1_S1_S1_S1_PKiPfP15HIP_vector_typeIfLj2EEffffjfiS5_IjLj3EEiiiiiiiiiiiliiliiiiil.kd
    .uniform_work_group_size: 1
    .uses_dynamic_stack: false
    .vgpr_count:     181
    .vgpr_spill_count: 0
    .wavefront_size: 32
    .workgroup_processor_mode: 1
  - .args:
      - .address_space:  global
        .offset:         0
        .size:           8
        .value_kind:     global_buffer
      - .address_space:  global
        .offset:         8
        .size:           8
        .value_kind:     global_buffer
      - .offset:         16
        .size:           4
        .value_kind:     by_value
      - .offset:         20
        .size:           4
        .value_kind:     by_value
      - .offset:         24
        .size:           4
        .value_kind:     by_value
      - .offset:         28
        .size:           4
        .value_kind:     by_value
      - .offset:         32
        .size:           4
        .value_kind:     by_value
      - .offset:         36
        .size:           4
        .value_kind:     by_value
      - .offset:         40
        .size:           12
        .value_kind:     by_value
      - .offset:         52
        .size:           12
        .value_kind:     by_value
      - .offset:         64
        .size:           12
        .value_kind:     by_value
    .group_segment_fixed_size: 0
    .kernarg_segment_align: 8
    .kernarg_segment_size: 76
    .language:       OpenCL C
    .language_version:
      - 2
      - 0
    .max_flat_workgroup_size: 96
    .name:           _ZL33flash_attn_stream_k_fixup_uniformILi96ELi32ELi1EEvPfPK15HIP_vector_typeIfLj2EEiiiiiiS1_IjLj3EES5_S5_
    .private_segment_fixed_size: 0
    .sgpr_count:     18
    .sgpr_spill_count: 0
    .symbol:         _ZL33flash_attn_stream_k_fixup_uniformILi96ELi32ELi1EEvPfPK15HIP_vector_typeIfLj2EEiiiiiiS1_IjLj3EES5_S5_.kd
    .uniform_work_group_size: 1
    .uses_dynamic_stack: false
    .vgpr_count:     11
    .vgpr_spill_count: 0
    .wavefront_size: 32
    .workgroup_processor_mode: 1
  - .args:
      - .address_space:  global
        .offset:         0
        .size:           8
        .value_kind:     global_buffer
      - .address_space:  global
        .offset:         8
        .size:           8
        .value_kind:     global_buffer
      - .offset:         16
        .size:           4
        .value_kind:     by_value
      - .offset:         20
        .size:           4
        .value_kind:     by_value
      - .offset:         24
        .size:           4
        .value_kind:     by_value
      - .offset:         28
        .size:           4
        .value_kind:     by_value
      - .offset:         32
        .size:           12
        .value_kind:     by_value
      - .offset:         44
        .size:           12
        .value_kind:     by_value
      - .offset:         56
        .size:           12
        .value_kind:     by_value
      - .offset:         68
        .size:           12
        .value_kind:     by_value
      - .offset:         80
        .size:           4
        .value_kind:     hidden_block_count_x
      - .offset:         84
        .size:           4
        .value_kind:     hidden_block_count_y
      - .offset:         88
        .size:           4
        .value_kind:     hidden_block_count_z
      - .offset:         92
        .size:           2
        .value_kind:     hidden_group_size_x
      - .offset:         94
        .size:           2
        .value_kind:     hidden_group_size_y
      - .offset:         96
        .size:           2
        .value_kind:     hidden_group_size_z
      - .offset:         98
        .size:           2
        .value_kind:     hidden_remainder_x
      - .offset:         100
        .size:           2
        .value_kind:     hidden_remainder_y
      - .offset:         102
        .size:           2
        .value_kind:     hidden_remainder_z
      - .offset:         120
        .size:           8
        .value_kind:     hidden_global_offset_x
      - .offset:         128
        .size:           8
        .value_kind:     hidden_global_offset_y
      - .offset:         136
        .size:           8
        .value_kind:     hidden_global_offset_z
      - .offset:         144
        .size:           2
        .value_kind:     hidden_grid_dims
    .group_segment_fixed_size: 0
    .kernarg_segment_align: 8
    .kernarg_segment_size: 336
    .language:       OpenCL C
    .language_version:
      - 2
      - 0
    .max_flat_workgroup_size: 96
    .name:           _ZL33flash_attn_stream_k_fixup_generalILi96ELi32ELi1EEvPfPK15HIP_vector_typeIfLj2EEiiiiS1_IjLj3EES5_S5_S5_
    .private_segment_fixed_size: 0
    .sgpr_count:     46
    .sgpr_spill_count: 0
    .symbol:         _ZL33flash_attn_stream_k_fixup_generalILi96ELi32ELi1EEvPfPK15HIP_vector_typeIfLj2EEiiiiS1_IjLj3EES5_S5_S5_.kd
    .uniform_work_group_size: 1
    .uses_dynamic_stack: false
    .vgpr_count:     9
    .vgpr_spill_count: 0
    .wavefront_size: 32
    .workgroup_processor_mode: 1
  - .args:
      - .address_space:  global
        .offset:         0
        .size:           8
        .value_kind:     global_buffer
      - .address_space:  global
        .offset:         8
        .size:           8
        .value_kind:     global_buffer
      - .address_space:  global
        .offset:         16
        .size:           8
        .value_kind:     global_buffer
      - .address_space:  global
        .offset:         24
        .size:           8
        .value_kind:     global_buffer
      - .address_space:  global
        .offset:         32
        .size:           8
        .value_kind:     global_buffer
      - .address_space:  global
        .offset:         40
        .size:           8
        .value_kind:     global_buffer
      - .address_space:  global
        .offset:         48
        .size:           8
        .value_kind:     global_buffer
      - .address_space:  global
        .offset:         56
        .size:           8
        .value_kind:     global_buffer
      - .offset:         64
        .size:           4
        .value_kind:     by_value
      - .offset:         68
        .size:           4
        .value_kind:     by_value
      - .offset:         72
        .size:           4
        .value_kind:     by_value
      - .offset:         76
        .size:           4
        .value_kind:     by_value
      - .offset:         80
        .size:           4
        .value_kind:     by_value
      - .offset:         84
        .size:           4
        .value_kind:     by_value
      - .offset:         88
        .size:           4
        .value_kind:     by_value
      - .offset:         92
        .size:           12
        .value_kind:     by_value
      - .offset:         104
        .size:           4
        .value_kind:     by_value
      - .offset:         108
        .size:           4
        .value_kind:     by_value
      - .offset:         112
        .size:           4
        .value_kind:     by_value
      - .offset:         116
        .size:           4
        .value_kind:     by_value
      - .offset:         120
        .size:           4
        .value_kind:     by_value
      - .offset:         124
        .size:           4
        .value_kind:     by_value
      - .offset:         128
        .size:           4
        .value_kind:     by_value
      - .offset:         132
        .size:           4
        .value_kind:     by_value
      - .offset:         136
        .size:           4
        .value_kind:     by_value
      - .offset:         140
        .size:           4
        .value_kind:     by_value
      - .offset:         144
        .size:           4
        .value_kind:     by_value
      - .offset:         152
        .size:           8
        .value_kind:     by_value
      - .offset:         160
        .size:           4
        .value_kind:     by_value
      - .offset:         164
        .size:           4
        .value_kind:     by_value
      - .offset:         168
        .size:           8
        .value_kind:     by_value
      - .offset:         176
        .size:           4
        .value_kind:     by_value
      - .offset:         180
        .size:           4
        .value_kind:     by_value
      - .offset:         184
        .size:           4
        .value_kind:     by_value
      - .offset:         188
        .size:           4
        .value_kind:     by_value
      - .offset:         192
        .size:           4
        .value_kind:     by_value
      - .offset:         200
        .size:           8
        .value_kind:     by_value
      - .offset:         208
        .size:           4
        .value_kind:     hidden_block_count_x
      - .offset:         212
        .size:           4
        .value_kind:     hidden_block_count_y
      - .offset:         216
        .size:           4
        .value_kind:     hidden_block_count_z
      - .offset:         220
        .size:           2
        .value_kind:     hidden_group_size_x
      - .offset:         222
        .size:           2
        .value_kind:     hidden_group_size_y
      - .offset:         224
        .size:           2
        .value_kind:     hidden_group_size_z
      - .offset:         226
        .size:           2
        .value_kind:     hidden_remainder_x
      - .offset:         228
        .size:           2
        .value_kind:     hidden_remainder_y
      - .offset:         230
        .size:           2
        .value_kind:     hidden_remainder_z
      - .offset:         248
        .size:           8
        .value_kind:     hidden_global_offset_x
      - .offset:         256
        .size:           8
        .value_kind:     hidden_global_offset_y
      - .offset:         264
        .size:           8
        .value_kind:     hidden_global_offset_z
      - .offset:         272
        .size:           2
        .value_kind:     hidden_grid_dims
    .group_segment_fixed_size: 7808
    .kernarg_segment_align: 8
    .kernarg_segment_size: 464
    .language:       OpenCL C
    .language_version:
      - 2
      - 0
    .max_flat_workgroup_size: 256
    .name:           _ZL15flash_attn_tileILi96ELi96ELi16ELi1ELb0EEvPKcS1_S1_S1_S1_PKiPfP15HIP_vector_typeIfLj2EEffffjfiS5_IjLj3EEiiiiiiiiiiiliiliiiiil
    .private_segment_fixed_size: 32
    .sgpr_count:     50
    .sgpr_spill_count: 0
    .symbol:         _ZL15flash_attn_tileILi96ELi96ELi16ELi1ELb0EEvPKcS1_S1_S1_S1_PKiPfP15HIP_vector_typeIfLj2EEffffjfiS5_IjLj3EEiiiiiiiiiiiliiliiiiil.kd
    .uniform_work_group_size: 1
    .uses_dynamic_stack: false
    .vgpr_count:     116
    .vgpr_spill_count: 0
    .wavefront_size: 32
    .workgroup_processor_mode: 1
  - .args:
      - .address_space:  global
        .offset:         0
        .size:           8
        .value_kind:     global_buffer
      - .address_space:  global
        .offset:         8
        .size:           8
        .value_kind:     global_buffer
      - .offset:         16
        .size:           4
        .value_kind:     by_value
      - .offset:         20
        .size:           4
        .value_kind:     by_value
      - .offset:         24
        .size:           4
        .value_kind:     by_value
      - .offset:         28
        .size:           4
        .value_kind:     by_value
      - .offset:         32
        .size:           4
        .value_kind:     by_value
      - .offset:         36
        .size:           4
        .value_kind:     by_value
      - .offset:         40
        .size:           12
        .value_kind:     by_value
      - .offset:         52
        .size:           12
        .value_kind:     by_value
      - .offset:         64
        .size:           12
        .value_kind:     by_value
    .group_segment_fixed_size: 0
    .kernarg_segment_align: 8
    .kernarg_segment_size: 76
    .language:       OpenCL C
    .language_version:
      - 2
      - 0
    .max_flat_workgroup_size: 96
    .name:           _ZL33flash_attn_stream_k_fixup_uniformILi96ELi16ELi1EEvPfPK15HIP_vector_typeIfLj2EEiiiiiiS1_IjLj3EES5_S5_
    .private_segment_fixed_size: 0
    .sgpr_count:     18
    .sgpr_spill_count: 0
    .symbol:         _ZL33flash_attn_stream_k_fixup_uniformILi96ELi16ELi1EEvPfPK15HIP_vector_typeIfLj2EEiiiiiiS1_IjLj3EES5_S5_.kd
    .uniform_work_group_size: 1
    .uses_dynamic_stack: false
    .vgpr_count:     11
    .vgpr_spill_count: 0
    .wavefront_size: 32
    .workgroup_processor_mode: 1
  - .args:
      - .address_space:  global
        .offset:         0
        .size:           8
        .value_kind:     global_buffer
      - .address_space:  global
        .offset:         8
        .size:           8
        .value_kind:     global_buffer
      - .offset:         16
        .size:           4
        .value_kind:     by_value
      - .offset:         20
        .size:           4
        .value_kind:     by_value
      - .offset:         24
        .size:           4
        .value_kind:     by_value
      - .offset:         28
        .size:           4
        .value_kind:     by_value
      - .offset:         32
        .size:           12
        .value_kind:     by_value
      - .offset:         44
        .size:           12
        .value_kind:     by_value
      - .offset:         56
        .size:           12
        .value_kind:     by_value
      - .offset:         68
        .size:           12
        .value_kind:     by_value
      - .offset:         80
        .size:           4
        .value_kind:     hidden_block_count_x
      - .offset:         84
        .size:           4
        .value_kind:     hidden_block_count_y
      - .offset:         88
        .size:           4
        .value_kind:     hidden_block_count_z
      - .offset:         92
        .size:           2
        .value_kind:     hidden_group_size_x
      - .offset:         94
        .size:           2
        .value_kind:     hidden_group_size_y
      - .offset:         96
        .size:           2
        .value_kind:     hidden_group_size_z
      - .offset:         98
        .size:           2
        .value_kind:     hidden_remainder_x
      - .offset:         100
        .size:           2
        .value_kind:     hidden_remainder_y
      - .offset:         102
        .size:           2
        .value_kind:     hidden_remainder_z
      - .offset:         120
        .size:           8
        .value_kind:     hidden_global_offset_x
      - .offset:         128
        .size:           8
        .value_kind:     hidden_global_offset_y
      - .offset:         136
        .size:           8
        .value_kind:     hidden_global_offset_z
      - .offset:         144
        .size:           2
        .value_kind:     hidden_grid_dims
    .group_segment_fixed_size: 0
    .kernarg_segment_align: 8
    .kernarg_segment_size: 336
    .language:       OpenCL C
    .language_version:
      - 2
      - 0
    .max_flat_workgroup_size: 96
    .name:           _ZL33flash_attn_stream_k_fixup_generalILi96ELi16ELi1EEvPfPK15HIP_vector_typeIfLj2EEiiiiS1_IjLj3EES5_S5_S5_
    .private_segment_fixed_size: 0
    .sgpr_count:     46
    .sgpr_spill_count: 0
    .symbol:         _ZL33flash_attn_stream_k_fixup_generalILi96ELi16ELi1EEvPfPK15HIP_vector_typeIfLj2EEiiiiS1_IjLj3EES5_S5_S5_.kd
    .uniform_work_group_size: 1
    .uses_dynamic_stack: false
    .vgpr_count:     9
    .vgpr_spill_count: 0
    .wavefront_size: 32
    .workgroup_processor_mode: 1
  - .args:
      - .address_space:  global
        .offset:         0
        .size:           8
        .value_kind:     global_buffer
      - .address_space:  global
        .offset:         8
        .size:           8
        .value_kind:     global_buffer
      - .address_space:  global
        .offset:         16
        .size:           8
        .value_kind:     global_buffer
      - .address_space:  global
        .offset:         24
        .size:           8
        .value_kind:     global_buffer
      - .address_space:  global
        .offset:         32
        .size:           8
        .value_kind:     global_buffer
      - .address_space:  global
        .offset:         40
        .size:           8
        .value_kind:     global_buffer
      - .address_space:  global
        .offset:         48
        .size:           8
        .value_kind:     global_buffer
      - .address_space:  global
        .offset:         56
        .size:           8
        .value_kind:     global_buffer
      - .offset:         64
        .size:           4
        .value_kind:     by_value
      - .offset:         68
        .size:           4
        .value_kind:     by_value
      - .offset:         72
        .size:           4
        .value_kind:     by_value
      - .offset:         76
        .size:           4
        .value_kind:     by_value
      - .offset:         80
        .size:           4
        .value_kind:     by_value
      - .offset:         84
        .size:           4
        .value_kind:     by_value
      - .offset:         88
        .size:           4
        .value_kind:     by_value
      - .offset:         92
        .size:           12
        .value_kind:     by_value
      - .offset:         104
        .size:           4
        .value_kind:     by_value
      - .offset:         108
        .size:           4
        .value_kind:     by_value
      - .offset:         112
        .size:           4
        .value_kind:     by_value
      - .offset:         116
        .size:           4
        .value_kind:     by_value
      - .offset:         120
        .size:           4
        .value_kind:     by_value
      - .offset:         124
        .size:           4
        .value_kind:     by_value
      - .offset:         128
        .size:           4
        .value_kind:     by_value
      - .offset:         132
        .size:           4
        .value_kind:     by_value
      - .offset:         136
        .size:           4
        .value_kind:     by_value
      - .offset:         140
        .size:           4
        .value_kind:     by_value
      - .offset:         144
        .size:           4
        .value_kind:     by_value
      - .offset:         152
        .size:           8
        .value_kind:     by_value
      - .offset:         160
        .size:           4
        .value_kind:     by_value
      - .offset:         164
        .size:           4
        .value_kind:     by_value
      - .offset:         168
        .size:           8
        .value_kind:     by_value
      - .offset:         176
        .size:           4
        .value_kind:     by_value
      - .offset:         180
        .size:           4
        .value_kind:     by_value
      - .offset:         184
        .size:           4
        .value_kind:     by_value
      - .offset:         188
        .size:           4
        .value_kind:     by_value
      - .offset:         192
        .size:           4
        .value_kind:     by_value
      - .offset:         200
        .size:           8
        .value_kind:     by_value
      - .offset:         208
        .size:           4
        .value_kind:     hidden_block_count_x
      - .offset:         212
        .size:           4
        .value_kind:     hidden_block_count_y
      - .offset:         216
        .size:           4
        .value_kind:     hidden_block_count_z
      - .offset:         220
        .size:           2
        .value_kind:     hidden_group_size_x
      - .offset:         222
        .size:           2
        .value_kind:     hidden_group_size_y
      - .offset:         224
        .size:           2
        .value_kind:     hidden_group_size_z
      - .offset:         226
        .size:           2
        .value_kind:     hidden_remainder_x
      - .offset:         228
        .size:           2
        .value_kind:     hidden_remainder_y
      - .offset:         230
        .size:           2
        .value_kind:     hidden_remainder_z
      - .offset:         248
        .size:           8
        .value_kind:     hidden_global_offset_x
      - .offset:         256
        .size:           8
        .value_kind:     hidden_global_offset_y
      - .offset:         264
        .size:           8
        .value_kind:     hidden_global_offset_z
      - .offset:         272
        .size:           2
        .value_kind:     hidden_grid_dims
    .group_segment_fixed_size: 5760
    .kernarg_segment_align: 8
    .kernarg_segment_size: 464
    .language:       OpenCL C
    .language_version:
      - 2
      - 0
    .max_flat_workgroup_size: 256
    .name:           _ZL15flash_attn_tileILi96ELi96ELi8ELi1ELb0EEvPKcS1_S1_S1_S1_PKiPfP15HIP_vector_typeIfLj2EEffffjfiS5_IjLj3EEiiiiiiiiiiiliiliiiiil
    .private_segment_fixed_size: 32
    .sgpr_count:     48
    .sgpr_spill_count: 0
    .symbol:         _ZL15flash_attn_tileILi96ELi96ELi8ELi1ELb0EEvPKcS1_S1_S1_S1_PKiPfP15HIP_vector_typeIfLj2EEffffjfiS5_IjLj3EEiiiiiiiiiiiliiliiiiil.kd
    .uniform_work_group_size: 1
    .uses_dynamic_stack: false
    .vgpr_count:     88
    .vgpr_spill_count: 0
    .wavefront_size: 32
    .workgroup_processor_mode: 1
  - .args:
      - .address_space:  global
        .offset:         0
        .size:           8
        .value_kind:     global_buffer
      - .address_space:  global
        .offset:         8
        .size:           8
        .value_kind:     global_buffer
      - .offset:         16
        .size:           4
        .value_kind:     by_value
      - .offset:         20
        .size:           4
        .value_kind:     by_value
      - .offset:         24
        .size:           4
        .value_kind:     by_value
      - .offset:         28
        .size:           4
        .value_kind:     by_value
      - .offset:         32
        .size:           4
        .value_kind:     by_value
      - .offset:         36
        .size:           4
        .value_kind:     by_value
      - .offset:         40
        .size:           12
        .value_kind:     by_value
      - .offset:         52
        .size:           12
        .value_kind:     by_value
      - .offset:         64
        .size:           12
        .value_kind:     by_value
    .group_segment_fixed_size: 0
    .kernarg_segment_align: 8
    .kernarg_segment_size: 76
    .language:       OpenCL C
    .language_version:
      - 2
      - 0
    .max_flat_workgroup_size: 96
    .name:           _ZL33flash_attn_stream_k_fixup_uniformILi96ELi8ELi1EEvPfPK15HIP_vector_typeIfLj2EEiiiiiiS1_IjLj3EES5_S5_
    .private_segment_fixed_size: 0
    .sgpr_count:     18
    .sgpr_spill_count: 0
    .symbol:         _ZL33flash_attn_stream_k_fixup_uniformILi96ELi8ELi1EEvPfPK15HIP_vector_typeIfLj2EEiiiiiiS1_IjLj3EES5_S5_.kd
    .uniform_work_group_size: 1
    .uses_dynamic_stack: false
    .vgpr_count:     11
    .vgpr_spill_count: 0
    .wavefront_size: 32
    .workgroup_processor_mode: 1
  - .args:
      - .address_space:  global
        .offset:         0
        .size:           8
        .value_kind:     global_buffer
      - .address_space:  global
        .offset:         8
        .size:           8
        .value_kind:     global_buffer
      - .offset:         16
        .size:           4
        .value_kind:     by_value
      - .offset:         20
        .size:           4
        .value_kind:     by_value
      - .offset:         24
        .size:           4
        .value_kind:     by_value
      - .offset:         28
        .size:           4
        .value_kind:     by_value
      - .offset:         32
        .size:           12
        .value_kind:     by_value
      - .offset:         44
        .size:           12
        .value_kind:     by_value
      - .offset:         56
        .size:           12
        .value_kind:     by_value
      - .offset:         68
        .size:           12
        .value_kind:     by_value
      - .offset:         80
        .size:           4
        .value_kind:     hidden_block_count_x
      - .offset:         84
        .size:           4
        .value_kind:     hidden_block_count_y
      - .offset:         88
        .size:           4
        .value_kind:     hidden_block_count_z
      - .offset:         92
        .size:           2
        .value_kind:     hidden_group_size_x
      - .offset:         94
        .size:           2
        .value_kind:     hidden_group_size_y
      - .offset:         96
        .size:           2
        .value_kind:     hidden_group_size_z
      - .offset:         98
        .size:           2
        .value_kind:     hidden_remainder_x
      - .offset:         100
        .size:           2
        .value_kind:     hidden_remainder_y
      - .offset:         102
        .size:           2
        .value_kind:     hidden_remainder_z
      - .offset:         120
        .size:           8
        .value_kind:     hidden_global_offset_x
      - .offset:         128
        .size:           8
        .value_kind:     hidden_global_offset_y
      - .offset:         136
        .size:           8
        .value_kind:     hidden_global_offset_z
      - .offset:         144
        .size:           2
        .value_kind:     hidden_grid_dims
    .group_segment_fixed_size: 0
    .kernarg_segment_align: 8
    .kernarg_segment_size: 336
    .language:       OpenCL C
    .language_version:
      - 2
      - 0
    .max_flat_workgroup_size: 96
    .name:           _ZL33flash_attn_stream_k_fixup_generalILi96ELi8ELi1EEvPfPK15HIP_vector_typeIfLj2EEiiiiS1_IjLj3EES5_S5_S5_
    .private_segment_fixed_size: 0
    .sgpr_count:     46
    .sgpr_spill_count: 0
    .symbol:         _ZL33flash_attn_stream_k_fixup_generalILi96ELi8ELi1EEvPfPK15HIP_vector_typeIfLj2EEiiiiS1_IjLj3EES5_S5_S5_.kd
    .uniform_work_group_size: 1
    .uses_dynamic_stack: false
    .vgpr_count:     9
    .vgpr_spill_count: 0
    .wavefront_size: 32
    .workgroup_processor_mode: 1
  - .args:
      - .address_space:  global
        .offset:         0
        .size:           8
        .value_kind:     global_buffer
      - .address_space:  global
        .offset:         8
        .size:           8
        .value_kind:     global_buffer
      - .address_space:  global
        .offset:         16
        .size:           8
        .value_kind:     global_buffer
      - .address_space:  global
        .offset:         24
        .size:           8
        .value_kind:     global_buffer
      - .address_space:  global
        .offset:         32
        .size:           8
        .value_kind:     global_buffer
      - .address_space:  global
        .offset:         40
        .size:           8
        .value_kind:     global_buffer
      - .address_space:  global
        .offset:         48
        .size:           8
        .value_kind:     global_buffer
      - .address_space:  global
        .offset:         56
        .size:           8
        .value_kind:     global_buffer
      - .offset:         64
        .size:           4
        .value_kind:     by_value
      - .offset:         68
        .size:           4
        .value_kind:     by_value
      - .offset:         72
        .size:           4
        .value_kind:     by_value
      - .offset:         76
        .size:           4
        .value_kind:     by_value
      - .offset:         80
        .size:           4
        .value_kind:     by_value
      - .offset:         84
        .size:           4
        .value_kind:     by_value
      - .offset:         88
        .size:           4
        .value_kind:     by_value
      - .offset:         92
        .size:           12
        .value_kind:     by_value
      - .offset:         104
        .size:           4
        .value_kind:     by_value
      - .offset:         108
        .size:           4
        .value_kind:     by_value
      - .offset:         112
        .size:           4
        .value_kind:     by_value
      - .offset:         116
        .size:           4
        .value_kind:     by_value
      - .offset:         120
        .size:           4
        .value_kind:     by_value
      - .offset:         124
        .size:           4
        .value_kind:     by_value
      - .offset:         128
        .size:           4
        .value_kind:     by_value
      - .offset:         132
        .size:           4
        .value_kind:     by_value
      - .offset:         136
        .size:           4
        .value_kind:     by_value
      - .offset:         140
        .size:           4
        .value_kind:     by_value
      - .offset:         144
        .size:           4
        .value_kind:     by_value
      - .offset:         152
        .size:           8
        .value_kind:     by_value
      - .offset:         160
        .size:           4
        .value_kind:     by_value
      - .offset:         164
        .size:           4
        .value_kind:     by_value
      - .offset:         168
        .size:           8
        .value_kind:     by_value
      - .offset:         176
        .size:           4
        .value_kind:     by_value
      - .offset:         180
        .size:           4
        .value_kind:     by_value
      - .offset:         184
        .size:           4
        .value_kind:     by_value
      - .offset:         188
        .size:           4
        .value_kind:     by_value
      - .offset:         192
        .size:           4
        .value_kind:     by_value
      - .offset:         200
        .size:           8
        .value_kind:     by_value
      - .offset:         208
        .size:           4
        .value_kind:     hidden_block_count_x
      - .offset:         212
        .size:           4
        .value_kind:     hidden_block_count_y
      - .offset:         216
        .size:           4
        .value_kind:     hidden_block_count_z
      - .offset:         220
        .size:           2
        .value_kind:     hidden_group_size_x
      - .offset:         222
        .size:           2
        .value_kind:     hidden_group_size_y
      - .offset:         224
        .size:           2
        .value_kind:     hidden_group_size_z
      - .offset:         226
        .size:           2
        .value_kind:     hidden_remainder_x
      - .offset:         228
        .size:           2
        .value_kind:     hidden_remainder_y
      - .offset:         230
        .size:           2
        .value_kind:     hidden_remainder_z
      - .offset:         248
        .size:           8
        .value_kind:     hidden_global_offset_x
      - .offset:         256
        .size:           8
        .value_kind:     hidden_global_offset_y
      - .offset:         264
        .size:           8
        .value_kind:     hidden_global_offset_z
      - .offset:         272
        .size:           2
        .value_kind:     hidden_grid_dims
    .group_segment_fixed_size: 4736
    .kernarg_segment_align: 8
    .kernarg_segment_size: 464
    .language:       OpenCL C
    .language_version:
      - 2
      - 0
    .max_flat_workgroup_size: 128
    .name:           _ZL15flash_attn_tileILi96ELi96ELi4ELi1ELb0EEvPKcS1_S1_S1_S1_PKiPfP15HIP_vector_typeIfLj2EEffffjfiS5_IjLj3EEiiiiiiiiiiiliiliiiiil
    .private_segment_fixed_size: 32
    .sgpr_count:     48
    .sgpr_spill_count: 0
    .symbol:         _ZL15flash_attn_tileILi96ELi96ELi4ELi1ELb0EEvPKcS1_S1_S1_S1_PKiPfP15HIP_vector_typeIfLj2EEffffjfiS5_IjLj3EEiiiiiiiiiiiliiliiiiil.kd
    .uniform_work_group_size: 1
    .uses_dynamic_stack: false
    .vgpr_count:     89
    .vgpr_spill_count: 0
    .wavefront_size: 32
    .workgroup_processor_mode: 1
  - .args:
      - .address_space:  global
        .offset:         0
        .size:           8
        .value_kind:     global_buffer
      - .address_space:  global
        .offset:         8
        .size:           8
        .value_kind:     global_buffer
      - .offset:         16
        .size:           4
        .value_kind:     by_value
      - .offset:         20
        .size:           4
        .value_kind:     by_value
      - .offset:         24
        .size:           4
        .value_kind:     by_value
      - .offset:         28
        .size:           4
        .value_kind:     by_value
      - .offset:         32
        .size:           4
        .value_kind:     by_value
      - .offset:         36
        .size:           4
        .value_kind:     by_value
      - .offset:         40
        .size:           12
        .value_kind:     by_value
      - .offset:         52
        .size:           12
        .value_kind:     by_value
      - .offset:         64
        .size:           12
        .value_kind:     by_value
    .group_segment_fixed_size: 0
    .kernarg_segment_align: 8
    .kernarg_segment_size: 76
    .language:       OpenCL C
    .language_version:
      - 2
      - 0
    .max_flat_workgroup_size: 96
    .name:           _ZL33flash_attn_stream_k_fixup_uniformILi96ELi4ELi1EEvPfPK15HIP_vector_typeIfLj2EEiiiiiiS1_IjLj3EES5_S5_
    .private_segment_fixed_size: 0
    .sgpr_count:     18
    .sgpr_spill_count: 0
    .symbol:         _ZL33flash_attn_stream_k_fixup_uniformILi96ELi4ELi1EEvPfPK15HIP_vector_typeIfLj2EEiiiiiiS1_IjLj3EES5_S5_.kd
    .uniform_work_group_size: 1
    .uses_dynamic_stack: false
    .vgpr_count:     11
    .vgpr_spill_count: 0
    .wavefront_size: 32
    .workgroup_processor_mode: 1
  - .args:
      - .address_space:  global
        .offset:         0
        .size:           8
        .value_kind:     global_buffer
      - .address_space:  global
        .offset:         8
        .size:           8
        .value_kind:     global_buffer
      - .offset:         16
        .size:           4
        .value_kind:     by_value
      - .offset:         20
        .size:           4
        .value_kind:     by_value
      - .offset:         24
        .size:           4
        .value_kind:     by_value
      - .offset:         28
        .size:           4
        .value_kind:     by_value
      - .offset:         32
        .size:           12
        .value_kind:     by_value
      - .offset:         44
        .size:           12
        .value_kind:     by_value
      - .offset:         56
        .size:           12
        .value_kind:     by_value
      - .offset:         68
        .size:           12
        .value_kind:     by_value
      - .offset:         80
        .size:           4
        .value_kind:     hidden_block_count_x
      - .offset:         84
        .size:           4
        .value_kind:     hidden_block_count_y
      - .offset:         88
        .size:           4
        .value_kind:     hidden_block_count_z
      - .offset:         92
        .size:           2
        .value_kind:     hidden_group_size_x
      - .offset:         94
        .size:           2
        .value_kind:     hidden_group_size_y
      - .offset:         96
        .size:           2
        .value_kind:     hidden_group_size_z
      - .offset:         98
        .size:           2
        .value_kind:     hidden_remainder_x
      - .offset:         100
        .size:           2
        .value_kind:     hidden_remainder_y
      - .offset:         102
        .size:           2
        .value_kind:     hidden_remainder_z
      - .offset:         120
        .size:           8
        .value_kind:     hidden_global_offset_x
      - .offset:         128
        .size:           8
        .value_kind:     hidden_global_offset_y
      - .offset:         136
        .size:           8
        .value_kind:     hidden_global_offset_z
      - .offset:         144
        .size:           2
        .value_kind:     hidden_grid_dims
    .group_segment_fixed_size: 0
    .kernarg_segment_align: 8
    .kernarg_segment_size: 336
    .language:       OpenCL C
    .language_version:
      - 2
      - 0
    .max_flat_workgroup_size: 96
    .name:           _ZL33flash_attn_stream_k_fixup_generalILi96ELi4ELi1EEvPfPK15HIP_vector_typeIfLj2EEiiiiS1_IjLj3EES5_S5_S5_
    .private_segment_fixed_size: 0
    .sgpr_count:     46
    .sgpr_spill_count: 0
    .symbol:         _ZL33flash_attn_stream_k_fixup_generalILi96ELi4ELi1EEvPfPK15HIP_vector_typeIfLj2EEiiiiS1_IjLj3EES5_S5_S5_.kd
    .uniform_work_group_size: 1
    .uses_dynamic_stack: false
    .vgpr_count:     9
    .vgpr_spill_count: 0
    .wavefront_size: 32
    .workgroup_processor_mode: 1
  - .args:
      - .address_space:  global
        .offset:         0
        .size:           8
        .value_kind:     global_buffer
      - .address_space:  global
        .offset:         8
        .size:           8
        .value_kind:     global_buffer
      - .address_space:  global
        .offset:         16
        .size:           8
        .value_kind:     global_buffer
      - .address_space:  global
        .offset:         24
        .size:           8
        .value_kind:     global_buffer
      - .address_space:  global
        .offset:         32
        .size:           8
        .value_kind:     global_buffer
      - .address_space:  global
        .offset:         40
        .size:           8
        .value_kind:     global_buffer
      - .address_space:  global
        .offset:         48
        .size:           8
        .value_kind:     global_buffer
      - .address_space:  global
        .offset:         56
        .size:           8
        .value_kind:     global_buffer
      - .offset:         64
        .size:           4
        .value_kind:     by_value
      - .offset:         68
        .size:           4
        .value_kind:     by_value
      - .offset:         72
        .size:           4
        .value_kind:     by_value
      - .offset:         76
        .size:           4
        .value_kind:     by_value
      - .offset:         80
        .size:           4
        .value_kind:     by_value
      - .offset:         84
        .size:           4
        .value_kind:     by_value
      - .offset:         88
        .size:           4
        .value_kind:     by_value
      - .offset:         92
        .size:           12
        .value_kind:     by_value
      - .offset:         104
        .size:           4
        .value_kind:     by_value
      - .offset:         108
        .size:           4
        .value_kind:     by_value
      - .offset:         112
        .size:           4
        .value_kind:     by_value
      - .offset:         116
        .size:           4
        .value_kind:     by_value
      - .offset:         120
        .size:           4
        .value_kind:     by_value
      - .offset:         124
        .size:           4
        .value_kind:     by_value
      - .offset:         128
        .size:           4
        .value_kind:     by_value
      - .offset:         132
        .size:           4
        .value_kind:     by_value
      - .offset:         136
        .size:           4
        .value_kind:     by_value
      - .offset:         140
        .size:           4
        .value_kind:     by_value
      - .offset:         144
        .size:           4
        .value_kind:     by_value
      - .offset:         152
        .size:           8
        .value_kind:     by_value
      - .offset:         160
        .size:           4
        .value_kind:     by_value
      - .offset:         164
        .size:           4
        .value_kind:     by_value
      - .offset:         168
        .size:           8
        .value_kind:     by_value
      - .offset:         176
        .size:           4
        .value_kind:     by_value
      - .offset:         180
        .size:           4
        .value_kind:     by_value
      - .offset:         184
        .size:           4
        .value_kind:     by_value
      - .offset:         188
        .size:           4
        .value_kind:     by_value
      - .offset:         192
        .size:           4
        .value_kind:     by_value
      - .offset:         200
        .size:           8
        .value_kind:     by_value
      - .offset:         208
        .size:           4
        .value_kind:     hidden_block_count_x
      - .offset:         212
        .size:           4
        .value_kind:     hidden_block_count_y
      - .offset:         216
        .size:           4
        .value_kind:     hidden_block_count_z
      - .offset:         220
        .size:           2
        .value_kind:     hidden_group_size_x
      - .offset:         222
        .size:           2
        .value_kind:     hidden_group_size_y
      - .offset:         224
        .size:           2
        .value_kind:     hidden_group_size_z
      - .offset:         226
        .size:           2
        .value_kind:     hidden_remainder_x
      - .offset:         228
        .size:           2
        .value_kind:     hidden_remainder_y
      - .offset:         230
        .size:           2
        .value_kind:     hidden_remainder_z
      - .offset:         248
        .size:           8
        .value_kind:     hidden_global_offset_x
      - .offset:         256
        .size:           8
        .value_kind:     hidden_global_offset_y
      - .offset:         264
        .size:           8
        .value_kind:     hidden_global_offset_z
      - .offset:         272
        .size:           2
        .value_kind:     hidden_grid_dims
    .group_segment_fixed_size: 4224
    .kernarg_segment_align: 8
    .kernarg_segment_size: 464
    .language:       OpenCL C
    .language_version:
      - 2
      - 0
    .max_flat_workgroup_size: 64
    .name:           _ZL15flash_attn_tileILi96ELi96ELi2ELi1ELb0EEvPKcS1_S1_S1_S1_PKiPfP15HIP_vector_typeIfLj2EEffffjfiS5_IjLj3EEiiiiiiiiiiiliiliiiiil
    .private_segment_fixed_size: 32
    .sgpr_count:     48
    .sgpr_spill_count: 0
    .symbol:         _ZL15flash_attn_tileILi96ELi96ELi2ELi1ELb0EEvPKcS1_S1_S1_S1_PKiPfP15HIP_vector_typeIfLj2EEffffjfiS5_IjLj3EEiiiiiiiiiiiliiliiiiil.kd
    .uniform_work_group_size: 1
    .uses_dynamic_stack: false
    .vgpr_count:     101
    .vgpr_spill_count: 0
    .wavefront_size: 32
    .workgroup_processor_mode: 1
  - .args:
      - .address_space:  global
        .offset:         0
        .size:           8
        .value_kind:     global_buffer
      - .address_space:  global
        .offset:         8
        .size:           8
        .value_kind:     global_buffer
      - .offset:         16
        .size:           4
        .value_kind:     by_value
      - .offset:         20
        .size:           4
        .value_kind:     by_value
      - .offset:         24
        .size:           4
        .value_kind:     by_value
      - .offset:         28
        .size:           4
        .value_kind:     by_value
      - .offset:         32
        .size:           4
        .value_kind:     by_value
      - .offset:         36
        .size:           4
        .value_kind:     by_value
      - .offset:         40
        .size:           12
        .value_kind:     by_value
      - .offset:         52
        .size:           12
        .value_kind:     by_value
      - .offset:         64
        .size:           12
        .value_kind:     by_value
    .group_segment_fixed_size: 0
    .kernarg_segment_align: 8
    .kernarg_segment_size: 76
    .language:       OpenCL C
    .language_version:
      - 2
      - 0
    .max_flat_workgroup_size: 96
    .name:           _ZL33flash_attn_stream_k_fixup_uniformILi96ELi2ELi1EEvPfPK15HIP_vector_typeIfLj2EEiiiiiiS1_IjLj3EES5_S5_
    .private_segment_fixed_size: 0
    .sgpr_count:     18
    .sgpr_spill_count: 0
    .symbol:         _ZL33flash_attn_stream_k_fixup_uniformILi96ELi2ELi1EEvPfPK15HIP_vector_typeIfLj2EEiiiiiiS1_IjLj3EES5_S5_.kd
    .uniform_work_group_size: 1
    .uses_dynamic_stack: false
    .vgpr_count:     11
    .vgpr_spill_count: 0
    .wavefront_size: 32
    .workgroup_processor_mode: 1
  - .args:
      - .address_space:  global
        .offset:         0
        .size:           8
        .value_kind:     global_buffer
      - .address_space:  global
        .offset:         8
        .size:           8
        .value_kind:     global_buffer
      - .offset:         16
        .size:           4
        .value_kind:     by_value
      - .offset:         20
        .size:           4
        .value_kind:     by_value
      - .offset:         24
        .size:           4
        .value_kind:     by_value
      - .offset:         28
        .size:           4
        .value_kind:     by_value
      - .offset:         32
        .size:           12
        .value_kind:     by_value
      - .offset:         44
        .size:           12
        .value_kind:     by_value
      - .offset:         56
        .size:           12
        .value_kind:     by_value
      - .offset:         68
        .size:           12
        .value_kind:     by_value
      - .offset:         80
        .size:           4
        .value_kind:     hidden_block_count_x
      - .offset:         84
        .size:           4
        .value_kind:     hidden_block_count_y
      - .offset:         88
        .size:           4
        .value_kind:     hidden_block_count_z
      - .offset:         92
        .size:           2
        .value_kind:     hidden_group_size_x
      - .offset:         94
        .size:           2
        .value_kind:     hidden_group_size_y
      - .offset:         96
        .size:           2
        .value_kind:     hidden_group_size_z
      - .offset:         98
        .size:           2
        .value_kind:     hidden_remainder_x
      - .offset:         100
        .size:           2
        .value_kind:     hidden_remainder_y
      - .offset:         102
        .size:           2
        .value_kind:     hidden_remainder_z
      - .offset:         120
        .size:           8
        .value_kind:     hidden_global_offset_x
      - .offset:         128
        .size:           8
        .value_kind:     hidden_global_offset_y
      - .offset:         136
        .size:           8
        .value_kind:     hidden_global_offset_z
      - .offset:         144
        .size:           2
        .value_kind:     hidden_grid_dims
    .group_segment_fixed_size: 0
    .kernarg_segment_align: 8
    .kernarg_segment_size: 336
    .language:       OpenCL C
    .language_version:
      - 2
      - 0
    .max_flat_workgroup_size: 96
    .name:           _ZL33flash_attn_stream_k_fixup_generalILi96ELi2ELi1EEvPfPK15HIP_vector_typeIfLj2EEiiiiS1_IjLj3EES5_S5_S5_
    .private_segment_fixed_size: 0
    .sgpr_count:     46
    .sgpr_spill_count: 0
    .symbol:         _ZL33flash_attn_stream_k_fixup_generalILi96ELi2ELi1EEvPfPK15HIP_vector_typeIfLj2EEiiiiS1_IjLj3EES5_S5_S5_.kd
    .uniform_work_group_size: 1
    .uses_dynamic_stack: false
    .vgpr_count:     9
    .vgpr_spill_count: 0
    .wavefront_size: 32
    .workgroup_processor_mode: 1
  - .args:
      - .address_space:  global
        .offset:         0
        .size:           8
        .value_kind:     global_buffer
      - .address_space:  global
        .offset:         8
        .size:           8
        .value_kind:     global_buffer
      - .address_space:  global
        .offset:         16
        .size:           8
        .value_kind:     global_buffer
      - .address_space:  global
        .offset:         24
        .size:           8
        .value_kind:     global_buffer
      - .address_space:  global
        .offset:         32
        .size:           8
        .value_kind:     global_buffer
      - .address_space:  global
        .offset:         40
        .size:           8
        .value_kind:     global_buffer
      - .address_space:  global
        .offset:         48
        .size:           8
        .value_kind:     global_buffer
      - .address_space:  global
        .offset:         56
        .size:           8
        .value_kind:     global_buffer
      - .offset:         64
        .size:           4
        .value_kind:     by_value
      - .offset:         68
        .size:           4
        .value_kind:     by_value
      - .offset:         72
        .size:           4
        .value_kind:     by_value
      - .offset:         76
        .size:           4
        .value_kind:     by_value
      - .offset:         80
        .size:           4
        .value_kind:     by_value
      - .offset:         84
        .size:           4
        .value_kind:     by_value
      - .offset:         88
        .size:           4
        .value_kind:     by_value
      - .offset:         92
        .size:           12
        .value_kind:     by_value
      - .offset:         104
        .size:           4
        .value_kind:     by_value
      - .offset:         108
        .size:           4
        .value_kind:     by_value
      - .offset:         112
        .size:           4
        .value_kind:     by_value
      - .offset:         116
        .size:           4
        .value_kind:     by_value
      - .offset:         120
        .size:           4
        .value_kind:     by_value
      - .offset:         124
        .size:           4
        .value_kind:     by_value
      - .offset:         128
        .size:           4
        .value_kind:     by_value
      - .offset:         132
        .size:           4
        .value_kind:     by_value
      - .offset:         136
        .size:           4
        .value_kind:     by_value
      - .offset:         140
        .size:           4
        .value_kind:     by_value
      - .offset:         144
        .size:           4
        .value_kind:     by_value
      - .offset:         152
        .size:           8
        .value_kind:     by_value
      - .offset:         160
        .size:           4
        .value_kind:     by_value
      - .offset:         164
        .size:           4
        .value_kind:     by_value
      - .offset:         168
        .size:           8
        .value_kind:     by_value
      - .offset:         176
        .size:           4
        .value_kind:     by_value
      - .offset:         180
        .size:           4
        .value_kind:     by_value
      - .offset:         184
        .size:           4
        .value_kind:     by_value
      - .offset:         188
        .size:           4
        .value_kind:     by_value
      - .offset:         192
        .size:           4
        .value_kind:     by_value
      - .offset:         200
        .size:           8
        .value_kind:     by_value
      - .offset:         208
        .size:           4
        .value_kind:     hidden_block_count_x
      - .offset:         212
        .size:           4
        .value_kind:     hidden_block_count_y
      - .offset:         216
        .size:           4
        .value_kind:     hidden_block_count_z
      - .offset:         220
        .size:           2
        .value_kind:     hidden_group_size_x
      - .offset:         222
        .size:           2
        .value_kind:     hidden_group_size_y
      - .offset:         224
        .size:           2
        .value_kind:     hidden_group_size_z
      - .offset:         226
        .size:           2
        .value_kind:     hidden_remainder_x
      - .offset:         228
        .size:           2
        .value_kind:     hidden_remainder_y
      - .offset:         230
        .size:           2
        .value_kind:     hidden_remainder_z
      - .offset:         248
        .size:           8
        .value_kind:     hidden_global_offset_x
      - .offset:         256
        .size:           8
        .value_kind:     hidden_global_offset_y
      - .offset:         264
        .size:           8
        .value_kind:     hidden_global_offset_z
      - .offset:         272
        .size:           2
        .value_kind:     hidden_grid_dims
      - .offset:         288
        .size:           8
        .value_kind:     hidden_hostcall_buffer
    .group_segment_fixed_size: 0
    .kernarg_segment_align: 8
    .kernarg_segment_size: 464
    .language:       OpenCL C
    .language_version:
      - 2
      - 0
    .max_flat_workgroup_size: 256
    .name:           _ZL15flash_attn_tileILi96ELi96ELi8ELi8ELb1EEvPKcS1_S1_S1_S1_PKiPfP15HIP_vector_typeIfLj2EEffffjfiS5_IjLj3EEiiiiiiiiiiiliiliiiiil
    .private_segment_fixed_size: 16
    .sgpr_count:     36
    .sgpr_spill_count: 0
    .symbol:         _ZL15flash_attn_tileILi96ELi96ELi8ELi8ELb1EEvPKcS1_S1_S1_S1_PKiPfP15HIP_vector_typeIfLj2EEffffjfiS5_IjLj3EEiiiiiiiiiiiliiliiiiil.kd
    .uniform_work_group_size: 1
    .uses_dynamic_stack: false
    .vgpr_count:     40
    .vgpr_spill_count: 0
    .wavefront_size: 32
    .workgroup_processor_mode: 1
  - .args:
      - .address_space:  global
        .offset:         0
        .size:           8
        .value_kind:     global_buffer
      - .address_space:  global
        .offset:         8
        .size:           8
        .value_kind:     global_buffer
      - .address_space:  global
        .offset:         16
        .size:           8
        .value_kind:     global_buffer
      - .address_space:  global
        .offset:         24
        .size:           8
        .value_kind:     global_buffer
      - .address_space:  global
        .offset:         32
        .size:           8
        .value_kind:     global_buffer
      - .address_space:  global
        .offset:         40
        .size:           8
        .value_kind:     global_buffer
      - .address_space:  global
        .offset:         48
        .size:           8
        .value_kind:     global_buffer
      - .address_space:  global
        .offset:         56
        .size:           8
        .value_kind:     global_buffer
      - .offset:         64
        .size:           4
        .value_kind:     by_value
      - .offset:         68
        .size:           4
        .value_kind:     by_value
      - .offset:         72
        .size:           4
        .value_kind:     by_value
      - .offset:         76
        .size:           4
        .value_kind:     by_value
      - .offset:         80
        .size:           4
        .value_kind:     by_value
      - .offset:         84
        .size:           4
        .value_kind:     by_value
      - .offset:         88
        .size:           4
        .value_kind:     by_value
      - .offset:         92
        .size:           12
        .value_kind:     by_value
      - .offset:         104
        .size:           4
        .value_kind:     by_value
      - .offset:         108
        .size:           4
        .value_kind:     by_value
      - .offset:         112
        .size:           4
        .value_kind:     by_value
      - .offset:         116
        .size:           4
        .value_kind:     by_value
      - .offset:         120
        .size:           4
        .value_kind:     by_value
      - .offset:         124
        .size:           4
        .value_kind:     by_value
      - .offset:         128
        .size:           4
        .value_kind:     by_value
      - .offset:         132
        .size:           4
        .value_kind:     by_value
      - .offset:         136
        .size:           4
        .value_kind:     by_value
      - .offset:         140
        .size:           4
        .value_kind:     by_value
      - .offset:         144
        .size:           4
        .value_kind:     by_value
      - .offset:         152
        .size:           8
        .value_kind:     by_value
      - .offset:         160
        .size:           4
        .value_kind:     by_value
      - .offset:         164
        .size:           4
        .value_kind:     by_value
      - .offset:         168
        .size:           8
        .value_kind:     by_value
      - .offset:         176
        .size:           4
        .value_kind:     by_value
      - .offset:         180
        .size:           4
        .value_kind:     by_value
      - .offset:         184
        .size:           4
        .value_kind:     by_value
      - .offset:         188
        .size:           4
        .value_kind:     by_value
      - .offset:         192
        .size:           4
        .value_kind:     by_value
      - .offset:         200
        .size:           8
        .value_kind:     by_value
      - .offset:         208
        .size:           4
        .value_kind:     hidden_block_count_x
      - .offset:         212
        .size:           4
        .value_kind:     hidden_block_count_y
      - .offset:         216
        .size:           4
        .value_kind:     hidden_block_count_z
      - .offset:         220
        .size:           2
        .value_kind:     hidden_group_size_x
      - .offset:         222
        .size:           2
        .value_kind:     hidden_group_size_y
      - .offset:         224
        .size:           2
        .value_kind:     hidden_group_size_z
      - .offset:         226
        .size:           2
        .value_kind:     hidden_remainder_x
      - .offset:         228
        .size:           2
        .value_kind:     hidden_remainder_y
      - .offset:         230
        .size:           2
        .value_kind:     hidden_remainder_z
      - .offset:         248
        .size:           8
        .value_kind:     hidden_global_offset_x
      - .offset:         256
        .size:           8
        .value_kind:     hidden_global_offset_y
      - .offset:         264
        .size:           8
        .value_kind:     hidden_global_offset_z
      - .offset:         272
        .size:           2
        .value_kind:     hidden_grid_dims
      - .offset:         288
        .size:           8
        .value_kind:     hidden_hostcall_buffer
    .group_segment_fixed_size: 0
    .kernarg_segment_align: 8
    .kernarg_segment_size: 464
    .language:       OpenCL C
    .language_version:
      - 2
      - 0
    .max_flat_workgroup_size: 256
    .name:           _ZL15flash_attn_tileILi96ELi96ELi4ELi8ELb1EEvPKcS1_S1_S1_S1_PKiPfP15HIP_vector_typeIfLj2EEffffjfiS5_IjLj3EEiiiiiiiiiiiliiliiiiil
    .private_segment_fixed_size: 16
    .sgpr_count:     36
    .sgpr_spill_count: 0
    .symbol:         _ZL15flash_attn_tileILi96ELi96ELi4ELi8ELb1EEvPKcS1_S1_S1_S1_PKiPfP15HIP_vector_typeIfLj2EEffffjfiS5_IjLj3EEiiiiiiiiiiiliiliiiiil.kd
    .uniform_work_group_size: 1
    .uses_dynamic_stack: false
    .vgpr_count:     40
    .vgpr_spill_count: 0
    .wavefront_size: 32
    .workgroup_processor_mode: 1
  - .args:
      - .address_space:  global
        .offset:         0
        .size:           8
        .value_kind:     global_buffer
      - .address_space:  global
        .offset:         8
        .size:           8
        .value_kind:     global_buffer
      - .address_space:  global
        .offset:         16
        .size:           8
        .value_kind:     global_buffer
      - .address_space:  global
        .offset:         24
        .size:           8
        .value_kind:     global_buffer
      - .address_space:  global
        .offset:         32
        .size:           8
        .value_kind:     global_buffer
      - .address_space:  global
        .offset:         40
        .size:           8
        .value_kind:     global_buffer
      - .address_space:  global
        .offset:         48
        .size:           8
        .value_kind:     global_buffer
      - .address_space:  global
        .offset:         56
        .size:           8
        .value_kind:     global_buffer
      - .offset:         64
        .size:           4
        .value_kind:     by_value
      - .offset:         68
        .size:           4
        .value_kind:     by_value
      - .offset:         72
        .size:           4
        .value_kind:     by_value
      - .offset:         76
        .size:           4
        .value_kind:     by_value
      - .offset:         80
        .size:           4
        .value_kind:     by_value
      - .offset:         84
        .size:           4
        .value_kind:     by_value
      - .offset:         88
        .size:           4
        .value_kind:     by_value
      - .offset:         92
        .size:           12
        .value_kind:     by_value
      - .offset:         104
        .size:           4
        .value_kind:     by_value
      - .offset:         108
        .size:           4
        .value_kind:     by_value
      - .offset:         112
        .size:           4
        .value_kind:     by_value
      - .offset:         116
        .size:           4
        .value_kind:     by_value
      - .offset:         120
        .size:           4
        .value_kind:     by_value
      - .offset:         124
        .size:           4
        .value_kind:     by_value
      - .offset:         128
        .size:           4
        .value_kind:     by_value
      - .offset:         132
        .size:           4
        .value_kind:     by_value
      - .offset:         136
        .size:           4
        .value_kind:     by_value
      - .offset:         140
        .size:           4
        .value_kind:     by_value
      - .offset:         144
        .size:           4
        .value_kind:     by_value
      - .offset:         152
        .size:           8
        .value_kind:     by_value
      - .offset:         160
        .size:           4
        .value_kind:     by_value
      - .offset:         164
        .size:           4
        .value_kind:     by_value
      - .offset:         168
        .size:           8
        .value_kind:     by_value
      - .offset:         176
        .size:           4
        .value_kind:     by_value
      - .offset:         180
        .size:           4
        .value_kind:     by_value
      - .offset:         184
        .size:           4
        .value_kind:     by_value
      - .offset:         188
        .size:           4
        .value_kind:     by_value
      - .offset:         192
        .size:           4
        .value_kind:     by_value
      - .offset:         200
        .size:           8
        .value_kind:     by_value
      - .offset:         208
        .size:           4
        .value_kind:     hidden_block_count_x
      - .offset:         212
        .size:           4
        .value_kind:     hidden_block_count_y
      - .offset:         216
        .size:           4
        .value_kind:     hidden_block_count_z
      - .offset:         220
        .size:           2
        .value_kind:     hidden_group_size_x
      - .offset:         222
        .size:           2
        .value_kind:     hidden_group_size_y
      - .offset:         224
        .size:           2
        .value_kind:     hidden_group_size_z
      - .offset:         226
        .size:           2
        .value_kind:     hidden_remainder_x
      - .offset:         228
        .size:           2
        .value_kind:     hidden_remainder_y
      - .offset:         230
        .size:           2
        .value_kind:     hidden_remainder_z
      - .offset:         248
        .size:           8
        .value_kind:     hidden_global_offset_x
      - .offset:         256
        .size:           8
        .value_kind:     hidden_global_offset_y
      - .offset:         264
        .size:           8
        .value_kind:     hidden_global_offset_z
      - .offset:         272
        .size:           2
        .value_kind:     hidden_grid_dims
      - .offset:         288
        .size:           8
        .value_kind:     hidden_hostcall_buffer
    .group_segment_fixed_size: 0
    .kernarg_segment_align: 8
    .kernarg_segment_size: 464
    .language:       OpenCL C
    .language_version:
      - 2
      - 0
    .max_flat_workgroup_size: 256
    .name:           _ZL15flash_attn_tileILi96ELi96ELi2ELi8ELb1EEvPKcS1_S1_S1_S1_PKiPfP15HIP_vector_typeIfLj2EEffffjfiS5_IjLj3EEiiiiiiiiiiiliiliiiiil
    .private_segment_fixed_size: 16
    .sgpr_count:     36
    .sgpr_spill_count: 0
    .symbol:         _ZL15flash_attn_tileILi96ELi96ELi2ELi8ELb1EEvPKcS1_S1_S1_S1_PKiPfP15HIP_vector_typeIfLj2EEffffjfiS5_IjLj3EEiiiiiiiiiiiliiliiiiil.kd
    .uniform_work_group_size: 1
    .uses_dynamic_stack: false
    .vgpr_count:     40
    .vgpr_spill_count: 0
    .wavefront_size: 32
    .workgroup_processor_mode: 1
  - .args:
      - .address_space:  global
        .offset:         0
        .size:           8
        .value_kind:     global_buffer
      - .address_space:  global
        .offset:         8
        .size:           8
        .value_kind:     global_buffer
      - .address_space:  global
        .offset:         16
        .size:           8
        .value_kind:     global_buffer
      - .address_space:  global
        .offset:         24
        .size:           8
        .value_kind:     global_buffer
      - .address_space:  global
        .offset:         32
        .size:           8
        .value_kind:     global_buffer
      - .address_space:  global
        .offset:         40
        .size:           8
        .value_kind:     global_buffer
      - .address_space:  global
        .offset:         48
        .size:           8
        .value_kind:     global_buffer
      - .address_space:  global
        .offset:         56
        .size:           8
        .value_kind:     global_buffer
      - .offset:         64
        .size:           4
        .value_kind:     by_value
      - .offset:         68
        .size:           4
        .value_kind:     by_value
      - .offset:         72
        .size:           4
        .value_kind:     by_value
      - .offset:         76
        .size:           4
        .value_kind:     by_value
      - .offset:         80
        .size:           4
        .value_kind:     by_value
      - .offset:         84
        .size:           4
        .value_kind:     by_value
      - .offset:         88
        .size:           4
        .value_kind:     by_value
      - .offset:         92
        .size:           12
        .value_kind:     by_value
      - .offset:         104
        .size:           4
        .value_kind:     by_value
      - .offset:         108
        .size:           4
        .value_kind:     by_value
      - .offset:         112
        .size:           4
        .value_kind:     by_value
      - .offset:         116
        .size:           4
        .value_kind:     by_value
      - .offset:         120
        .size:           4
        .value_kind:     by_value
      - .offset:         124
        .size:           4
        .value_kind:     by_value
      - .offset:         128
        .size:           4
        .value_kind:     by_value
      - .offset:         132
        .size:           4
        .value_kind:     by_value
      - .offset:         136
        .size:           4
        .value_kind:     by_value
      - .offset:         140
        .size:           4
        .value_kind:     by_value
      - .offset:         144
        .size:           4
        .value_kind:     by_value
      - .offset:         152
        .size:           8
        .value_kind:     by_value
      - .offset:         160
        .size:           4
        .value_kind:     by_value
      - .offset:         164
        .size:           4
        .value_kind:     by_value
      - .offset:         168
        .size:           8
        .value_kind:     by_value
      - .offset:         176
        .size:           4
        .value_kind:     by_value
      - .offset:         180
        .size:           4
        .value_kind:     by_value
      - .offset:         184
        .size:           4
        .value_kind:     by_value
      - .offset:         188
        .size:           4
        .value_kind:     by_value
      - .offset:         192
        .size:           4
        .value_kind:     by_value
      - .offset:         200
        .size:           8
        .value_kind:     by_value
      - .offset:         208
        .size:           4
        .value_kind:     hidden_block_count_x
      - .offset:         212
        .size:           4
        .value_kind:     hidden_block_count_y
      - .offset:         216
        .size:           4
        .value_kind:     hidden_block_count_z
      - .offset:         220
        .size:           2
        .value_kind:     hidden_group_size_x
      - .offset:         222
        .size:           2
        .value_kind:     hidden_group_size_y
      - .offset:         224
        .size:           2
        .value_kind:     hidden_group_size_z
      - .offset:         226
        .size:           2
        .value_kind:     hidden_remainder_x
      - .offset:         228
        .size:           2
        .value_kind:     hidden_remainder_y
      - .offset:         230
        .size:           2
        .value_kind:     hidden_remainder_z
      - .offset:         248
        .size:           8
        .value_kind:     hidden_global_offset_x
      - .offset:         256
        .size:           8
        .value_kind:     hidden_global_offset_y
      - .offset:         264
        .size:           8
        .value_kind:     hidden_global_offset_z
      - .offset:         272
        .size:           2
        .value_kind:     hidden_grid_dims
      - .offset:         288
        .size:           8
        .value_kind:     hidden_hostcall_buffer
    .group_segment_fixed_size: 0
    .kernarg_segment_align: 8
    .kernarg_segment_size: 464
    .language:       OpenCL C
    .language_version:
      - 2
      - 0
    .max_flat_workgroup_size: 256
    .name:           _ZL15flash_attn_tileILi96ELi96ELi1ELi8ELb1EEvPKcS1_S1_S1_S1_PKiPfP15HIP_vector_typeIfLj2EEffffjfiS5_IjLj3EEiiiiiiiiiiiliiliiiiil
    .private_segment_fixed_size: 16
    .sgpr_count:     36
    .sgpr_spill_count: 0
    .symbol:         _ZL15flash_attn_tileILi96ELi96ELi1ELi8ELb1EEvPKcS1_S1_S1_S1_PKiPfP15HIP_vector_typeIfLj2EEffffjfiS5_IjLj3EEiiiiiiiiiiiliiliiiiil.kd
    .uniform_work_group_size: 1
    .uses_dynamic_stack: false
    .vgpr_count:     40
    .vgpr_spill_count: 0
    .wavefront_size: 32
    .workgroup_processor_mode: 1
  - .args:
      - .address_space:  global
        .offset:         0
        .size:           8
        .value_kind:     global_buffer
      - .address_space:  global
        .offset:         8
        .size:           8
        .value_kind:     global_buffer
      - .address_space:  global
        .offset:         16
        .size:           8
        .value_kind:     global_buffer
      - .address_space:  global
        .offset:         24
        .size:           8
        .value_kind:     global_buffer
      - .address_space:  global
        .offset:         32
        .size:           8
        .value_kind:     global_buffer
      - .address_space:  global
        .offset:         40
        .size:           8
        .value_kind:     global_buffer
      - .address_space:  global
        .offset:         48
        .size:           8
        .value_kind:     global_buffer
      - .address_space:  global
        .offset:         56
        .size:           8
        .value_kind:     global_buffer
      - .offset:         64
        .size:           4
        .value_kind:     by_value
      - .offset:         68
        .size:           4
        .value_kind:     by_value
      - .offset:         72
        .size:           4
        .value_kind:     by_value
      - .offset:         76
        .size:           4
        .value_kind:     by_value
      - .offset:         80
        .size:           4
        .value_kind:     by_value
      - .offset:         84
        .size:           4
        .value_kind:     by_value
      - .offset:         88
        .size:           4
        .value_kind:     by_value
      - .offset:         92
        .size:           12
        .value_kind:     by_value
      - .offset:         104
        .size:           4
        .value_kind:     by_value
      - .offset:         108
        .size:           4
        .value_kind:     by_value
      - .offset:         112
        .size:           4
        .value_kind:     by_value
      - .offset:         116
        .size:           4
        .value_kind:     by_value
      - .offset:         120
        .size:           4
        .value_kind:     by_value
      - .offset:         124
        .size:           4
        .value_kind:     by_value
      - .offset:         128
        .size:           4
        .value_kind:     by_value
      - .offset:         132
        .size:           4
        .value_kind:     by_value
      - .offset:         136
        .size:           4
        .value_kind:     by_value
      - .offset:         140
        .size:           4
        .value_kind:     by_value
      - .offset:         144
        .size:           4
        .value_kind:     by_value
      - .offset:         152
        .size:           8
        .value_kind:     by_value
      - .offset:         160
        .size:           4
        .value_kind:     by_value
      - .offset:         164
        .size:           4
        .value_kind:     by_value
      - .offset:         168
        .size:           8
        .value_kind:     by_value
      - .offset:         176
        .size:           4
        .value_kind:     by_value
      - .offset:         180
        .size:           4
        .value_kind:     by_value
      - .offset:         184
        .size:           4
        .value_kind:     by_value
      - .offset:         188
        .size:           4
        .value_kind:     by_value
      - .offset:         192
        .size:           4
        .value_kind:     by_value
      - .offset:         200
        .size:           8
        .value_kind:     by_value
      - .offset:         208
        .size:           4
        .value_kind:     hidden_block_count_x
      - .offset:         212
        .size:           4
        .value_kind:     hidden_block_count_y
      - .offset:         216
        .size:           4
        .value_kind:     hidden_block_count_z
      - .offset:         220
        .size:           2
        .value_kind:     hidden_group_size_x
      - .offset:         222
        .size:           2
        .value_kind:     hidden_group_size_y
      - .offset:         224
        .size:           2
        .value_kind:     hidden_group_size_z
      - .offset:         226
        .size:           2
        .value_kind:     hidden_remainder_x
      - .offset:         228
        .size:           2
        .value_kind:     hidden_remainder_y
      - .offset:         230
        .size:           2
        .value_kind:     hidden_remainder_z
      - .offset:         248
        .size:           8
        .value_kind:     hidden_global_offset_x
      - .offset:         256
        .size:           8
        .value_kind:     hidden_global_offset_y
      - .offset:         264
        .size:           8
        .value_kind:     hidden_global_offset_z
      - .offset:         272
        .size:           2
        .value_kind:     hidden_grid_dims
      - .offset:         288
        .size:           8
        .value_kind:     hidden_hostcall_buffer
    .group_segment_fixed_size: 0
    .kernarg_segment_align: 8
    .kernarg_segment_size: 464
    .language:       OpenCL C
    .language_version:
      - 2
      - 0
    .max_flat_workgroup_size: 256
    .name:           _ZL15flash_attn_tileILi96ELi96ELi16ELi4ELb1EEvPKcS1_S1_S1_S1_PKiPfP15HIP_vector_typeIfLj2EEffffjfiS5_IjLj3EEiiiiiiiiiiiliiliiiiil
    .private_segment_fixed_size: 16
    .sgpr_count:     36
    .sgpr_spill_count: 0
    .symbol:         _ZL15flash_attn_tileILi96ELi96ELi16ELi4ELb1EEvPKcS1_S1_S1_S1_PKiPfP15HIP_vector_typeIfLj2EEffffjfiS5_IjLj3EEiiiiiiiiiiiliiliiiiil.kd
    .uniform_work_group_size: 1
    .uses_dynamic_stack: false
    .vgpr_count:     40
    .vgpr_spill_count: 0
    .wavefront_size: 32
    .workgroup_processor_mode: 1
  - .args:
      - .address_space:  global
        .offset:         0
        .size:           8
        .value_kind:     global_buffer
      - .address_space:  global
        .offset:         8
        .size:           8
        .value_kind:     global_buffer
      - .address_space:  global
        .offset:         16
        .size:           8
        .value_kind:     global_buffer
      - .address_space:  global
        .offset:         24
        .size:           8
        .value_kind:     global_buffer
      - .address_space:  global
        .offset:         32
        .size:           8
        .value_kind:     global_buffer
      - .address_space:  global
        .offset:         40
        .size:           8
        .value_kind:     global_buffer
      - .address_space:  global
        .offset:         48
        .size:           8
        .value_kind:     global_buffer
      - .address_space:  global
        .offset:         56
        .size:           8
        .value_kind:     global_buffer
      - .offset:         64
        .size:           4
        .value_kind:     by_value
      - .offset:         68
        .size:           4
        .value_kind:     by_value
      - .offset:         72
        .size:           4
        .value_kind:     by_value
      - .offset:         76
        .size:           4
        .value_kind:     by_value
      - .offset:         80
        .size:           4
        .value_kind:     by_value
      - .offset:         84
        .size:           4
        .value_kind:     by_value
      - .offset:         88
        .size:           4
        .value_kind:     by_value
      - .offset:         92
        .size:           12
        .value_kind:     by_value
      - .offset:         104
        .size:           4
        .value_kind:     by_value
      - .offset:         108
        .size:           4
        .value_kind:     by_value
      - .offset:         112
        .size:           4
        .value_kind:     by_value
      - .offset:         116
        .size:           4
        .value_kind:     by_value
      - .offset:         120
        .size:           4
        .value_kind:     by_value
      - .offset:         124
        .size:           4
        .value_kind:     by_value
      - .offset:         128
        .size:           4
        .value_kind:     by_value
      - .offset:         132
        .size:           4
        .value_kind:     by_value
      - .offset:         136
        .size:           4
        .value_kind:     by_value
      - .offset:         140
        .size:           4
        .value_kind:     by_value
      - .offset:         144
        .size:           4
        .value_kind:     by_value
      - .offset:         152
        .size:           8
        .value_kind:     by_value
      - .offset:         160
        .size:           4
        .value_kind:     by_value
      - .offset:         164
        .size:           4
        .value_kind:     by_value
      - .offset:         168
        .size:           8
        .value_kind:     by_value
      - .offset:         176
        .size:           4
        .value_kind:     by_value
      - .offset:         180
        .size:           4
        .value_kind:     by_value
      - .offset:         184
        .size:           4
        .value_kind:     by_value
      - .offset:         188
        .size:           4
        .value_kind:     by_value
      - .offset:         192
        .size:           4
        .value_kind:     by_value
      - .offset:         200
        .size:           8
        .value_kind:     by_value
      - .offset:         208
        .size:           4
        .value_kind:     hidden_block_count_x
      - .offset:         212
        .size:           4
        .value_kind:     hidden_block_count_y
      - .offset:         216
        .size:           4
        .value_kind:     hidden_block_count_z
      - .offset:         220
        .size:           2
        .value_kind:     hidden_group_size_x
      - .offset:         222
        .size:           2
        .value_kind:     hidden_group_size_y
      - .offset:         224
        .size:           2
        .value_kind:     hidden_group_size_z
      - .offset:         226
        .size:           2
        .value_kind:     hidden_remainder_x
      - .offset:         228
        .size:           2
        .value_kind:     hidden_remainder_y
      - .offset:         230
        .size:           2
        .value_kind:     hidden_remainder_z
      - .offset:         248
        .size:           8
        .value_kind:     hidden_global_offset_x
      - .offset:         256
        .size:           8
        .value_kind:     hidden_global_offset_y
      - .offset:         264
        .size:           8
        .value_kind:     hidden_global_offset_z
      - .offset:         272
        .size:           2
        .value_kind:     hidden_grid_dims
      - .offset:         288
        .size:           8
        .value_kind:     hidden_hostcall_buffer
    .group_segment_fixed_size: 0
    .kernarg_segment_align: 8
    .kernarg_segment_size: 464
    .language:       OpenCL C
    .language_version:
      - 2
      - 0
    .max_flat_workgroup_size: 256
    .name:           _ZL15flash_attn_tileILi96ELi96ELi8ELi4ELb1EEvPKcS1_S1_S1_S1_PKiPfP15HIP_vector_typeIfLj2EEffffjfiS5_IjLj3EEiiiiiiiiiiiliiliiiiil
    .private_segment_fixed_size: 16
    .sgpr_count:     36
    .sgpr_spill_count: 0
    .symbol:         _ZL15flash_attn_tileILi96ELi96ELi8ELi4ELb1EEvPKcS1_S1_S1_S1_PKiPfP15HIP_vector_typeIfLj2EEffffjfiS5_IjLj3EEiiiiiiiiiiiliiliiiiil.kd
    .uniform_work_group_size: 1
    .uses_dynamic_stack: false
    .vgpr_count:     40
    .vgpr_spill_count: 0
    .wavefront_size: 32
    .workgroup_processor_mode: 1
  - .args:
      - .address_space:  global
        .offset:         0
        .size:           8
        .value_kind:     global_buffer
      - .address_space:  global
        .offset:         8
        .size:           8
        .value_kind:     global_buffer
      - .address_space:  global
        .offset:         16
        .size:           8
        .value_kind:     global_buffer
      - .address_space:  global
        .offset:         24
        .size:           8
        .value_kind:     global_buffer
      - .address_space:  global
        .offset:         32
        .size:           8
        .value_kind:     global_buffer
      - .address_space:  global
        .offset:         40
        .size:           8
        .value_kind:     global_buffer
      - .address_space:  global
        .offset:         48
        .size:           8
        .value_kind:     global_buffer
      - .address_space:  global
        .offset:         56
        .size:           8
        .value_kind:     global_buffer
      - .offset:         64
        .size:           4
        .value_kind:     by_value
      - .offset:         68
        .size:           4
        .value_kind:     by_value
      - .offset:         72
        .size:           4
        .value_kind:     by_value
      - .offset:         76
        .size:           4
        .value_kind:     by_value
      - .offset:         80
        .size:           4
        .value_kind:     by_value
      - .offset:         84
        .size:           4
        .value_kind:     by_value
      - .offset:         88
        .size:           4
        .value_kind:     by_value
      - .offset:         92
        .size:           12
        .value_kind:     by_value
      - .offset:         104
        .size:           4
        .value_kind:     by_value
      - .offset:         108
        .size:           4
        .value_kind:     by_value
      - .offset:         112
        .size:           4
        .value_kind:     by_value
      - .offset:         116
        .size:           4
        .value_kind:     by_value
      - .offset:         120
        .size:           4
        .value_kind:     by_value
      - .offset:         124
        .size:           4
        .value_kind:     by_value
      - .offset:         128
        .size:           4
        .value_kind:     by_value
      - .offset:         132
        .size:           4
        .value_kind:     by_value
      - .offset:         136
        .size:           4
        .value_kind:     by_value
      - .offset:         140
        .size:           4
        .value_kind:     by_value
      - .offset:         144
        .size:           4
        .value_kind:     by_value
      - .offset:         152
        .size:           8
        .value_kind:     by_value
      - .offset:         160
        .size:           4
        .value_kind:     by_value
      - .offset:         164
        .size:           4
        .value_kind:     by_value
      - .offset:         168
        .size:           8
        .value_kind:     by_value
      - .offset:         176
        .size:           4
        .value_kind:     by_value
      - .offset:         180
        .size:           4
        .value_kind:     by_value
      - .offset:         184
        .size:           4
        .value_kind:     by_value
      - .offset:         188
        .size:           4
        .value_kind:     by_value
      - .offset:         192
        .size:           4
        .value_kind:     by_value
      - .offset:         200
        .size:           8
        .value_kind:     by_value
      - .offset:         208
        .size:           4
        .value_kind:     hidden_block_count_x
      - .offset:         212
        .size:           4
        .value_kind:     hidden_block_count_y
      - .offset:         216
        .size:           4
        .value_kind:     hidden_block_count_z
      - .offset:         220
        .size:           2
        .value_kind:     hidden_group_size_x
      - .offset:         222
        .size:           2
        .value_kind:     hidden_group_size_y
      - .offset:         224
        .size:           2
        .value_kind:     hidden_group_size_z
      - .offset:         226
        .size:           2
        .value_kind:     hidden_remainder_x
      - .offset:         228
        .size:           2
        .value_kind:     hidden_remainder_y
      - .offset:         230
        .size:           2
        .value_kind:     hidden_remainder_z
      - .offset:         248
        .size:           8
        .value_kind:     hidden_global_offset_x
      - .offset:         256
        .size:           8
        .value_kind:     hidden_global_offset_y
      - .offset:         264
        .size:           8
        .value_kind:     hidden_global_offset_z
      - .offset:         272
        .size:           2
        .value_kind:     hidden_grid_dims
      - .offset:         288
        .size:           8
        .value_kind:     hidden_hostcall_buffer
    .group_segment_fixed_size: 0
    .kernarg_segment_align: 8
    .kernarg_segment_size: 464
    .language:       OpenCL C
    .language_version:
      - 2
      - 0
    .max_flat_workgroup_size: 256
    .name:           _ZL15flash_attn_tileILi96ELi96ELi4ELi4ELb1EEvPKcS1_S1_S1_S1_PKiPfP15HIP_vector_typeIfLj2EEffffjfiS5_IjLj3EEiiiiiiiiiiiliiliiiiil
    .private_segment_fixed_size: 16
    .sgpr_count:     36
    .sgpr_spill_count: 0
    .symbol:         _ZL15flash_attn_tileILi96ELi96ELi4ELi4ELb1EEvPKcS1_S1_S1_S1_PKiPfP15HIP_vector_typeIfLj2EEffffjfiS5_IjLj3EEiiiiiiiiiiiliiliiiiil.kd
    .uniform_work_group_size: 1
    .uses_dynamic_stack: false
    .vgpr_count:     40
    .vgpr_spill_count: 0
    .wavefront_size: 32
    .workgroup_processor_mode: 1
  - .args:
      - .address_space:  global
        .offset:         0
        .size:           8
        .value_kind:     global_buffer
      - .address_space:  global
        .offset:         8
        .size:           8
        .value_kind:     global_buffer
      - .address_space:  global
        .offset:         16
        .size:           8
        .value_kind:     global_buffer
      - .address_space:  global
        .offset:         24
        .size:           8
        .value_kind:     global_buffer
      - .address_space:  global
        .offset:         32
        .size:           8
        .value_kind:     global_buffer
      - .address_space:  global
        .offset:         40
        .size:           8
        .value_kind:     global_buffer
      - .address_space:  global
        .offset:         48
        .size:           8
        .value_kind:     global_buffer
      - .address_space:  global
        .offset:         56
        .size:           8
        .value_kind:     global_buffer
      - .offset:         64
        .size:           4
        .value_kind:     by_value
      - .offset:         68
        .size:           4
        .value_kind:     by_value
      - .offset:         72
        .size:           4
        .value_kind:     by_value
      - .offset:         76
        .size:           4
        .value_kind:     by_value
      - .offset:         80
        .size:           4
        .value_kind:     by_value
      - .offset:         84
        .size:           4
        .value_kind:     by_value
      - .offset:         88
        .size:           4
        .value_kind:     by_value
      - .offset:         92
        .size:           12
        .value_kind:     by_value
      - .offset:         104
        .size:           4
        .value_kind:     by_value
      - .offset:         108
        .size:           4
        .value_kind:     by_value
      - .offset:         112
        .size:           4
        .value_kind:     by_value
      - .offset:         116
        .size:           4
        .value_kind:     by_value
      - .offset:         120
        .size:           4
        .value_kind:     by_value
      - .offset:         124
        .size:           4
        .value_kind:     by_value
      - .offset:         128
        .size:           4
        .value_kind:     by_value
      - .offset:         132
        .size:           4
        .value_kind:     by_value
      - .offset:         136
        .size:           4
        .value_kind:     by_value
      - .offset:         140
        .size:           4
        .value_kind:     by_value
      - .offset:         144
        .size:           4
        .value_kind:     by_value
      - .offset:         152
        .size:           8
        .value_kind:     by_value
      - .offset:         160
        .size:           4
        .value_kind:     by_value
      - .offset:         164
        .size:           4
        .value_kind:     by_value
      - .offset:         168
        .size:           8
        .value_kind:     by_value
      - .offset:         176
        .size:           4
        .value_kind:     by_value
      - .offset:         180
        .size:           4
        .value_kind:     by_value
      - .offset:         184
        .size:           4
        .value_kind:     by_value
      - .offset:         188
        .size:           4
        .value_kind:     by_value
      - .offset:         192
        .size:           4
        .value_kind:     by_value
      - .offset:         200
        .size:           8
        .value_kind:     by_value
      - .offset:         208
        .size:           4
        .value_kind:     hidden_block_count_x
      - .offset:         212
        .size:           4
        .value_kind:     hidden_block_count_y
      - .offset:         216
        .size:           4
        .value_kind:     hidden_block_count_z
      - .offset:         220
        .size:           2
        .value_kind:     hidden_group_size_x
      - .offset:         222
        .size:           2
        .value_kind:     hidden_group_size_y
      - .offset:         224
        .size:           2
        .value_kind:     hidden_group_size_z
      - .offset:         226
        .size:           2
        .value_kind:     hidden_remainder_x
      - .offset:         228
        .size:           2
        .value_kind:     hidden_remainder_y
      - .offset:         230
        .size:           2
        .value_kind:     hidden_remainder_z
      - .offset:         248
        .size:           8
        .value_kind:     hidden_global_offset_x
      - .offset:         256
        .size:           8
        .value_kind:     hidden_global_offset_y
      - .offset:         264
        .size:           8
        .value_kind:     hidden_global_offset_z
      - .offset:         272
        .size:           2
        .value_kind:     hidden_grid_dims
      - .offset:         288
        .size:           8
        .value_kind:     hidden_hostcall_buffer
    .group_segment_fixed_size: 0
    .kernarg_segment_align: 8
    .kernarg_segment_size: 464
    .language:       OpenCL C
    .language_version:
      - 2
      - 0
    .max_flat_workgroup_size: 256
    .name:           _ZL15flash_attn_tileILi96ELi96ELi2ELi4ELb1EEvPKcS1_S1_S1_S1_PKiPfP15HIP_vector_typeIfLj2EEffffjfiS5_IjLj3EEiiiiiiiiiiiliiliiiiil
    .private_segment_fixed_size: 16
    .sgpr_count:     36
    .sgpr_spill_count: 0
    .symbol:         _ZL15flash_attn_tileILi96ELi96ELi2ELi4ELb1EEvPKcS1_S1_S1_S1_PKiPfP15HIP_vector_typeIfLj2EEffffjfiS5_IjLj3EEiiiiiiiiiiiliiliiiiil.kd
    .uniform_work_group_size: 1
    .uses_dynamic_stack: false
    .vgpr_count:     40
    .vgpr_spill_count: 0
    .wavefront_size: 32
    .workgroup_processor_mode: 1
  - .args:
      - .address_space:  global
        .offset:         0
        .size:           8
        .value_kind:     global_buffer
      - .address_space:  global
        .offset:         8
        .size:           8
        .value_kind:     global_buffer
      - .address_space:  global
        .offset:         16
        .size:           8
        .value_kind:     global_buffer
      - .address_space:  global
        .offset:         24
        .size:           8
        .value_kind:     global_buffer
      - .address_space:  global
        .offset:         32
        .size:           8
        .value_kind:     global_buffer
      - .address_space:  global
        .offset:         40
        .size:           8
        .value_kind:     global_buffer
      - .address_space:  global
        .offset:         48
        .size:           8
        .value_kind:     global_buffer
      - .address_space:  global
        .offset:         56
        .size:           8
        .value_kind:     global_buffer
      - .offset:         64
        .size:           4
        .value_kind:     by_value
      - .offset:         68
        .size:           4
        .value_kind:     by_value
      - .offset:         72
        .size:           4
        .value_kind:     by_value
      - .offset:         76
        .size:           4
        .value_kind:     by_value
      - .offset:         80
        .size:           4
        .value_kind:     by_value
      - .offset:         84
        .size:           4
        .value_kind:     by_value
      - .offset:         88
        .size:           4
        .value_kind:     by_value
      - .offset:         92
        .size:           12
        .value_kind:     by_value
      - .offset:         104
        .size:           4
        .value_kind:     by_value
      - .offset:         108
        .size:           4
        .value_kind:     by_value
      - .offset:         112
        .size:           4
        .value_kind:     by_value
      - .offset:         116
        .size:           4
        .value_kind:     by_value
      - .offset:         120
        .size:           4
        .value_kind:     by_value
      - .offset:         124
        .size:           4
        .value_kind:     by_value
      - .offset:         128
        .size:           4
        .value_kind:     by_value
      - .offset:         132
        .size:           4
        .value_kind:     by_value
      - .offset:         136
        .size:           4
        .value_kind:     by_value
      - .offset:         140
        .size:           4
        .value_kind:     by_value
      - .offset:         144
        .size:           4
        .value_kind:     by_value
      - .offset:         152
        .size:           8
        .value_kind:     by_value
      - .offset:         160
        .size:           4
        .value_kind:     by_value
      - .offset:         164
        .size:           4
        .value_kind:     by_value
      - .offset:         168
        .size:           8
        .value_kind:     by_value
      - .offset:         176
        .size:           4
        .value_kind:     by_value
      - .offset:         180
        .size:           4
        .value_kind:     by_value
      - .offset:         184
        .size:           4
        .value_kind:     by_value
      - .offset:         188
        .size:           4
        .value_kind:     by_value
      - .offset:         192
        .size:           4
        .value_kind:     by_value
      - .offset:         200
        .size:           8
        .value_kind:     by_value
      - .offset:         208
        .size:           4
        .value_kind:     hidden_block_count_x
      - .offset:         212
        .size:           4
        .value_kind:     hidden_block_count_y
      - .offset:         216
        .size:           4
        .value_kind:     hidden_block_count_z
      - .offset:         220
        .size:           2
        .value_kind:     hidden_group_size_x
      - .offset:         222
        .size:           2
        .value_kind:     hidden_group_size_y
      - .offset:         224
        .size:           2
        .value_kind:     hidden_group_size_z
      - .offset:         226
        .size:           2
        .value_kind:     hidden_remainder_x
      - .offset:         228
        .size:           2
        .value_kind:     hidden_remainder_y
      - .offset:         230
        .size:           2
        .value_kind:     hidden_remainder_z
      - .offset:         248
        .size:           8
        .value_kind:     hidden_global_offset_x
      - .offset:         256
        .size:           8
        .value_kind:     hidden_global_offset_y
      - .offset:         264
        .size:           8
        .value_kind:     hidden_global_offset_z
      - .offset:         272
        .size:           2
        .value_kind:     hidden_grid_dims
      - .offset:         288
        .size:           8
        .value_kind:     hidden_hostcall_buffer
    .group_segment_fixed_size: 0
    .kernarg_segment_align: 8
    .kernarg_segment_size: 464
    .language:       OpenCL C
    .language_version:
      - 2
      - 0
    .max_flat_workgroup_size: 128
    .name:           _ZL15flash_attn_tileILi96ELi96ELi1ELi4ELb1EEvPKcS1_S1_S1_S1_PKiPfP15HIP_vector_typeIfLj2EEffffjfiS5_IjLj3EEiiiiiiiiiiiliiliiiiil
    .private_segment_fixed_size: 16
    .sgpr_count:     36
    .sgpr_spill_count: 0
    .symbol:         _ZL15flash_attn_tileILi96ELi96ELi1ELi4ELb1EEvPKcS1_S1_S1_S1_PKiPfP15HIP_vector_typeIfLj2EEffffjfiS5_IjLj3EEiiiiiiiiiiiliiliiiiil.kd
    .uniform_work_group_size: 1
    .uses_dynamic_stack: false
    .vgpr_count:     40
    .vgpr_spill_count: 0
    .wavefront_size: 32
    .workgroup_processor_mode: 1
  - .args:
      - .address_space:  global
        .offset:         0
        .size:           8
        .value_kind:     global_buffer
      - .address_space:  global
        .offset:         8
        .size:           8
        .value_kind:     global_buffer
      - .address_space:  global
        .offset:         16
        .size:           8
        .value_kind:     global_buffer
      - .address_space:  global
        .offset:         24
        .size:           8
        .value_kind:     global_buffer
      - .address_space:  global
        .offset:         32
        .size:           8
        .value_kind:     global_buffer
      - .address_space:  global
        .offset:         40
        .size:           8
        .value_kind:     global_buffer
      - .address_space:  global
        .offset:         48
        .size:           8
        .value_kind:     global_buffer
      - .address_space:  global
        .offset:         56
        .size:           8
        .value_kind:     global_buffer
      - .offset:         64
        .size:           4
        .value_kind:     by_value
      - .offset:         68
        .size:           4
        .value_kind:     by_value
      - .offset:         72
        .size:           4
        .value_kind:     by_value
      - .offset:         76
        .size:           4
        .value_kind:     by_value
      - .offset:         80
        .size:           4
        .value_kind:     by_value
      - .offset:         84
        .size:           4
        .value_kind:     by_value
      - .offset:         88
        .size:           4
        .value_kind:     by_value
      - .offset:         92
        .size:           12
        .value_kind:     by_value
      - .offset:         104
        .size:           4
        .value_kind:     by_value
      - .offset:         108
        .size:           4
        .value_kind:     by_value
      - .offset:         112
        .size:           4
        .value_kind:     by_value
      - .offset:         116
        .size:           4
        .value_kind:     by_value
      - .offset:         120
        .size:           4
        .value_kind:     by_value
      - .offset:         124
        .size:           4
        .value_kind:     by_value
      - .offset:         128
        .size:           4
        .value_kind:     by_value
      - .offset:         132
        .size:           4
        .value_kind:     by_value
      - .offset:         136
        .size:           4
        .value_kind:     by_value
      - .offset:         140
        .size:           4
        .value_kind:     by_value
      - .offset:         144
        .size:           4
        .value_kind:     by_value
      - .offset:         152
        .size:           8
        .value_kind:     by_value
      - .offset:         160
        .size:           4
        .value_kind:     by_value
      - .offset:         164
        .size:           4
        .value_kind:     by_value
      - .offset:         168
        .size:           8
        .value_kind:     by_value
      - .offset:         176
        .size:           4
        .value_kind:     by_value
      - .offset:         180
        .size:           4
        .value_kind:     by_value
      - .offset:         184
        .size:           4
        .value_kind:     by_value
      - .offset:         188
        .size:           4
        .value_kind:     by_value
      - .offset:         192
        .size:           4
        .value_kind:     by_value
      - .offset:         200
        .size:           8
        .value_kind:     by_value
      - .offset:         208
        .size:           4
        .value_kind:     hidden_block_count_x
      - .offset:         212
        .size:           4
        .value_kind:     hidden_block_count_y
      - .offset:         216
        .size:           4
        .value_kind:     hidden_block_count_z
      - .offset:         220
        .size:           2
        .value_kind:     hidden_group_size_x
      - .offset:         222
        .size:           2
        .value_kind:     hidden_group_size_y
      - .offset:         224
        .size:           2
        .value_kind:     hidden_group_size_z
      - .offset:         226
        .size:           2
        .value_kind:     hidden_remainder_x
      - .offset:         228
        .size:           2
        .value_kind:     hidden_remainder_y
      - .offset:         230
        .size:           2
        .value_kind:     hidden_remainder_z
      - .offset:         248
        .size:           8
        .value_kind:     hidden_global_offset_x
      - .offset:         256
        .size:           8
        .value_kind:     hidden_global_offset_y
      - .offset:         264
        .size:           8
        .value_kind:     hidden_global_offset_z
      - .offset:         272
        .size:           2
        .value_kind:     hidden_grid_dims
      - .offset:         288
        .size:           8
        .value_kind:     hidden_hostcall_buffer
    .group_segment_fixed_size: 0
    .kernarg_segment_align: 8
    .kernarg_segment_size: 464
    .language:       OpenCL C
    .language_version:
      - 2
      - 0
    .max_flat_workgroup_size: 256
    .name:           _ZL15flash_attn_tileILi96ELi96ELi32ELi2ELb1EEvPKcS1_S1_S1_S1_PKiPfP15HIP_vector_typeIfLj2EEffffjfiS5_IjLj3EEiiiiiiiiiiiliiliiiiil
    .private_segment_fixed_size: 16
    .sgpr_count:     36
    .sgpr_spill_count: 0
    .symbol:         _ZL15flash_attn_tileILi96ELi96ELi32ELi2ELb1EEvPKcS1_S1_S1_S1_PKiPfP15HIP_vector_typeIfLj2EEffffjfiS5_IjLj3EEiiiiiiiiiiiliiliiiiil.kd
    .uniform_work_group_size: 1
    .uses_dynamic_stack: false
    .vgpr_count:     40
    .vgpr_spill_count: 0
    .wavefront_size: 32
    .workgroup_processor_mode: 1
  - .args:
      - .address_space:  global
        .offset:         0
        .size:           8
        .value_kind:     global_buffer
      - .address_space:  global
        .offset:         8
        .size:           8
        .value_kind:     global_buffer
      - .address_space:  global
        .offset:         16
        .size:           8
        .value_kind:     global_buffer
      - .address_space:  global
        .offset:         24
        .size:           8
        .value_kind:     global_buffer
      - .address_space:  global
        .offset:         32
        .size:           8
        .value_kind:     global_buffer
      - .address_space:  global
        .offset:         40
        .size:           8
        .value_kind:     global_buffer
      - .address_space:  global
        .offset:         48
        .size:           8
        .value_kind:     global_buffer
      - .address_space:  global
        .offset:         56
        .size:           8
        .value_kind:     global_buffer
      - .offset:         64
        .size:           4
        .value_kind:     by_value
      - .offset:         68
        .size:           4
        .value_kind:     by_value
      - .offset:         72
        .size:           4
        .value_kind:     by_value
      - .offset:         76
        .size:           4
        .value_kind:     by_value
      - .offset:         80
        .size:           4
        .value_kind:     by_value
      - .offset:         84
        .size:           4
        .value_kind:     by_value
      - .offset:         88
        .size:           4
        .value_kind:     by_value
      - .offset:         92
        .size:           12
        .value_kind:     by_value
      - .offset:         104
        .size:           4
        .value_kind:     by_value
      - .offset:         108
        .size:           4
        .value_kind:     by_value
      - .offset:         112
        .size:           4
        .value_kind:     by_value
      - .offset:         116
        .size:           4
        .value_kind:     by_value
      - .offset:         120
        .size:           4
        .value_kind:     by_value
      - .offset:         124
        .size:           4
        .value_kind:     by_value
      - .offset:         128
        .size:           4
        .value_kind:     by_value
      - .offset:         132
        .size:           4
        .value_kind:     by_value
      - .offset:         136
        .size:           4
        .value_kind:     by_value
      - .offset:         140
        .size:           4
        .value_kind:     by_value
      - .offset:         144
        .size:           4
        .value_kind:     by_value
      - .offset:         152
        .size:           8
        .value_kind:     by_value
      - .offset:         160
        .size:           4
        .value_kind:     by_value
      - .offset:         164
        .size:           4
        .value_kind:     by_value
      - .offset:         168
        .size:           8
        .value_kind:     by_value
      - .offset:         176
        .size:           4
        .value_kind:     by_value
      - .offset:         180
        .size:           4
        .value_kind:     by_value
      - .offset:         184
        .size:           4
        .value_kind:     by_value
      - .offset:         188
        .size:           4
        .value_kind:     by_value
      - .offset:         192
        .size:           4
        .value_kind:     by_value
      - .offset:         200
        .size:           8
        .value_kind:     by_value
      - .offset:         208
        .size:           4
        .value_kind:     hidden_block_count_x
      - .offset:         212
        .size:           4
        .value_kind:     hidden_block_count_y
      - .offset:         216
        .size:           4
        .value_kind:     hidden_block_count_z
      - .offset:         220
        .size:           2
        .value_kind:     hidden_group_size_x
      - .offset:         222
        .size:           2
        .value_kind:     hidden_group_size_y
      - .offset:         224
        .size:           2
        .value_kind:     hidden_group_size_z
      - .offset:         226
        .size:           2
        .value_kind:     hidden_remainder_x
      - .offset:         228
        .size:           2
        .value_kind:     hidden_remainder_y
      - .offset:         230
        .size:           2
        .value_kind:     hidden_remainder_z
      - .offset:         248
        .size:           8
        .value_kind:     hidden_global_offset_x
      - .offset:         256
        .size:           8
        .value_kind:     hidden_global_offset_y
      - .offset:         264
        .size:           8
        .value_kind:     hidden_global_offset_z
      - .offset:         272
        .size:           2
        .value_kind:     hidden_grid_dims
      - .offset:         288
        .size:           8
        .value_kind:     hidden_hostcall_buffer
    .group_segment_fixed_size: 0
    .kernarg_segment_align: 8
    .kernarg_segment_size: 464
    .language:       OpenCL C
    .language_version:
      - 2
      - 0
    .max_flat_workgroup_size: 256
    .name:           _ZL15flash_attn_tileILi96ELi96ELi16ELi2ELb1EEvPKcS1_S1_S1_S1_PKiPfP15HIP_vector_typeIfLj2EEffffjfiS5_IjLj3EEiiiiiiiiiiiliiliiiiil
    .private_segment_fixed_size: 16
    .sgpr_count:     36
    .sgpr_spill_count: 0
    .symbol:         _ZL15flash_attn_tileILi96ELi96ELi16ELi2ELb1EEvPKcS1_S1_S1_S1_PKiPfP15HIP_vector_typeIfLj2EEffffjfiS5_IjLj3EEiiiiiiiiiiiliiliiiiil.kd
    .uniform_work_group_size: 1
    .uses_dynamic_stack: false
    .vgpr_count:     40
    .vgpr_spill_count: 0
    .wavefront_size: 32
    .workgroup_processor_mode: 1
  - .args:
      - .address_space:  global
        .offset:         0
        .size:           8
        .value_kind:     global_buffer
      - .address_space:  global
        .offset:         8
        .size:           8
        .value_kind:     global_buffer
      - .address_space:  global
        .offset:         16
        .size:           8
        .value_kind:     global_buffer
      - .address_space:  global
        .offset:         24
        .size:           8
        .value_kind:     global_buffer
      - .address_space:  global
        .offset:         32
        .size:           8
        .value_kind:     global_buffer
      - .address_space:  global
        .offset:         40
        .size:           8
        .value_kind:     global_buffer
      - .address_space:  global
        .offset:         48
        .size:           8
        .value_kind:     global_buffer
      - .address_space:  global
        .offset:         56
        .size:           8
        .value_kind:     global_buffer
      - .offset:         64
        .size:           4
        .value_kind:     by_value
      - .offset:         68
        .size:           4
        .value_kind:     by_value
      - .offset:         72
        .size:           4
        .value_kind:     by_value
      - .offset:         76
        .size:           4
        .value_kind:     by_value
      - .offset:         80
        .size:           4
        .value_kind:     by_value
      - .offset:         84
        .size:           4
        .value_kind:     by_value
      - .offset:         88
        .size:           4
        .value_kind:     by_value
      - .offset:         92
        .size:           12
        .value_kind:     by_value
      - .offset:         104
        .size:           4
        .value_kind:     by_value
      - .offset:         108
        .size:           4
        .value_kind:     by_value
      - .offset:         112
        .size:           4
        .value_kind:     by_value
      - .offset:         116
        .size:           4
        .value_kind:     by_value
      - .offset:         120
        .size:           4
        .value_kind:     by_value
      - .offset:         124
        .size:           4
        .value_kind:     by_value
      - .offset:         128
        .size:           4
        .value_kind:     by_value
      - .offset:         132
        .size:           4
        .value_kind:     by_value
      - .offset:         136
        .size:           4
        .value_kind:     by_value
      - .offset:         140
        .size:           4
        .value_kind:     by_value
      - .offset:         144
        .size:           4
        .value_kind:     by_value
      - .offset:         152
        .size:           8
        .value_kind:     by_value
      - .offset:         160
        .size:           4
        .value_kind:     by_value
      - .offset:         164
        .size:           4
        .value_kind:     by_value
      - .offset:         168
        .size:           8
        .value_kind:     by_value
      - .offset:         176
        .size:           4
        .value_kind:     by_value
      - .offset:         180
        .size:           4
        .value_kind:     by_value
      - .offset:         184
        .size:           4
        .value_kind:     by_value
      - .offset:         188
        .size:           4
        .value_kind:     by_value
      - .offset:         192
        .size:           4
        .value_kind:     by_value
      - .offset:         200
        .size:           8
        .value_kind:     by_value
      - .offset:         208
        .size:           4
        .value_kind:     hidden_block_count_x
      - .offset:         212
        .size:           4
        .value_kind:     hidden_block_count_y
      - .offset:         216
        .size:           4
        .value_kind:     hidden_block_count_z
      - .offset:         220
        .size:           2
        .value_kind:     hidden_group_size_x
      - .offset:         222
        .size:           2
        .value_kind:     hidden_group_size_y
      - .offset:         224
        .size:           2
        .value_kind:     hidden_group_size_z
      - .offset:         226
        .size:           2
        .value_kind:     hidden_remainder_x
      - .offset:         228
        .size:           2
        .value_kind:     hidden_remainder_y
      - .offset:         230
        .size:           2
        .value_kind:     hidden_remainder_z
      - .offset:         248
        .size:           8
        .value_kind:     hidden_global_offset_x
      - .offset:         256
        .size:           8
        .value_kind:     hidden_global_offset_y
      - .offset:         264
        .size:           8
        .value_kind:     hidden_global_offset_z
      - .offset:         272
        .size:           2
        .value_kind:     hidden_grid_dims
      - .offset:         288
        .size:           8
        .value_kind:     hidden_hostcall_buffer
    .group_segment_fixed_size: 0
    .kernarg_segment_align: 8
    .kernarg_segment_size: 464
    .language:       OpenCL C
    .language_version:
      - 2
      - 0
    .max_flat_workgroup_size: 256
    .name:           _ZL15flash_attn_tileILi96ELi96ELi8ELi2ELb1EEvPKcS1_S1_S1_S1_PKiPfP15HIP_vector_typeIfLj2EEffffjfiS5_IjLj3EEiiiiiiiiiiiliiliiiiil
    .private_segment_fixed_size: 16
    .sgpr_count:     36
    .sgpr_spill_count: 0
    .symbol:         _ZL15flash_attn_tileILi96ELi96ELi8ELi2ELb1EEvPKcS1_S1_S1_S1_PKiPfP15HIP_vector_typeIfLj2EEffffjfiS5_IjLj3EEiiiiiiiiiiiliiliiiiil.kd
    .uniform_work_group_size: 1
    .uses_dynamic_stack: false
    .vgpr_count:     40
    .vgpr_spill_count: 0
    .wavefront_size: 32
    .workgroup_processor_mode: 1
  - .args:
      - .address_space:  global
        .offset:         0
        .size:           8
        .value_kind:     global_buffer
      - .address_space:  global
        .offset:         8
        .size:           8
        .value_kind:     global_buffer
      - .address_space:  global
        .offset:         16
        .size:           8
        .value_kind:     global_buffer
      - .address_space:  global
        .offset:         24
        .size:           8
        .value_kind:     global_buffer
      - .address_space:  global
        .offset:         32
        .size:           8
        .value_kind:     global_buffer
      - .address_space:  global
        .offset:         40
        .size:           8
        .value_kind:     global_buffer
      - .address_space:  global
        .offset:         48
        .size:           8
        .value_kind:     global_buffer
      - .address_space:  global
        .offset:         56
        .size:           8
        .value_kind:     global_buffer
      - .offset:         64
        .size:           4
        .value_kind:     by_value
      - .offset:         68
        .size:           4
        .value_kind:     by_value
      - .offset:         72
        .size:           4
        .value_kind:     by_value
      - .offset:         76
        .size:           4
        .value_kind:     by_value
      - .offset:         80
        .size:           4
        .value_kind:     by_value
      - .offset:         84
        .size:           4
        .value_kind:     by_value
      - .offset:         88
        .size:           4
        .value_kind:     by_value
      - .offset:         92
        .size:           12
        .value_kind:     by_value
      - .offset:         104
        .size:           4
        .value_kind:     by_value
      - .offset:         108
        .size:           4
        .value_kind:     by_value
      - .offset:         112
        .size:           4
        .value_kind:     by_value
      - .offset:         116
        .size:           4
        .value_kind:     by_value
      - .offset:         120
        .size:           4
        .value_kind:     by_value
      - .offset:         124
        .size:           4
        .value_kind:     by_value
      - .offset:         128
        .size:           4
        .value_kind:     by_value
      - .offset:         132
        .size:           4
        .value_kind:     by_value
      - .offset:         136
        .size:           4
        .value_kind:     by_value
      - .offset:         140
        .size:           4
        .value_kind:     by_value
      - .offset:         144
        .size:           4
        .value_kind:     by_value
      - .offset:         152
        .size:           8
        .value_kind:     by_value
      - .offset:         160
        .size:           4
        .value_kind:     by_value
      - .offset:         164
        .size:           4
        .value_kind:     by_value
      - .offset:         168
        .size:           8
        .value_kind:     by_value
      - .offset:         176
        .size:           4
        .value_kind:     by_value
      - .offset:         180
        .size:           4
        .value_kind:     by_value
      - .offset:         184
        .size:           4
        .value_kind:     by_value
      - .offset:         188
        .size:           4
        .value_kind:     by_value
      - .offset:         192
        .size:           4
        .value_kind:     by_value
      - .offset:         200
        .size:           8
        .value_kind:     by_value
      - .offset:         208
        .size:           4
        .value_kind:     hidden_block_count_x
      - .offset:         212
        .size:           4
        .value_kind:     hidden_block_count_y
      - .offset:         216
        .size:           4
        .value_kind:     hidden_block_count_z
      - .offset:         220
        .size:           2
        .value_kind:     hidden_group_size_x
      - .offset:         222
        .size:           2
        .value_kind:     hidden_group_size_y
      - .offset:         224
        .size:           2
        .value_kind:     hidden_group_size_z
      - .offset:         226
        .size:           2
        .value_kind:     hidden_remainder_x
      - .offset:         228
        .size:           2
        .value_kind:     hidden_remainder_y
      - .offset:         230
        .size:           2
        .value_kind:     hidden_remainder_z
      - .offset:         248
        .size:           8
        .value_kind:     hidden_global_offset_x
      - .offset:         256
        .size:           8
        .value_kind:     hidden_global_offset_y
      - .offset:         264
        .size:           8
        .value_kind:     hidden_global_offset_z
      - .offset:         272
        .size:           2
        .value_kind:     hidden_grid_dims
      - .offset:         288
        .size:           8
        .value_kind:     hidden_hostcall_buffer
    .group_segment_fixed_size: 0
    .kernarg_segment_align: 8
    .kernarg_segment_size: 464
    .language:       OpenCL C
    .language_version:
      - 2
      - 0
    .max_flat_workgroup_size: 256
    .name:           _ZL15flash_attn_tileILi96ELi96ELi4ELi2ELb1EEvPKcS1_S1_S1_S1_PKiPfP15HIP_vector_typeIfLj2EEffffjfiS5_IjLj3EEiiiiiiiiiiiliiliiiiil
    .private_segment_fixed_size: 16
    .sgpr_count:     36
    .sgpr_spill_count: 0
    .symbol:         _ZL15flash_attn_tileILi96ELi96ELi4ELi2ELb1EEvPKcS1_S1_S1_S1_PKiPfP15HIP_vector_typeIfLj2EEffffjfiS5_IjLj3EEiiiiiiiiiiiliiliiiiil.kd
    .uniform_work_group_size: 1
    .uses_dynamic_stack: false
    .vgpr_count:     40
    .vgpr_spill_count: 0
    .wavefront_size: 32
    .workgroup_processor_mode: 1
  - .args:
      - .address_space:  global
        .offset:         0
        .size:           8
        .value_kind:     global_buffer
      - .address_space:  global
        .offset:         8
        .size:           8
        .value_kind:     global_buffer
      - .address_space:  global
        .offset:         16
        .size:           8
        .value_kind:     global_buffer
      - .address_space:  global
        .offset:         24
        .size:           8
        .value_kind:     global_buffer
      - .address_space:  global
        .offset:         32
        .size:           8
        .value_kind:     global_buffer
      - .address_space:  global
        .offset:         40
        .size:           8
        .value_kind:     global_buffer
      - .address_space:  global
        .offset:         48
        .size:           8
        .value_kind:     global_buffer
      - .address_space:  global
        .offset:         56
        .size:           8
        .value_kind:     global_buffer
      - .offset:         64
        .size:           4
        .value_kind:     by_value
      - .offset:         68
        .size:           4
        .value_kind:     by_value
      - .offset:         72
        .size:           4
        .value_kind:     by_value
      - .offset:         76
        .size:           4
        .value_kind:     by_value
      - .offset:         80
        .size:           4
        .value_kind:     by_value
      - .offset:         84
        .size:           4
        .value_kind:     by_value
      - .offset:         88
        .size:           4
        .value_kind:     by_value
      - .offset:         92
        .size:           12
        .value_kind:     by_value
      - .offset:         104
        .size:           4
        .value_kind:     by_value
      - .offset:         108
        .size:           4
        .value_kind:     by_value
      - .offset:         112
        .size:           4
        .value_kind:     by_value
      - .offset:         116
        .size:           4
        .value_kind:     by_value
      - .offset:         120
        .size:           4
        .value_kind:     by_value
      - .offset:         124
        .size:           4
        .value_kind:     by_value
      - .offset:         128
        .size:           4
        .value_kind:     by_value
      - .offset:         132
        .size:           4
        .value_kind:     by_value
      - .offset:         136
        .size:           4
        .value_kind:     by_value
      - .offset:         140
        .size:           4
        .value_kind:     by_value
      - .offset:         144
        .size:           4
        .value_kind:     by_value
      - .offset:         152
        .size:           8
        .value_kind:     by_value
      - .offset:         160
        .size:           4
        .value_kind:     by_value
      - .offset:         164
        .size:           4
        .value_kind:     by_value
      - .offset:         168
        .size:           8
        .value_kind:     by_value
      - .offset:         176
        .size:           4
        .value_kind:     by_value
      - .offset:         180
        .size:           4
        .value_kind:     by_value
      - .offset:         184
        .size:           4
        .value_kind:     by_value
      - .offset:         188
        .size:           4
        .value_kind:     by_value
      - .offset:         192
        .size:           4
        .value_kind:     by_value
      - .offset:         200
        .size:           8
        .value_kind:     by_value
      - .offset:         208
        .size:           4
        .value_kind:     hidden_block_count_x
      - .offset:         212
        .size:           4
        .value_kind:     hidden_block_count_y
      - .offset:         216
        .size:           4
        .value_kind:     hidden_block_count_z
      - .offset:         220
        .size:           2
        .value_kind:     hidden_group_size_x
      - .offset:         222
        .size:           2
        .value_kind:     hidden_group_size_y
      - .offset:         224
        .size:           2
        .value_kind:     hidden_group_size_z
      - .offset:         226
        .size:           2
        .value_kind:     hidden_remainder_x
      - .offset:         228
        .size:           2
        .value_kind:     hidden_remainder_y
      - .offset:         230
        .size:           2
        .value_kind:     hidden_remainder_z
      - .offset:         248
        .size:           8
        .value_kind:     hidden_global_offset_x
      - .offset:         256
        .size:           8
        .value_kind:     hidden_global_offset_y
      - .offset:         264
        .size:           8
        .value_kind:     hidden_global_offset_z
      - .offset:         272
        .size:           2
        .value_kind:     hidden_grid_dims
      - .offset:         288
        .size:           8
        .value_kind:     hidden_hostcall_buffer
    .group_segment_fixed_size: 0
    .kernarg_segment_align: 8
    .kernarg_segment_size: 464
    .language:       OpenCL C
    .language_version:
      - 2
      - 0
    .max_flat_workgroup_size: 128
    .name:           _ZL15flash_attn_tileILi96ELi96ELi2ELi2ELb1EEvPKcS1_S1_S1_S1_PKiPfP15HIP_vector_typeIfLj2EEffffjfiS5_IjLj3EEiiiiiiiiiiiliiliiiiil
    .private_segment_fixed_size: 16
    .sgpr_count:     36
    .sgpr_spill_count: 0
    .symbol:         _ZL15flash_attn_tileILi96ELi96ELi2ELi2ELb1EEvPKcS1_S1_S1_S1_PKiPfP15HIP_vector_typeIfLj2EEffffjfiS5_IjLj3EEiiiiiiiiiiiliiliiiiil.kd
    .uniform_work_group_size: 1
    .uses_dynamic_stack: false
    .vgpr_count:     40
    .vgpr_spill_count: 0
    .wavefront_size: 32
    .workgroup_processor_mode: 1
  - .args:
      - .address_space:  global
        .offset:         0
        .size:           8
        .value_kind:     global_buffer
      - .address_space:  global
        .offset:         8
        .size:           8
        .value_kind:     global_buffer
      - .address_space:  global
        .offset:         16
        .size:           8
        .value_kind:     global_buffer
      - .address_space:  global
        .offset:         24
        .size:           8
        .value_kind:     global_buffer
      - .address_space:  global
        .offset:         32
        .size:           8
        .value_kind:     global_buffer
      - .address_space:  global
        .offset:         40
        .size:           8
        .value_kind:     global_buffer
      - .address_space:  global
        .offset:         48
        .size:           8
        .value_kind:     global_buffer
      - .address_space:  global
        .offset:         56
        .size:           8
        .value_kind:     global_buffer
      - .offset:         64
        .size:           4
        .value_kind:     by_value
      - .offset:         68
        .size:           4
        .value_kind:     by_value
      - .offset:         72
        .size:           4
        .value_kind:     by_value
      - .offset:         76
        .size:           4
        .value_kind:     by_value
      - .offset:         80
        .size:           4
        .value_kind:     by_value
      - .offset:         84
        .size:           4
        .value_kind:     by_value
      - .offset:         88
        .size:           4
        .value_kind:     by_value
      - .offset:         92
        .size:           12
        .value_kind:     by_value
      - .offset:         104
        .size:           4
        .value_kind:     by_value
      - .offset:         108
        .size:           4
        .value_kind:     by_value
      - .offset:         112
        .size:           4
        .value_kind:     by_value
      - .offset:         116
        .size:           4
        .value_kind:     by_value
      - .offset:         120
        .size:           4
        .value_kind:     by_value
      - .offset:         124
        .size:           4
        .value_kind:     by_value
      - .offset:         128
        .size:           4
        .value_kind:     by_value
      - .offset:         132
        .size:           4
        .value_kind:     by_value
      - .offset:         136
        .size:           4
        .value_kind:     by_value
      - .offset:         140
        .size:           4
        .value_kind:     by_value
      - .offset:         144
        .size:           4
        .value_kind:     by_value
      - .offset:         152
        .size:           8
        .value_kind:     by_value
      - .offset:         160
        .size:           4
        .value_kind:     by_value
      - .offset:         164
        .size:           4
        .value_kind:     by_value
      - .offset:         168
        .size:           8
        .value_kind:     by_value
      - .offset:         176
        .size:           4
        .value_kind:     by_value
      - .offset:         180
        .size:           4
        .value_kind:     by_value
      - .offset:         184
        .size:           4
        .value_kind:     by_value
      - .offset:         188
        .size:           4
        .value_kind:     by_value
      - .offset:         192
        .size:           4
        .value_kind:     by_value
      - .offset:         200
        .size:           8
        .value_kind:     by_value
      - .offset:         208
        .size:           4
        .value_kind:     hidden_block_count_x
      - .offset:         212
        .size:           4
        .value_kind:     hidden_block_count_y
      - .offset:         216
        .size:           4
        .value_kind:     hidden_block_count_z
      - .offset:         220
        .size:           2
        .value_kind:     hidden_group_size_x
      - .offset:         222
        .size:           2
        .value_kind:     hidden_group_size_y
      - .offset:         224
        .size:           2
        .value_kind:     hidden_group_size_z
      - .offset:         226
        .size:           2
        .value_kind:     hidden_remainder_x
      - .offset:         228
        .size:           2
        .value_kind:     hidden_remainder_y
      - .offset:         230
        .size:           2
        .value_kind:     hidden_remainder_z
      - .offset:         248
        .size:           8
        .value_kind:     hidden_global_offset_x
      - .offset:         256
        .size:           8
        .value_kind:     hidden_global_offset_y
      - .offset:         264
        .size:           8
        .value_kind:     hidden_global_offset_z
      - .offset:         272
        .size:           2
        .value_kind:     hidden_grid_dims
      - .offset:         288
        .size:           8
        .value_kind:     hidden_hostcall_buffer
    .group_segment_fixed_size: 0
    .kernarg_segment_align: 8
    .kernarg_segment_size: 464
    .language:       OpenCL C
    .language_version:
      - 2
      - 0
    .max_flat_workgroup_size: 64
    .name:           _ZL15flash_attn_tileILi96ELi96ELi1ELi2ELb1EEvPKcS1_S1_S1_S1_PKiPfP15HIP_vector_typeIfLj2EEffffjfiS5_IjLj3EEiiiiiiiiiiiliiliiiiil
    .private_segment_fixed_size: 16
    .sgpr_count:     36
    .sgpr_spill_count: 0
    .symbol:         _ZL15flash_attn_tileILi96ELi96ELi1ELi2ELb1EEvPKcS1_S1_S1_S1_PKiPfP15HIP_vector_typeIfLj2EEffffjfiS5_IjLj3EEiiiiiiiiiiiliiliiiiil.kd
    .uniform_work_group_size: 1
    .uses_dynamic_stack: false
    .vgpr_count:     40
    .vgpr_spill_count: 0
    .wavefront_size: 32
    .workgroup_processor_mode: 1
  - .args:
      - .address_space:  global
        .offset:         0
        .size:           8
        .value_kind:     global_buffer
      - .address_space:  global
        .offset:         8
        .size:           8
        .value_kind:     global_buffer
      - .address_space:  global
        .offset:         16
        .size:           8
        .value_kind:     global_buffer
      - .address_space:  global
        .offset:         24
        .size:           8
        .value_kind:     global_buffer
      - .address_space:  global
        .offset:         32
        .size:           8
        .value_kind:     global_buffer
      - .address_space:  global
        .offset:         40
        .size:           8
        .value_kind:     global_buffer
      - .address_space:  global
        .offset:         48
        .size:           8
        .value_kind:     global_buffer
      - .address_space:  global
        .offset:         56
        .size:           8
        .value_kind:     global_buffer
      - .offset:         64
        .size:           4
        .value_kind:     by_value
      - .offset:         68
        .size:           4
        .value_kind:     by_value
      - .offset:         72
        .size:           4
        .value_kind:     by_value
      - .offset:         76
        .size:           4
        .value_kind:     by_value
      - .offset:         80
        .size:           4
        .value_kind:     by_value
      - .offset:         84
        .size:           4
        .value_kind:     by_value
      - .offset:         88
        .size:           4
        .value_kind:     by_value
      - .offset:         92
        .size:           12
        .value_kind:     by_value
      - .offset:         104
        .size:           4
        .value_kind:     by_value
      - .offset:         108
        .size:           4
        .value_kind:     by_value
      - .offset:         112
        .size:           4
        .value_kind:     by_value
      - .offset:         116
        .size:           4
        .value_kind:     by_value
      - .offset:         120
        .size:           4
        .value_kind:     by_value
      - .offset:         124
        .size:           4
        .value_kind:     by_value
      - .offset:         128
        .size:           4
        .value_kind:     by_value
      - .offset:         132
        .size:           4
        .value_kind:     by_value
      - .offset:         136
        .size:           4
        .value_kind:     by_value
      - .offset:         140
        .size:           4
        .value_kind:     by_value
      - .offset:         144
        .size:           4
        .value_kind:     by_value
      - .offset:         152
        .size:           8
        .value_kind:     by_value
      - .offset:         160
        .size:           4
        .value_kind:     by_value
      - .offset:         164
        .size:           4
        .value_kind:     by_value
      - .offset:         168
        .size:           8
        .value_kind:     by_value
      - .offset:         176
        .size:           4
        .value_kind:     by_value
      - .offset:         180
        .size:           4
        .value_kind:     by_value
      - .offset:         184
        .size:           4
        .value_kind:     by_value
      - .offset:         188
        .size:           4
        .value_kind:     by_value
      - .offset:         192
        .size:           4
        .value_kind:     by_value
      - .offset:         200
        .size:           8
        .value_kind:     by_value
      - .offset:         208
        .size:           4
        .value_kind:     hidden_block_count_x
      - .offset:         212
        .size:           4
        .value_kind:     hidden_block_count_y
      - .offset:         216
        .size:           4
        .value_kind:     hidden_block_count_z
      - .offset:         220
        .size:           2
        .value_kind:     hidden_group_size_x
      - .offset:         222
        .size:           2
        .value_kind:     hidden_group_size_y
      - .offset:         224
        .size:           2
        .value_kind:     hidden_group_size_z
      - .offset:         226
        .size:           2
        .value_kind:     hidden_remainder_x
      - .offset:         228
        .size:           2
        .value_kind:     hidden_remainder_y
      - .offset:         230
        .size:           2
        .value_kind:     hidden_remainder_z
      - .offset:         248
        .size:           8
        .value_kind:     hidden_global_offset_x
      - .offset:         256
        .size:           8
        .value_kind:     hidden_global_offset_y
      - .offset:         264
        .size:           8
        .value_kind:     hidden_global_offset_z
      - .offset:         272
        .size:           2
        .value_kind:     hidden_grid_dims
      - .offset:         288
        .size:           8
        .value_kind:     hidden_hostcall_buffer
    .group_segment_fixed_size: 0
    .kernarg_segment_align: 8
    .kernarg_segment_size: 464
    .language:       OpenCL C
    .language_version:
      - 2
      - 0
    .max_flat_workgroup_size: 256
    .name:           _ZL15flash_attn_tileILi96ELi96ELi64ELi1ELb1EEvPKcS1_S1_S1_S1_PKiPfP15HIP_vector_typeIfLj2EEffffjfiS5_IjLj3EEiiiiiiiiiiiliiliiiiil
    .private_segment_fixed_size: 16
    .sgpr_count:     36
    .sgpr_spill_count: 0
    .symbol:         _ZL15flash_attn_tileILi96ELi96ELi64ELi1ELb1EEvPKcS1_S1_S1_S1_PKiPfP15HIP_vector_typeIfLj2EEffffjfiS5_IjLj3EEiiiiiiiiiiiliiliiiiil.kd
    .uniform_work_group_size: 1
    .uses_dynamic_stack: false
    .vgpr_count:     40
    .vgpr_spill_count: 0
    .wavefront_size: 32
    .workgroup_processor_mode: 1
  - .args:
      - .address_space:  global
        .offset:         0
        .size:           8
        .value_kind:     global_buffer
      - .address_space:  global
        .offset:         8
        .size:           8
        .value_kind:     global_buffer
      - .address_space:  global
        .offset:         16
        .size:           8
        .value_kind:     global_buffer
      - .address_space:  global
        .offset:         24
        .size:           8
        .value_kind:     global_buffer
      - .address_space:  global
        .offset:         32
        .size:           8
        .value_kind:     global_buffer
      - .address_space:  global
        .offset:         40
        .size:           8
        .value_kind:     global_buffer
      - .address_space:  global
        .offset:         48
        .size:           8
        .value_kind:     global_buffer
      - .address_space:  global
        .offset:         56
        .size:           8
        .value_kind:     global_buffer
      - .offset:         64
        .size:           4
        .value_kind:     by_value
      - .offset:         68
        .size:           4
        .value_kind:     by_value
      - .offset:         72
        .size:           4
        .value_kind:     by_value
      - .offset:         76
        .size:           4
        .value_kind:     by_value
      - .offset:         80
        .size:           4
        .value_kind:     by_value
      - .offset:         84
        .size:           4
        .value_kind:     by_value
      - .offset:         88
        .size:           4
        .value_kind:     by_value
      - .offset:         92
        .size:           12
        .value_kind:     by_value
      - .offset:         104
        .size:           4
        .value_kind:     by_value
      - .offset:         108
        .size:           4
        .value_kind:     by_value
      - .offset:         112
        .size:           4
        .value_kind:     by_value
      - .offset:         116
        .size:           4
        .value_kind:     by_value
      - .offset:         120
        .size:           4
        .value_kind:     by_value
      - .offset:         124
        .size:           4
        .value_kind:     by_value
      - .offset:         128
        .size:           4
        .value_kind:     by_value
      - .offset:         132
        .size:           4
        .value_kind:     by_value
      - .offset:         136
        .size:           4
        .value_kind:     by_value
      - .offset:         140
        .size:           4
        .value_kind:     by_value
      - .offset:         144
        .size:           4
        .value_kind:     by_value
      - .offset:         152
        .size:           8
        .value_kind:     by_value
      - .offset:         160
        .size:           4
        .value_kind:     by_value
      - .offset:         164
        .size:           4
        .value_kind:     by_value
      - .offset:         168
        .size:           8
        .value_kind:     by_value
      - .offset:         176
        .size:           4
        .value_kind:     by_value
      - .offset:         180
        .size:           4
        .value_kind:     by_value
      - .offset:         184
        .size:           4
        .value_kind:     by_value
      - .offset:         188
        .size:           4
        .value_kind:     by_value
      - .offset:         192
        .size:           4
        .value_kind:     by_value
      - .offset:         200
        .size:           8
        .value_kind:     by_value
      - .offset:         208
        .size:           4
        .value_kind:     hidden_block_count_x
      - .offset:         212
        .size:           4
        .value_kind:     hidden_block_count_y
      - .offset:         216
        .size:           4
        .value_kind:     hidden_block_count_z
      - .offset:         220
        .size:           2
        .value_kind:     hidden_group_size_x
      - .offset:         222
        .size:           2
        .value_kind:     hidden_group_size_y
      - .offset:         224
        .size:           2
        .value_kind:     hidden_group_size_z
      - .offset:         226
        .size:           2
        .value_kind:     hidden_remainder_x
      - .offset:         228
        .size:           2
        .value_kind:     hidden_remainder_y
      - .offset:         230
        .size:           2
        .value_kind:     hidden_remainder_z
      - .offset:         248
        .size:           8
        .value_kind:     hidden_global_offset_x
      - .offset:         256
        .size:           8
        .value_kind:     hidden_global_offset_y
      - .offset:         264
        .size:           8
        .value_kind:     hidden_global_offset_z
      - .offset:         272
        .size:           2
        .value_kind:     hidden_grid_dims
      - .offset:         288
        .size:           8
        .value_kind:     hidden_hostcall_buffer
    .group_segment_fixed_size: 0
    .kernarg_segment_align: 8
    .kernarg_segment_size: 464
    .language:       OpenCL C
    .language_version:
      - 2
      - 0
    .max_flat_workgroup_size: 256
    .name:           _ZL15flash_attn_tileILi96ELi96ELi32ELi1ELb1EEvPKcS1_S1_S1_S1_PKiPfP15HIP_vector_typeIfLj2EEffffjfiS5_IjLj3EEiiiiiiiiiiiliiliiiiil
    .private_segment_fixed_size: 16
    .sgpr_count:     36
    .sgpr_spill_count: 0
    .symbol:         _ZL15flash_attn_tileILi96ELi96ELi32ELi1ELb1EEvPKcS1_S1_S1_S1_PKiPfP15HIP_vector_typeIfLj2EEffffjfiS5_IjLj3EEiiiiiiiiiiiliiliiiiil.kd
    .uniform_work_group_size: 1
    .uses_dynamic_stack: false
    .vgpr_count:     40
    .vgpr_spill_count: 0
    .wavefront_size: 32
    .workgroup_processor_mode: 1
  - .args:
      - .address_space:  global
        .offset:         0
        .size:           8
        .value_kind:     global_buffer
      - .address_space:  global
        .offset:         8
        .size:           8
        .value_kind:     global_buffer
      - .address_space:  global
        .offset:         16
        .size:           8
        .value_kind:     global_buffer
      - .address_space:  global
        .offset:         24
        .size:           8
        .value_kind:     global_buffer
      - .address_space:  global
        .offset:         32
        .size:           8
        .value_kind:     global_buffer
      - .address_space:  global
        .offset:         40
        .size:           8
        .value_kind:     global_buffer
      - .address_space:  global
        .offset:         48
        .size:           8
        .value_kind:     global_buffer
      - .address_space:  global
        .offset:         56
        .size:           8
        .value_kind:     global_buffer
      - .offset:         64
        .size:           4
        .value_kind:     by_value
      - .offset:         68
        .size:           4
        .value_kind:     by_value
      - .offset:         72
        .size:           4
        .value_kind:     by_value
      - .offset:         76
        .size:           4
        .value_kind:     by_value
      - .offset:         80
        .size:           4
        .value_kind:     by_value
      - .offset:         84
        .size:           4
        .value_kind:     by_value
      - .offset:         88
        .size:           4
        .value_kind:     by_value
      - .offset:         92
        .size:           12
        .value_kind:     by_value
      - .offset:         104
        .size:           4
        .value_kind:     by_value
      - .offset:         108
        .size:           4
        .value_kind:     by_value
      - .offset:         112
        .size:           4
        .value_kind:     by_value
      - .offset:         116
        .size:           4
        .value_kind:     by_value
      - .offset:         120
        .size:           4
        .value_kind:     by_value
      - .offset:         124
        .size:           4
        .value_kind:     by_value
      - .offset:         128
        .size:           4
        .value_kind:     by_value
      - .offset:         132
        .size:           4
        .value_kind:     by_value
      - .offset:         136
        .size:           4
        .value_kind:     by_value
      - .offset:         140
        .size:           4
        .value_kind:     by_value
      - .offset:         144
        .size:           4
        .value_kind:     by_value
      - .offset:         152
        .size:           8
        .value_kind:     by_value
      - .offset:         160
        .size:           4
        .value_kind:     by_value
      - .offset:         164
        .size:           4
        .value_kind:     by_value
      - .offset:         168
        .size:           8
        .value_kind:     by_value
      - .offset:         176
        .size:           4
        .value_kind:     by_value
      - .offset:         180
        .size:           4
        .value_kind:     by_value
      - .offset:         184
        .size:           4
        .value_kind:     by_value
      - .offset:         188
        .size:           4
        .value_kind:     by_value
      - .offset:         192
        .size:           4
        .value_kind:     by_value
      - .offset:         200
        .size:           8
        .value_kind:     by_value
      - .offset:         208
        .size:           4
        .value_kind:     hidden_block_count_x
      - .offset:         212
        .size:           4
        .value_kind:     hidden_block_count_y
      - .offset:         216
        .size:           4
        .value_kind:     hidden_block_count_z
      - .offset:         220
        .size:           2
        .value_kind:     hidden_group_size_x
      - .offset:         222
        .size:           2
        .value_kind:     hidden_group_size_y
      - .offset:         224
        .size:           2
        .value_kind:     hidden_group_size_z
      - .offset:         226
        .size:           2
        .value_kind:     hidden_remainder_x
      - .offset:         228
        .size:           2
        .value_kind:     hidden_remainder_y
      - .offset:         230
        .size:           2
        .value_kind:     hidden_remainder_z
      - .offset:         248
        .size:           8
        .value_kind:     hidden_global_offset_x
      - .offset:         256
        .size:           8
        .value_kind:     hidden_global_offset_y
      - .offset:         264
        .size:           8
        .value_kind:     hidden_global_offset_z
      - .offset:         272
        .size:           2
        .value_kind:     hidden_grid_dims
      - .offset:         288
        .size:           8
        .value_kind:     hidden_hostcall_buffer
    .group_segment_fixed_size: 0
    .kernarg_segment_align: 8
    .kernarg_segment_size: 464
    .language:       OpenCL C
    .language_version:
      - 2
      - 0
    .max_flat_workgroup_size: 256
    .name:           _ZL15flash_attn_tileILi96ELi96ELi16ELi1ELb1EEvPKcS1_S1_S1_S1_PKiPfP15HIP_vector_typeIfLj2EEffffjfiS5_IjLj3EEiiiiiiiiiiiliiliiiiil
    .private_segment_fixed_size: 16
    .sgpr_count:     36
    .sgpr_spill_count: 0
    .symbol:         _ZL15flash_attn_tileILi96ELi96ELi16ELi1ELb1EEvPKcS1_S1_S1_S1_PKiPfP15HIP_vector_typeIfLj2EEffffjfiS5_IjLj3EEiiiiiiiiiiiliiliiiiil.kd
    .uniform_work_group_size: 1
    .uses_dynamic_stack: false
    .vgpr_count:     40
    .vgpr_spill_count: 0
    .wavefront_size: 32
    .workgroup_processor_mode: 1
  - .args:
      - .address_space:  global
        .offset:         0
        .size:           8
        .value_kind:     global_buffer
      - .address_space:  global
        .offset:         8
        .size:           8
        .value_kind:     global_buffer
      - .address_space:  global
        .offset:         16
        .size:           8
        .value_kind:     global_buffer
      - .address_space:  global
        .offset:         24
        .size:           8
        .value_kind:     global_buffer
      - .address_space:  global
        .offset:         32
        .size:           8
        .value_kind:     global_buffer
      - .address_space:  global
        .offset:         40
        .size:           8
        .value_kind:     global_buffer
      - .address_space:  global
        .offset:         48
        .size:           8
        .value_kind:     global_buffer
      - .address_space:  global
        .offset:         56
        .size:           8
        .value_kind:     global_buffer
      - .offset:         64
        .size:           4
        .value_kind:     by_value
      - .offset:         68
        .size:           4
        .value_kind:     by_value
      - .offset:         72
        .size:           4
        .value_kind:     by_value
      - .offset:         76
        .size:           4
        .value_kind:     by_value
      - .offset:         80
        .size:           4
        .value_kind:     by_value
      - .offset:         84
        .size:           4
        .value_kind:     by_value
      - .offset:         88
        .size:           4
        .value_kind:     by_value
      - .offset:         92
        .size:           12
        .value_kind:     by_value
      - .offset:         104
        .size:           4
        .value_kind:     by_value
      - .offset:         108
        .size:           4
        .value_kind:     by_value
      - .offset:         112
        .size:           4
        .value_kind:     by_value
      - .offset:         116
        .size:           4
        .value_kind:     by_value
      - .offset:         120
        .size:           4
        .value_kind:     by_value
      - .offset:         124
        .size:           4
        .value_kind:     by_value
      - .offset:         128
        .size:           4
        .value_kind:     by_value
      - .offset:         132
        .size:           4
        .value_kind:     by_value
      - .offset:         136
        .size:           4
        .value_kind:     by_value
      - .offset:         140
        .size:           4
        .value_kind:     by_value
      - .offset:         144
        .size:           4
        .value_kind:     by_value
      - .offset:         152
        .size:           8
        .value_kind:     by_value
      - .offset:         160
        .size:           4
        .value_kind:     by_value
      - .offset:         164
        .size:           4
        .value_kind:     by_value
      - .offset:         168
        .size:           8
        .value_kind:     by_value
      - .offset:         176
        .size:           4
        .value_kind:     by_value
      - .offset:         180
        .size:           4
        .value_kind:     by_value
      - .offset:         184
        .size:           4
        .value_kind:     by_value
      - .offset:         188
        .size:           4
        .value_kind:     by_value
      - .offset:         192
        .size:           4
        .value_kind:     by_value
      - .offset:         200
        .size:           8
        .value_kind:     by_value
      - .offset:         208
        .size:           4
        .value_kind:     hidden_block_count_x
      - .offset:         212
        .size:           4
        .value_kind:     hidden_block_count_y
      - .offset:         216
        .size:           4
        .value_kind:     hidden_block_count_z
      - .offset:         220
        .size:           2
        .value_kind:     hidden_group_size_x
      - .offset:         222
        .size:           2
        .value_kind:     hidden_group_size_y
      - .offset:         224
        .size:           2
        .value_kind:     hidden_group_size_z
      - .offset:         226
        .size:           2
        .value_kind:     hidden_remainder_x
      - .offset:         228
        .size:           2
        .value_kind:     hidden_remainder_y
      - .offset:         230
        .size:           2
        .value_kind:     hidden_remainder_z
      - .offset:         248
        .size:           8
        .value_kind:     hidden_global_offset_x
      - .offset:         256
        .size:           8
        .value_kind:     hidden_global_offset_y
      - .offset:         264
        .size:           8
        .value_kind:     hidden_global_offset_z
      - .offset:         272
        .size:           2
        .value_kind:     hidden_grid_dims
      - .offset:         288
        .size:           8
        .value_kind:     hidden_hostcall_buffer
    .group_segment_fixed_size: 0
    .kernarg_segment_align: 8
    .kernarg_segment_size: 464
    .language:       OpenCL C
    .language_version:
      - 2
      - 0
    .max_flat_workgroup_size: 256
    .name:           _ZL15flash_attn_tileILi96ELi96ELi8ELi1ELb1EEvPKcS1_S1_S1_S1_PKiPfP15HIP_vector_typeIfLj2EEffffjfiS5_IjLj3EEiiiiiiiiiiiliiliiiiil
    .private_segment_fixed_size: 16
    .sgpr_count:     36
    .sgpr_spill_count: 0
    .symbol:         _ZL15flash_attn_tileILi96ELi96ELi8ELi1ELb1EEvPKcS1_S1_S1_S1_PKiPfP15HIP_vector_typeIfLj2EEffffjfiS5_IjLj3EEiiiiiiiiiiiliiliiiiil.kd
    .uniform_work_group_size: 1
    .uses_dynamic_stack: false
    .vgpr_count:     40
    .vgpr_spill_count: 0
    .wavefront_size: 32
    .workgroup_processor_mode: 1
  - .args:
      - .address_space:  global
        .offset:         0
        .size:           8
        .value_kind:     global_buffer
      - .address_space:  global
        .offset:         8
        .size:           8
        .value_kind:     global_buffer
      - .address_space:  global
        .offset:         16
        .size:           8
        .value_kind:     global_buffer
      - .address_space:  global
        .offset:         24
        .size:           8
        .value_kind:     global_buffer
      - .address_space:  global
        .offset:         32
        .size:           8
        .value_kind:     global_buffer
      - .address_space:  global
        .offset:         40
        .size:           8
        .value_kind:     global_buffer
      - .address_space:  global
        .offset:         48
        .size:           8
        .value_kind:     global_buffer
      - .address_space:  global
        .offset:         56
        .size:           8
        .value_kind:     global_buffer
      - .offset:         64
        .size:           4
        .value_kind:     by_value
      - .offset:         68
        .size:           4
        .value_kind:     by_value
      - .offset:         72
        .size:           4
        .value_kind:     by_value
      - .offset:         76
        .size:           4
        .value_kind:     by_value
      - .offset:         80
        .size:           4
        .value_kind:     by_value
      - .offset:         84
        .size:           4
        .value_kind:     by_value
      - .offset:         88
        .size:           4
        .value_kind:     by_value
      - .offset:         92
        .size:           12
        .value_kind:     by_value
      - .offset:         104
        .size:           4
        .value_kind:     by_value
      - .offset:         108
        .size:           4
        .value_kind:     by_value
      - .offset:         112
        .size:           4
        .value_kind:     by_value
      - .offset:         116
        .size:           4
        .value_kind:     by_value
      - .offset:         120
        .size:           4
        .value_kind:     by_value
      - .offset:         124
        .size:           4
        .value_kind:     by_value
      - .offset:         128
        .size:           4
        .value_kind:     by_value
      - .offset:         132
        .size:           4
        .value_kind:     by_value
      - .offset:         136
        .size:           4
        .value_kind:     by_value
      - .offset:         140
        .size:           4
        .value_kind:     by_value
      - .offset:         144
        .size:           4
        .value_kind:     by_value
      - .offset:         152
        .size:           8
        .value_kind:     by_value
      - .offset:         160
        .size:           4
        .value_kind:     by_value
      - .offset:         164
        .size:           4
        .value_kind:     by_value
      - .offset:         168
        .size:           8
        .value_kind:     by_value
      - .offset:         176
        .size:           4
        .value_kind:     by_value
      - .offset:         180
        .size:           4
        .value_kind:     by_value
      - .offset:         184
        .size:           4
        .value_kind:     by_value
      - .offset:         188
        .size:           4
        .value_kind:     by_value
      - .offset:         192
        .size:           4
        .value_kind:     by_value
      - .offset:         200
        .size:           8
        .value_kind:     by_value
      - .offset:         208
        .size:           4
        .value_kind:     hidden_block_count_x
      - .offset:         212
        .size:           4
        .value_kind:     hidden_block_count_y
      - .offset:         216
        .size:           4
        .value_kind:     hidden_block_count_z
      - .offset:         220
        .size:           2
        .value_kind:     hidden_group_size_x
      - .offset:         222
        .size:           2
        .value_kind:     hidden_group_size_y
      - .offset:         224
        .size:           2
        .value_kind:     hidden_group_size_z
      - .offset:         226
        .size:           2
        .value_kind:     hidden_remainder_x
      - .offset:         228
        .size:           2
        .value_kind:     hidden_remainder_y
      - .offset:         230
        .size:           2
        .value_kind:     hidden_remainder_z
      - .offset:         248
        .size:           8
        .value_kind:     hidden_global_offset_x
      - .offset:         256
        .size:           8
        .value_kind:     hidden_global_offset_y
      - .offset:         264
        .size:           8
        .value_kind:     hidden_global_offset_z
      - .offset:         272
        .size:           2
        .value_kind:     hidden_grid_dims
      - .offset:         288
        .size:           8
        .value_kind:     hidden_hostcall_buffer
    .group_segment_fixed_size: 0
    .kernarg_segment_align: 8
    .kernarg_segment_size: 464
    .language:       OpenCL C
    .language_version:
      - 2
      - 0
    .max_flat_workgroup_size: 128
    .name:           _ZL15flash_attn_tileILi96ELi96ELi4ELi1ELb1EEvPKcS1_S1_S1_S1_PKiPfP15HIP_vector_typeIfLj2EEffffjfiS5_IjLj3EEiiiiiiiiiiiliiliiiiil
    .private_segment_fixed_size: 16
    .sgpr_count:     36
    .sgpr_spill_count: 0
    .symbol:         _ZL15flash_attn_tileILi96ELi96ELi4ELi1ELb1EEvPKcS1_S1_S1_S1_PKiPfP15HIP_vector_typeIfLj2EEffffjfiS5_IjLj3EEiiiiiiiiiiiliiliiiiil.kd
    .uniform_work_group_size: 1
    .uses_dynamic_stack: false
    .vgpr_count:     40
    .vgpr_spill_count: 0
    .wavefront_size: 32
    .workgroup_processor_mode: 1
  - .args:
      - .address_space:  global
        .offset:         0
        .size:           8
        .value_kind:     global_buffer
      - .address_space:  global
        .offset:         8
        .size:           8
        .value_kind:     global_buffer
      - .address_space:  global
        .offset:         16
        .size:           8
        .value_kind:     global_buffer
      - .address_space:  global
        .offset:         24
        .size:           8
        .value_kind:     global_buffer
      - .address_space:  global
        .offset:         32
        .size:           8
        .value_kind:     global_buffer
      - .address_space:  global
        .offset:         40
        .size:           8
        .value_kind:     global_buffer
      - .address_space:  global
        .offset:         48
        .size:           8
        .value_kind:     global_buffer
      - .address_space:  global
        .offset:         56
        .size:           8
        .value_kind:     global_buffer
      - .offset:         64
        .size:           4
        .value_kind:     by_value
      - .offset:         68
        .size:           4
        .value_kind:     by_value
      - .offset:         72
        .size:           4
        .value_kind:     by_value
      - .offset:         76
        .size:           4
        .value_kind:     by_value
      - .offset:         80
        .size:           4
        .value_kind:     by_value
      - .offset:         84
        .size:           4
        .value_kind:     by_value
      - .offset:         88
        .size:           4
        .value_kind:     by_value
      - .offset:         92
        .size:           12
        .value_kind:     by_value
      - .offset:         104
        .size:           4
        .value_kind:     by_value
      - .offset:         108
        .size:           4
        .value_kind:     by_value
      - .offset:         112
        .size:           4
        .value_kind:     by_value
      - .offset:         116
        .size:           4
        .value_kind:     by_value
      - .offset:         120
        .size:           4
        .value_kind:     by_value
      - .offset:         124
        .size:           4
        .value_kind:     by_value
      - .offset:         128
        .size:           4
        .value_kind:     by_value
      - .offset:         132
        .size:           4
        .value_kind:     by_value
      - .offset:         136
        .size:           4
        .value_kind:     by_value
      - .offset:         140
        .size:           4
        .value_kind:     by_value
      - .offset:         144
        .size:           4
        .value_kind:     by_value
      - .offset:         152
        .size:           8
        .value_kind:     by_value
      - .offset:         160
        .size:           4
        .value_kind:     by_value
      - .offset:         164
        .size:           4
        .value_kind:     by_value
      - .offset:         168
        .size:           8
        .value_kind:     by_value
      - .offset:         176
        .size:           4
        .value_kind:     by_value
      - .offset:         180
        .size:           4
        .value_kind:     by_value
      - .offset:         184
        .size:           4
        .value_kind:     by_value
      - .offset:         188
        .size:           4
        .value_kind:     by_value
      - .offset:         192
        .size:           4
        .value_kind:     by_value
      - .offset:         200
        .size:           8
        .value_kind:     by_value
      - .offset:         208
        .size:           4
        .value_kind:     hidden_block_count_x
      - .offset:         212
        .size:           4
        .value_kind:     hidden_block_count_y
      - .offset:         216
        .size:           4
        .value_kind:     hidden_block_count_z
      - .offset:         220
        .size:           2
        .value_kind:     hidden_group_size_x
      - .offset:         222
        .size:           2
        .value_kind:     hidden_group_size_y
      - .offset:         224
        .size:           2
        .value_kind:     hidden_group_size_z
      - .offset:         226
        .size:           2
        .value_kind:     hidden_remainder_x
      - .offset:         228
        .size:           2
        .value_kind:     hidden_remainder_y
      - .offset:         230
        .size:           2
        .value_kind:     hidden_remainder_z
      - .offset:         248
        .size:           8
        .value_kind:     hidden_global_offset_x
      - .offset:         256
        .size:           8
        .value_kind:     hidden_global_offset_y
      - .offset:         264
        .size:           8
        .value_kind:     hidden_global_offset_z
      - .offset:         272
        .size:           2
        .value_kind:     hidden_grid_dims
      - .offset:         288
        .size:           8
        .value_kind:     hidden_hostcall_buffer
    .group_segment_fixed_size: 0
    .kernarg_segment_align: 8
    .kernarg_segment_size: 464
    .language:       OpenCL C
    .language_version:
      - 2
      - 0
    .max_flat_workgroup_size: 64
    .name:           _ZL15flash_attn_tileILi96ELi96ELi2ELi1ELb1EEvPKcS1_S1_S1_S1_PKiPfP15HIP_vector_typeIfLj2EEffffjfiS5_IjLj3EEiiiiiiiiiiiliiliiiiil
    .private_segment_fixed_size: 16
    .sgpr_count:     36
    .sgpr_spill_count: 0
    .symbol:         _ZL15flash_attn_tileILi96ELi96ELi2ELi1ELb1EEvPKcS1_S1_S1_S1_PKiPfP15HIP_vector_typeIfLj2EEffffjfiS5_IjLj3EEiiiiiiiiiiiliiliiiiil.kd
    .uniform_work_group_size: 1
    .uses_dynamic_stack: false
    .vgpr_count:     40
    .vgpr_spill_count: 0
    .wavefront_size: 32
    .workgroup_processor_mode: 1
amdhsa.target:   amdgcn-amd-amdhsa--gfx1201
amdhsa.version:
  - 1
  - 2
...

	.end_amdgpu_metadata
